;; amdgpu-corpus repo=ROCm/rccl kind=compiled arch=gfx90a opt=O3
	.text
	.amdgcn_target "amdgcn-amd-amdhsa--gfx90a"
	.amdhsa_code_object_version 6
	.p2align	2                               ; -- Begin function __ockl_fprintf_append_string_n
	.type	__ockl_fprintf_append_string_n,@function
__ockl_fprintf_append_string_n:         ; @__ockl_fprintf_append_string_n
; %bb.0:
	s_waitcnt vmcnt(0) expcnt(0) lgkmcnt(0)
	v_mov_b32_e32 v9, v3
	v_mov_b32_e32 v8, v2
	v_or_b32_e32 v2, 2, v0
	v_cmp_eq_u32_e32 vcc, 0, v6
	s_mov_b32 s22, 0
	v_cndmask_b32_e32 v0, v2, v0, vcc
	s_mov_b64 s[6:7], 0
	v_cmp_ne_u64_e32 vcc, 0, v[8:9]
	v_mbcnt_lo_u32_b32 v2, -1, 0
	s_and_saveexec_b64 s[4:5], vcc
	s_xor_b64 s[10:11], exec, s[4:5]
	s_cbranch_execz .LBB0_86
; %bb.1:
	s_load_dwordx2 s[12:13], s[8:9], 0x50
	v_and_b32_e32 v6, 2, v0
	v_mov_b32_e32 v31, 0
	v_and_b32_e32 v0, -3, v0
	v_mbcnt_hi_u32_b32 v32, -1, v2
	s_movk_i32 s23, 0xff1f
	v_mov_b32_e32 v12, 2
	v_mov_b32_e32 v13, 1
	s_branch .LBB0_3
.LBB0_2:                                ;   in Loop: Header=BB0_3 Depth=1
	s_or_b64 exec, exec, s[16:17]
	v_sub_co_u32_e32 v4, vcc, v4, v34
	v_subb_co_u32_e32 v5, vcc, v5, v35, vcc
	v_cmp_eq_u64_e32 vcc, 0, v[4:5]
	s_or_b64 s[6:7], vcc, s[6:7]
	v_add_co_u32_e32 v8, vcc, v8, v34
	v_addc_co_u32_e32 v9, vcc, v9, v35, vcc
	s_andn2_b64 exec, exec, s[6:7]
	s_cbranch_execz .LBB0_85
.LBB0_3:                                ; =>This Loop Header: Depth=1
                                        ;     Child Loop BB0_6 Depth 2
                                        ;     Child Loop BB0_14 Depth 2
	;; [unrolled: 1-line block ×11, first 2 shown]
	v_cmp_gt_u64_e32 vcc, 56, v[4:5]
	v_cndmask_b32_e32 v35, 0, v5, vcc
	v_cndmask_b32_e32 v34, 56, v4, vcc
	v_cmp_gt_u64_e32 vcc, 8, v[4:5]
                                        ; implicit-def: $vgpr2_vgpr3
                                        ; implicit-def: $sgpr14
	s_and_saveexec_b64 s[4:5], vcc
	s_xor_b64 s[4:5], exec, s[4:5]
	s_cbranch_execz .LBB0_9
; %bb.4:                                ;   in Loop: Header=BB0_3 Depth=1
	s_mov_b64 s[16:17], 0
	v_cmp_ne_u64_e32 vcc, 0, v[4:5]
	s_waitcnt vmcnt(0)
	v_pk_mov_b32 v[2:3], 0, 0
	s_and_saveexec_b64 s[14:15], vcc
	s_cbranch_execz .LBB0_8
; %bb.5:                                ;   in Loop: Header=BB0_3 Depth=1
	v_lshlrev_b64 v[10:11], 3, v[34:35]
	v_pk_mov_b32 v[2:3], 0, 0
	v_pk_mov_b32 v[14:15], v[8:9], v[8:9] op_sel:[0,1]
	s_mov_b64 s[18:19], 0
.LBB0_6:                                ;   Parent Loop BB0_3 Depth=1
                                        ; =>  This Inner Loop Header: Depth=2
	flat_load_ubyte v7, v[14:15]
	v_mov_b32_e32 v17, s22
	v_add_co_u32_e32 v14, vcc, 1, v14
	v_addc_co_u32_e32 v15, vcc, 0, v15, vcc
	s_waitcnt vmcnt(0) lgkmcnt(0)
	v_and_b32_e32 v16, 0xffff, v7
	v_lshlrev_b64 v[16:17], s18, v[16:17]
	s_add_u32 s18, s18, 8
	s_addc_u32 s19, s19, 0
	v_cmp_eq_u32_e32 vcc, s18, v10
	v_or_b32_e32 v3, v17, v3
	s_or_b64 s[16:17], vcc, s[16:17]
	v_or_b32_e32 v2, v16, v2
	s_andn2_b64 exec, exec, s[16:17]
	s_cbranch_execnz .LBB0_6
; %bb.7:                                ;   in Loop: Header=BB0_3 Depth=1
	s_or_b64 exec, exec, s[16:17]
.LBB0_8:                                ;   in Loop: Header=BB0_3 Depth=1
	s_or_b64 exec, exec, s[14:15]
	s_mov_b32 s14, 0
.LBB0_9:                                ;   in Loop: Header=BB0_3 Depth=1
	s_or_saveexec_b64 s[4:5], s[4:5]
	v_mov_b32_e32 v7, s14
	v_pk_mov_b32 v[10:11], v[8:9], v[8:9] op_sel:[0,1]
	s_xor_b64 exec, exec, s[4:5]
	s_cbranch_execz .LBB0_11
; %bb.10:                               ;   in Loop: Header=BB0_3 Depth=1
	s_waitcnt vmcnt(0)
	flat_load_dwordx2 v[2:3], v[8:9]
	v_add_u32_e32 v7, -8, v34
	s_waitcnt vmcnt(0) lgkmcnt(0)
	v_and_b32_e32 v10, 0xff, v3
	v_and_b32_e32 v11, 0xff00, v3
	;; [unrolled: 1-line block ×4, first 2 shown]
	v_or_b32_e32 v10, v10, v11
	v_or3_b32 v3, v10, v14, v3
	v_add_co_u32_e32 v10, vcc, 8, v8
	v_or3_b32 v2, v2, 0, 0
	v_addc_co_u32_e32 v11, vcc, 0, v9, vcc
.LBB0_11:                               ;   in Loop: Header=BB0_3 Depth=1
	s_or_b64 exec, exec, s[4:5]
	v_cmp_gt_u32_e32 vcc, 8, v7
                                        ; implicit-def: $vgpr14_vgpr15
                                        ; implicit-def: $sgpr14
	s_and_saveexec_b64 s[4:5], vcc
	s_xor_b64 s[4:5], exec, s[4:5]
	s_cbranch_execz .LBB0_17
; %bb.12:                               ;   in Loop: Header=BB0_3 Depth=1
	v_cmp_ne_u32_e32 vcc, 0, v7
	v_pk_mov_b32 v[14:15], 0, 0
	s_and_saveexec_b64 s[14:15], vcc
	s_cbranch_execz .LBB0_16
; %bb.13:                               ;   in Loop: Header=BB0_3 Depth=1
	s_mov_b64 s[16:17], 0
	v_pk_mov_b32 v[14:15], 0, 0
	s_mov_b64 s[18:19], 0
	s_mov_b64 s[20:21], 0
.LBB0_14:                               ;   Parent Loop BB0_3 Depth=1
                                        ; =>  This Inner Loop Header: Depth=2
	v_mov_b32_e32 v17, s21
	v_add_co_u32_e32 v16, vcc, s20, v10
	v_addc_co_u32_e32 v17, vcc, v11, v17, vcc
	flat_load_ubyte v16, v[16:17]
	s_add_u32 s20, s20, 1
	v_mov_b32_e32 v17, s22
	s_addc_u32 s21, s21, 0
	v_cmp_eq_u32_e32 vcc, s20, v7
	s_waitcnt vmcnt(0) lgkmcnt(0)
	v_and_b32_e32 v16, 0xffff, v16
	v_lshlrev_b64 v[16:17], s18, v[16:17]
	s_add_u32 s18, s18, 8
	s_addc_u32 s19, s19, 0
	v_or_b32_e32 v15, v17, v15
	s_or_b64 s[16:17], vcc, s[16:17]
	v_or_b32_e32 v14, v16, v14
	s_andn2_b64 exec, exec, s[16:17]
	s_cbranch_execnz .LBB0_14
; %bb.15:                               ;   in Loop: Header=BB0_3 Depth=1
	s_or_b64 exec, exec, s[16:17]
.LBB0_16:                               ;   in Loop: Header=BB0_3 Depth=1
	s_or_b64 exec, exec, s[14:15]
	s_mov_b32 s14, 0
                                        ; implicit-def: $vgpr7
.LBB0_17:                               ;   in Loop: Header=BB0_3 Depth=1
	s_or_saveexec_b64 s[4:5], s[4:5]
	v_mov_b32_e32 v18, s14
	s_xor_b64 exec, exec, s[4:5]
	s_cbranch_execz .LBB0_19
; %bb.18:                               ;   in Loop: Header=BB0_3 Depth=1
	flat_load_dwordx2 v[14:15], v[10:11]
	v_add_u32_e32 v18, -8, v7
	v_add_co_u32_e32 v10, vcc, 8, v10
	v_addc_co_u32_e32 v11, vcc, 0, v11, vcc
	s_waitcnt vmcnt(0) lgkmcnt(0)
	v_and_b32_e32 v7, 0xff, v15
	v_and_b32_e32 v16, 0xff00, v15
	;; [unrolled: 1-line block ×4, first 2 shown]
	v_or_b32_e32 v7, v7, v16
	v_or3_b32 v14, v14, 0, 0
	v_or3_b32 v15, v7, v17, v15
.LBB0_19:                               ;   in Loop: Header=BB0_3 Depth=1
	s_or_b64 exec, exec, s[4:5]
	v_cmp_gt_u32_e32 vcc, 8, v18
                                        ; implicit-def: $sgpr14
	s_and_saveexec_b64 s[4:5], vcc
	s_xor_b64 s[4:5], exec, s[4:5]
	s_cbranch_execz .LBB0_25
; %bb.20:                               ;   in Loop: Header=BB0_3 Depth=1
	v_cmp_ne_u32_e32 vcc, 0, v18
	v_pk_mov_b32 v[16:17], 0, 0
	s_and_saveexec_b64 s[14:15], vcc
	s_cbranch_execz .LBB0_24
; %bb.21:                               ;   in Loop: Header=BB0_3 Depth=1
	s_mov_b64 s[16:17], 0
	v_pk_mov_b32 v[16:17], 0, 0
	s_mov_b64 s[18:19], 0
	s_mov_b64 s[20:21], 0
.LBB0_22:                               ;   Parent Loop BB0_3 Depth=1
                                        ; =>  This Inner Loop Header: Depth=2
	v_mov_b32_e32 v7, s21
	v_add_co_u32_e32 v20, vcc, s20, v10
	v_addc_co_u32_e32 v21, vcc, v11, v7, vcc
	flat_load_ubyte v7, v[20:21]
	s_add_u32 s20, s20, 1
	v_mov_b32_e32 v21, s22
	s_addc_u32 s21, s21, 0
	v_cmp_eq_u32_e32 vcc, s20, v18
	s_waitcnt vmcnt(0) lgkmcnt(0)
	v_and_b32_e32 v20, 0xffff, v7
	v_lshlrev_b64 v[20:21], s18, v[20:21]
	s_add_u32 s18, s18, 8
	s_addc_u32 s19, s19, 0
	v_or_b32_e32 v17, v21, v17
	s_or_b64 s[16:17], vcc, s[16:17]
	v_or_b32_e32 v16, v20, v16
	s_andn2_b64 exec, exec, s[16:17]
	s_cbranch_execnz .LBB0_22
; %bb.23:                               ;   in Loop: Header=BB0_3 Depth=1
	s_or_b64 exec, exec, s[16:17]
.LBB0_24:                               ;   in Loop: Header=BB0_3 Depth=1
	s_or_b64 exec, exec, s[14:15]
	s_mov_b32 s14, 0
                                        ; implicit-def: $vgpr18
.LBB0_25:                               ;   in Loop: Header=BB0_3 Depth=1
	s_or_saveexec_b64 s[4:5], s[4:5]
	v_mov_b32_e32 v7, s14
	s_xor_b64 exec, exec, s[4:5]
	s_cbranch_execz .LBB0_27
; %bb.26:                               ;   in Loop: Header=BB0_3 Depth=1
	flat_load_dwordx2 v[16:17], v[10:11]
	v_add_u32_e32 v7, -8, v18
	v_add_co_u32_e32 v10, vcc, 8, v10
	v_addc_co_u32_e32 v11, vcc, 0, v11, vcc
	s_waitcnt vmcnt(0) lgkmcnt(0)
	v_and_b32_e32 v18, 0xff, v17
	v_and_b32_e32 v19, 0xff00, v17
	;; [unrolled: 1-line block ×4, first 2 shown]
	v_or_b32_e32 v18, v18, v19
	v_or3_b32 v16, v16, 0, 0
	v_or3_b32 v17, v18, v20, v17
.LBB0_27:                               ;   in Loop: Header=BB0_3 Depth=1
	s_or_b64 exec, exec, s[4:5]
	v_cmp_gt_u32_e32 vcc, 8, v7
                                        ; implicit-def: $vgpr18_vgpr19
                                        ; implicit-def: $sgpr14
	s_and_saveexec_b64 s[4:5], vcc
	s_xor_b64 s[4:5], exec, s[4:5]
	s_cbranch_execz .LBB0_33
; %bb.28:                               ;   in Loop: Header=BB0_3 Depth=1
	v_cmp_ne_u32_e32 vcc, 0, v7
	v_pk_mov_b32 v[18:19], 0, 0
	s_and_saveexec_b64 s[14:15], vcc
	s_cbranch_execz .LBB0_32
; %bb.29:                               ;   in Loop: Header=BB0_3 Depth=1
	s_mov_b64 s[16:17], 0
	v_pk_mov_b32 v[18:19], 0, 0
	s_mov_b64 s[18:19], 0
	s_mov_b64 s[20:21], 0
.LBB0_30:                               ;   Parent Loop BB0_3 Depth=1
                                        ; =>  This Inner Loop Header: Depth=2
	v_mov_b32_e32 v21, s21
	v_add_co_u32_e32 v20, vcc, s20, v10
	v_addc_co_u32_e32 v21, vcc, v11, v21, vcc
	flat_load_ubyte v20, v[20:21]
	s_add_u32 s20, s20, 1
	v_mov_b32_e32 v21, s22
	s_addc_u32 s21, s21, 0
	v_cmp_eq_u32_e32 vcc, s20, v7
	s_waitcnt vmcnt(0) lgkmcnt(0)
	v_and_b32_e32 v20, 0xffff, v20
	v_lshlrev_b64 v[20:21], s18, v[20:21]
	s_add_u32 s18, s18, 8
	s_addc_u32 s19, s19, 0
	v_or_b32_e32 v19, v21, v19
	s_or_b64 s[16:17], vcc, s[16:17]
	v_or_b32_e32 v18, v20, v18
	s_andn2_b64 exec, exec, s[16:17]
	s_cbranch_execnz .LBB0_30
; %bb.31:                               ;   in Loop: Header=BB0_3 Depth=1
	s_or_b64 exec, exec, s[16:17]
.LBB0_32:                               ;   in Loop: Header=BB0_3 Depth=1
	s_or_b64 exec, exec, s[14:15]
	s_mov_b32 s14, 0
                                        ; implicit-def: $vgpr7
.LBB0_33:                               ;   in Loop: Header=BB0_3 Depth=1
	s_or_saveexec_b64 s[4:5], s[4:5]
	v_mov_b32_e32 v22, s14
	s_xor_b64 exec, exec, s[4:5]
	s_cbranch_execz .LBB0_35
; %bb.34:                               ;   in Loop: Header=BB0_3 Depth=1
	flat_load_dwordx2 v[18:19], v[10:11]
	v_add_u32_e32 v22, -8, v7
	v_add_co_u32_e32 v10, vcc, 8, v10
	v_addc_co_u32_e32 v11, vcc, 0, v11, vcc
	s_waitcnt vmcnt(0) lgkmcnt(0)
	v_and_b32_e32 v7, 0xff, v19
	v_and_b32_e32 v20, 0xff00, v19
	;; [unrolled: 1-line block ×4, first 2 shown]
	v_or_b32_e32 v7, v7, v20
	v_or3_b32 v18, v18, 0, 0
	v_or3_b32 v19, v7, v21, v19
.LBB0_35:                               ;   in Loop: Header=BB0_3 Depth=1
	s_or_b64 exec, exec, s[4:5]
	v_cmp_gt_u32_e32 vcc, 8, v22
                                        ; implicit-def: $sgpr14
	s_and_saveexec_b64 s[4:5], vcc
	s_xor_b64 s[4:5], exec, s[4:5]
	s_cbranch_execz .LBB0_41
; %bb.36:                               ;   in Loop: Header=BB0_3 Depth=1
	v_cmp_ne_u32_e32 vcc, 0, v22
	v_pk_mov_b32 v[20:21], 0, 0
	s_and_saveexec_b64 s[14:15], vcc
	s_cbranch_execz .LBB0_40
; %bb.37:                               ;   in Loop: Header=BB0_3 Depth=1
	s_mov_b64 s[16:17], 0
	v_pk_mov_b32 v[20:21], 0, 0
	s_mov_b64 s[18:19], 0
	s_mov_b64 s[20:21], 0
.LBB0_38:                               ;   Parent Loop BB0_3 Depth=1
                                        ; =>  This Inner Loop Header: Depth=2
	v_mov_b32_e32 v7, s21
	v_add_co_u32_e32 v24, vcc, s20, v10
	v_addc_co_u32_e32 v25, vcc, v11, v7, vcc
	flat_load_ubyte v7, v[24:25]
	s_add_u32 s20, s20, 1
	v_mov_b32_e32 v25, s22
	s_addc_u32 s21, s21, 0
	v_cmp_eq_u32_e32 vcc, s20, v22
	s_waitcnt vmcnt(0) lgkmcnt(0)
	v_and_b32_e32 v24, 0xffff, v7
	v_lshlrev_b64 v[24:25], s18, v[24:25]
	s_add_u32 s18, s18, 8
	s_addc_u32 s19, s19, 0
	v_or_b32_e32 v21, v25, v21
	s_or_b64 s[16:17], vcc, s[16:17]
	v_or_b32_e32 v20, v24, v20
	s_andn2_b64 exec, exec, s[16:17]
	s_cbranch_execnz .LBB0_38
; %bb.39:                               ;   in Loop: Header=BB0_3 Depth=1
	s_or_b64 exec, exec, s[16:17]
.LBB0_40:                               ;   in Loop: Header=BB0_3 Depth=1
	s_or_b64 exec, exec, s[14:15]
	s_mov_b32 s14, 0
                                        ; implicit-def: $vgpr22
.LBB0_41:                               ;   in Loop: Header=BB0_3 Depth=1
	s_or_saveexec_b64 s[4:5], s[4:5]
	v_mov_b32_e32 v7, s14
	s_xor_b64 exec, exec, s[4:5]
	s_cbranch_execz .LBB0_43
; %bb.42:                               ;   in Loop: Header=BB0_3 Depth=1
	flat_load_dwordx2 v[20:21], v[10:11]
	v_add_u32_e32 v7, -8, v22
	v_add_co_u32_e32 v10, vcc, 8, v10
	v_addc_co_u32_e32 v11, vcc, 0, v11, vcc
	s_waitcnt vmcnt(0) lgkmcnt(0)
	v_and_b32_e32 v22, 0xff, v21
	v_and_b32_e32 v23, 0xff00, v21
	;; [unrolled: 1-line block ×4, first 2 shown]
	v_or_b32_e32 v22, v22, v23
	v_or3_b32 v20, v20, 0, 0
	v_or3_b32 v21, v22, v24, v21
.LBB0_43:                               ;   in Loop: Header=BB0_3 Depth=1
	s_or_b64 exec, exec, s[4:5]
	v_cmp_gt_u32_e32 vcc, 8, v7
                                        ; implicit-def: $vgpr22_vgpr23
                                        ; implicit-def: $sgpr14
	s_and_saveexec_b64 s[4:5], vcc
	s_xor_b64 s[4:5], exec, s[4:5]
	s_cbranch_execz .LBB0_49
; %bb.44:                               ;   in Loop: Header=BB0_3 Depth=1
	v_cmp_ne_u32_e32 vcc, 0, v7
	v_pk_mov_b32 v[22:23], 0, 0
	s_and_saveexec_b64 s[14:15], vcc
	s_cbranch_execz .LBB0_48
; %bb.45:                               ;   in Loop: Header=BB0_3 Depth=1
	s_mov_b64 s[16:17], 0
	v_pk_mov_b32 v[22:23], 0, 0
	s_mov_b64 s[18:19], 0
	s_mov_b64 s[20:21], 0
.LBB0_46:                               ;   Parent Loop BB0_3 Depth=1
                                        ; =>  This Inner Loop Header: Depth=2
	v_mov_b32_e32 v25, s21
	v_add_co_u32_e32 v24, vcc, s20, v10
	v_addc_co_u32_e32 v25, vcc, v11, v25, vcc
	flat_load_ubyte v24, v[24:25]
	s_add_u32 s20, s20, 1
	v_mov_b32_e32 v25, s22
	s_addc_u32 s21, s21, 0
	v_cmp_eq_u32_e32 vcc, s20, v7
	s_waitcnt vmcnt(0) lgkmcnt(0)
	v_and_b32_e32 v24, 0xffff, v24
	v_lshlrev_b64 v[24:25], s18, v[24:25]
	s_add_u32 s18, s18, 8
	s_addc_u32 s19, s19, 0
	v_or_b32_e32 v23, v25, v23
	s_or_b64 s[16:17], vcc, s[16:17]
	v_or_b32_e32 v22, v24, v22
	s_andn2_b64 exec, exec, s[16:17]
	s_cbranch_execnz .LBB0_46
; %bb.47:                               ;   in Loop: Header=BB0_3 Depth=1
	s_or_b64 exec, exec, s[16:17]
.LBB0_48:                               ;   in Loop: Header=BB0_3 Depth=1
	s_or_b64 exec, exec, s[14:15]
	s_mov_b32 s14, 0
                                        ; implicit-def: $vgpr7
.LBB0_49:                               ;   in Loop: Header=BB0_3 Depth=1
	s_or_saveexec_b64 s[4:5], s[4:5]
	v_mov_b32_e32 v26, s14
	s_xor_b64 exec, exec, s[4:5]
	s_cbranch_execz .LBB0_51
; %bb.50:                               ;   in Loop: Header=BB0_3 Depth=1
	flat_load_dwordx2 v[22:23], v[10:11]
	v_add_u32_e32 v26, -8, v7
	v_add_co_u32_e32 v10, vcc, 8, v10
	v_addc_co_u32_e32 v11, vcc, 0, v11, vcc
	s_waitcnt vmcnt(0) lgkmcnt(0)
	v_and_b32_e32 v7, 0xff, v23
	v_and_b32_e32 v24, 0xff00, v23
	v_and_b32_e32 v25, 0xff0000, v23
	v_and_b32_e32 v23, 0xff000000, v23
	v_or_b32_e32 v7, v7, v24
	v_or3_b32 v22, v22, 0, 0
	v_or3_b32 v23, v7, v25, v23
.LBB0_51:                               ;   in Loop: Header=BB0_3 Depth=1
	s_or_b64 exec, exec, s[4:5]
	v_cmp_gt_u32_e32 vcc, 8, v26
	s_and_saveexec_b64 s[4:5], vcc
	s_xor_b64 s[4:5], exec, s[4:5]
	s_cbranch_execz .LBB0_57
; %bb.52:                               ;   in Loop: Header=BB0_3 Depth=1
	v_cmp_ne_u32_e32 vcc, 0, v26
	v_pk_mov_b32 v[24:25], 0, 0
	s_and_saveexec_b64 s[14:15], vcc
	s_cbranch_execz .LBB0_56
; %bb.53:                               ;   in Loop: Header=BB0_3 Depth=1
	s_mov_b64 s[16:17], 0
	v_pk_mov_b32 v[24:25], 0, 0
	s_mov_b64 s[18:19], 0
.LBB0_54:                               ;   Parent Loop BB0_3 Depth=1
                                        ; =>  This Inner Loop Header: Depth=2
	flat_load_ubyte v7, v[10:11]
	v_mov_b32_e32 v29, s22
	v_add_co_u32_e32 v10, vcc, 1, v10
	v_add_u32_e32 v26, -1, v26
	v_addc_co_u32_e32 v11, vcc, 0, v11, vcc
	v_cmp_eq_u32_e32 vcc, 0, v26
	s_waitcnt vmcnt(0) lgkmcnt(0)
	v_and_b32_e32 v28, 0xffff, v7
	v_lshlrev_b64 v[28:29], s18, v[28:29]
	s_add_u32 s18, s18, 8
	s_addc_u32 s19, s19, 0
	v_or_b32_e32 v25, v29, v25
	s_or_b64 s[16:17], vcc, s[16:17]
	v_or_b32_e32 v24, v28, v24
	s_andn2_b64 exec, exec, s[16:17]
	s_cbranch_execnz .LBB0_54
; %bb.55:                               ;   in Loop: Header=BB0_3 Depth=1
	s_or_b64 exec, exec, s[16:17]
.LBB0_56:                               ;   in Loop: Header=BB0_3 Depth=1
	s_or_b64 exec, exec, s[14:15]
                                        ; implicit-def: $vgpr10_vgpr11
.LBB0_57:                               ;   in Loop: Header=BB0_3 Depth=1
	s_andn2_saveexec_b64 s[4:5], s[4:5]
	s_cbranch_execz .LBB0_59
; %bb.58:                               ;   in Loop: Header=BB0_3 Depth=1
	flat_load_dwordx2 v[10:11], v[10:11]
	s_waitcnt vmcnt(0) lgkmcnt(0)
	v_and_b32_e32 v7, 0xff, v11
	v_and_b32_e32 v24, 0xff00, v11
	;; [unrolled: 1-line block ×4, first 2 shown]
	v_or_b32_e32 v7, v7, v24
	v_or3_b32 v25, v7, v25, v11
	v_or3_b32 v24, v10, 0, 0
.LBB0_59:                               ;   in Loop: Header=BB0_3 Depth=1
	s_or_b64 exec, exec, s[4:5]
	v_readfirstlane_b32 s4, v32
	v_cmp_eq_u32_e64 s[4:5], s4, v32
	v_pk_mov_b32 v[10:11], 0, 0
	s_and_saveexec_b64 s[14:15], s[4:5]
	s_cbranch_execz .LBB0_65
; %bb.60:                               ;   in Loop: Header=BB0_3 Depth=1
	s_waitcnt lgkmcnt(0)
	global_load_dwordx2 v[28:29], v31, s[12:13] offset:24 glc
	s_waitcnt vmcnt(0)
	buffer_invl2
	buffer_wbinvl1_vol
	global_load_dwordx2 v[10:11], v31, s[12:13] offset:40
	global_load_dwordx2 v[26:27], v31, s[12:13]
	s_waitcnt vmcnt(1)
	v_and_b32_e32 v7, v10, v28
	v_and_b32_e32 v10, v11, v29
	v_mul_lo_u32 v10, v10, 24
	v_mul_hi_u32 v11, v7, 24
	v_mul_lo_u32 v7, v7, 24
	v_add_u32_e32 v11, v11, v10
	s_waitcnt vmcnt(0)
	v_add_co_u32_e32 v10, vcc, v26, v7
	v_addc_co_u32_e32 v11, vcc, v27, v11, vcc
	global_load_dwordx2 v[26:27], v[10:11], off glc
	s_waitcnt vmcnt(0)
	global_atomic_cmpswap_x2 v[10:11], v31, v[26:29], s[12:13] offset:24 glc
	s_waitcnt vmcnt(0)
	buffer_invl2
	buffer_wbinvl1_vol
	v_cmp_ne_u64_e32 vcc, v[10:11], v[28:29]
	s_and_saveexec_b64 s[16:17], vcc
	s_cbranch_execz .LBB0_64
; %bb.61:                               ;   in Loop: Header=BB0_3 Depth=1
	s_mov_b64 s[18:19], 0
.LBB0_62:                               ;   Parent Loop BB0_3 Depth=1
                                        ; =>  This Inner Loop Header: Depth=2
	s_sleep 1
	global_load_dwordx2 v[26:27], v31, s[12:13] offset:40
	global_load_dwordx2 v[36:37], v31, s[12:13]
	v_pk_mov_b32 v[28:29], v[10:11], v[10:11] op_sel:[0,1]
	s_waitcnt vmcnt(1)
	v_and_b32_e32 v10, v26, v28
	s_waitcnt vmcnt(0)
	v_mad_u64_u32 v[10:11], s[20:21], v10, 24, v[36:37]
	v_and_b32_e32 v7, v27, v29
	v_mov_b32_e32 v26, v11
	v_mad_u64_u32 v[26:27], s[20:21], v7, 24, v[26:27]
	v_mov_b32_e32 v11, v26
	global_load_dwordx2 v[26:27], v[10:11], off glc
	s_waitcnt vmcnt(0)
	global_atomic_cmpswap_x2 v[10:11], v31, v[26:29], s[12:13] offset:24 glc
	s_waitcnt vmcnt(0)
	buffer_invl2
	buffer_wbinvl1_vol
	v_cmp_eq_u64_e32 vcc, v[10:11], v[28:29]
	s_or_b64 s[18:19], vcc, s[18:19]
	s_andn2_b64 exec, exec, s[18:19]
	s_cbranch_execnz .LBB0_62
; %bb.63:                               ;   in Loop: Header=BB0_3 Depth=1
	s_or_b64 exec, exec, s[18:19]
.LBB0_64:                               ;   in Loop: Header=BB0_3 Depth=1
	s_or_b64 exec, exec, s[16:17]
.LBB0_65:                               ;   in Loop: Header=BB0_3 Depth=1
	s_or_b64 exec, exec, s[14:15]
	s_waitcnt lgkmcnt(0)
	global_load_dwordx2 v[36:37], v31, s[12:13] offset:40
	global_load_dwordx4 v[26:29], v31, s[12:13]
	v_readfirstlane_b32 s14, v10
	v_readfirstlane_b32 s15, v11
	s_mov_b64 s[16:17], exec
	s_waitcnt vmcnt(1)
	v_readfirstlane_b32 s18, v36
	v_readfirstlane_b32 s19, v37
	s_and_b64 s[18:19], s[14:15], s[18:19]
	s_mul_i32 s20, s19, 24
	s_mul_hi_u32 s21, s18, 24
	s_mul_i32 s24, s18, 24
	s_add_i32 s20, s21, s20
	v_mov_b32_e32 v7, s20
	s_waitcnt vmcnt(0)
	v_add_co_u32_e32 v36, vcc, s24, v26
	v_addc_co_u32_e32 v37, vcc, v27, v7, vcc
	s_and_saveexec_b64 s[20:21], s[4:5]
	s_cbranch_execz .LBB0_67
; %bb.66:                               ;   in Loop: Header=BB0_3 Depth=1
	v_pk_mov_b32 v[10:11], s[16:17], s[16:17] op_sel:[0,1]
	global_store_dwordx4 v[36:37], v[10:13], off offset:8
.LBB0_67:                               ;   in Loop: Header=BB0_3 Depth=1
	s_or_b64 exec, exec, s[20:21]
	s_lshl_b64 s[16:17], s[18:19], 12
	v_mov_b32_e32 v7, s17
	v_add_co_u32_e32 v10, vcc, s16, v28
	v_addc_co_u32_e32 v7, vcc, v29, v7, vcc
	v_or_b32_e32 v11, 0, v1
	v_cmp_lt_u64_e32 vcc, 56, v[4:5]
	v_or_b32_e32 v28, v0, v6
	v_cndmask_b32_e32 v1, v11, v1, vcc
	v_lshl_add_u32 v11, v34, 2, 28
	v_cndmask_b32_e32 v0, v28, v0, vcc
	v_and_b32_e32 v11, 0x1e0, v11
	v_and_or_b32 v0, v0, s23, v11
	v_lshlrev_b32_e32 v11, 6, v32
	v_readfirstlane_b32 s16, v10
	v_readfirstlane_b32 s17, v7
	s_nop 4
	global_store_dwordx4 v11, v[0:3], s[16:17]
	global_store_dwordx4 v11, v[14:17], s[16:17] offset:16
	global_store_dwordx4 v11, v[18:21], s[16:17] offset:32
	;; [unrolled: 1-line block ×3, first 2 shown]
	s_and_saveexec_b64 s[16:17], s[4:5]
	s_cbranch_execz .LBB0_75
; %bb.68:                               ;   in Loop: Header=BB0_3 Depth=1
	global_load_dwordx2 v[18:19], v31, s[12:13] offset:32 glc
	global_load_dwordx2 v[0:1], v31, s[12:13] offset:40
	v_mov_b32_e32 v16, s14
	v_mov_b32_e32 v17, s15
	s_waitcnt vmcnt(0)
	v_readfirstlane_b32 s18, v0
	v_readfirstlane_b32 s19, v1
	s_and_b64 s[18:19], s[18:19], s[14:15]
	s_mul_i32 s19, s19, 24
	s_mul_hi_u32 s20, s18, 24
	s_mul_i32 s18, s18, 24
	s_add_i32 s19, s20, s19
	v_mov_b32_e32 v0, s19
	v_add_co_u32_e32 v14, vcc, s18, v26
	v_addc_co_u32_e32 v15, vcc, v27, v0, vcc
	global_store_dwordx2 v[14:15], v[18:19], off
	buffer_wbl2
	s_waitcnt vmcnt(0)
	global_atomic_cmpswap_x2 v[2:3], v31, v[16:19], s[12:13] offset:32 glc
	s_waitcnt vmcnt(0)
	v_cmp_ne_u64_e32 vcc, v[2:3], v[18:19]
	s_and_saveexec_b64 s[18:19], vcc
	s_cbranch_execz .LBB0_71
; %bb.69:                               ;   in Loop: Header=BB0_3 Depth=1
	s_mov_b64 s[20:21], 0
.LBB0_70:                               ;   Parent Loop BB0_3 Depth=1
                                        ; =>  This Inner Loop Header: Depth=2
	s_sleep 1
	global_store_dwordx2 v[14:15], v[2:3], off
	v_mov_b32_e32 v0, s14
	v_mov_b32_e32 v1, s15
	buffer_wbl2
	s_waitcnt vmcnt(0)
	global_atomic_cmpswap_x2 v[0:1], v31, v[0:3], s[12:13] offset:32 glc
	s_waitcnt vmcnt(0)
	v_cmp_eq_u64_e32 vcc, v[0:1], v[2:3]
	s_or_b64 s[20:21], vcc, s[20:21]
	v_pk_mov_b32 v[2:3], v[0:1], v[0:1] op_sel:[0,1]
	s_andn2_b64 exec, exec, s[20:21]
	s_cbranch_execnz .LBB0_70
.LBB0_71:                               ;   in Loop: Header=BB0_3 Depth=1
	s_or_b64 exec, exec, s[18:19]
	global_load_dwordx2 v[0:1], v31, s[12:13] offset:16
	s_mov_b64 s[20:21], exec
	v_mbcnt_lo_u32_b32 v2, s20, 0
	v_mbcnt_hi_u32_b32 v2, s21, v2
	v_cmp_eq_u32_e32 vcc, 0, v2
	s_and_saveexec_b64 s[18:19], vcc
	s_cbranch_execz .LBB0_73
; %bb.72:                               ;   in Loop: Header=BB0_3 Depth=1
	s_bcnt1_i32_b64 s20, s[20:21]
	v_mov_b32_e32 v30, s20
	buffer_wbl2
	s_waitcnt vmcnt(0)
	global_atomic_add_x2 v[0:1], v[30:31], off offset:8
.LBB0_73:                               ;   in Loop: Header=BB0_3 Depth=1
	s_or_b64 exec, exec, s[18:19]
	s_waitcnt vmcnt(0)
	global_load_dwordx2 v[2:3], v[0:1], off offset:16
	s_waitcnt vmcnt(0)
	v_cmp_eq_u64_e32 vcc, 0, v[2:3]
	s_cbranch_vccnz .LBB0_75
; %bb.74:                               ;   in Loop: Header=BB0_3 Depth=1
	global_load_dword v30, v[0:1], off offset:24
	s_waitcnt vmcnt(0)
	v_and_b32_e32 v0, 0xffffff, v30
	v_readfirstlane_b32 m0, v0
	buffer_wbl2
	global_store_dwordx2 v[2:3], v[30:31], off
	s_sendmsg sendmsg(MSG_INTERRUPT)
.LBB0_75:                               ;   in Loop: Header=BB0_3 Depth=1
	s_or_b64 exec, exec, s[16:17]
	v_add_co_u32_e32 v0, vcc, v10, v11
	v_addc_co_u32_e32 v1, vcc, 0, v7, vcc
	s_branch .LBB0_79
.LBB0_76:                               ;   in Loop: Header=BB0_79 Depth=2
	s_or_b64 exec, exec, s[16:17]
	v_readfirstlane_b32 s16, v2
	s_cmp_eq_u32 s16, 0
	s_cbranch_scc1 .LBB0_78
; %bb.77:                               ;   in Loop: Header=BB0_79 Depth=2
	s_sleep 1
	s_cbranch_execnz .LBB0_79
	s_branch .LBB0_81
.LBB0_78:                               ;   in Loop: Header=BB0_3 Depth=1
	s_branch .LBB0_81
.LBB0_79:                               ;   Parent Loop BB0_3 Depth=1
                                        ; =>  This Inner Loop Header: Depth=2
	v_mov_b32_e32 v2, 1
	s_and_saveexec_b64 s[16:17], s[4:5]
	s_cbranch_execz .LBB0_76
; %bb.80:                               ;   in Loop: Header=BB0_79 Depth=2
	global_load_dword v2, v[36:37], off offset:20 glc
	s_waitcnt vmcnt(0)
	buffer_invl2
	buffer_wbinvl1_vol
	v_and_b32_e32 v2, 1, v2
	s_branch .LBB0_76
.LBB0_81:                               ;   in Loop: Header=BB0_3 Depth=1
	global_load_dwordx4 v[0:3], v[0:1], off
	s_and_saveexec_b64 s[16:17], s[4:5]
	s_cbranch_execz .LBB0_2
; %bb.82:                               ;   in Loop: Header=BB0_3 Depth=1
	global_load_dwordx2 v[2:3], v31, s[12:13] offset:40
	global_load_dwordx2 v[10:11], v31, s[12:13] offset:24 glc
	global_load_dwordx2 v[18:19], v31, s[12:13]
	v_mov_b32_e32 v7, s15
	s_waitcnt vmcnt(2)
	v_add_co_u32_e32 v17, vcc, 1, v2
	v_addc_co_u32_e32 v20, vcc, 0, v3, vcc
	v_add_co_u32_e32 v14, vcc, s14, v17
	v_addc_co_u32_e32 v15, vcc, v20, v7, vcc
	v_cmp_eq_u64_e32 vcc, 0, v[14:15]
	v_cndmask_b32_e32 v15, v15, v20, vcc
	v_cndmask_b32_e32 v14, v14, v17, vcc
	v_and_b32_e32 v3, v15, v3
	v_and_b32_e32 v2, v14, v2
	v_mul_lo_u32 v3, v3, 24
	v_mul_hi_u32 v7, v2, 24
	v_mul_lo_u32 v2, v2, 24
	v_add_u32_e32 v3, v7, v3
	s_waitcnt vmcnt(0)
	v_add_co_u32_e32 v2, vcc, v18, v2
	v_addc_co_u32_e32 v3, vcc, v19, v3, vcc
	v_mov_b32_e32 v16, v10
	global_store_dwordx2 v[2:3], v[10:11], off
	v_mov_b32_e32 v17, v11
	buffer_wbl2
	s_waitcnt vmcnt(0)
	global_atomic_cmpswap_x2 v[16:17], v31, v[14:17], s[12:13] offset:24 glc
	s_waitcnt vmcnt(0)
	v_cmp_ne_u64_e32 vcc, v[16:17], v[10:11]
	s_and_b64 exec, exec, vcc
	s_cbranch_execz .LBB0_2
; %bb.83:                               ;   in Loop: Header=BB0_3 Depth=1
	s_mov_b64 s[4:5], 0
.LBB0_84:                               ;   Parent Loop BB0_3 Depth=1
                                        ; =>  This Inner Loop Header: Depth=2
	s_sleep 1
	global_store_dwordx2 v[2:3], v[16:17], off
	buffer_wbl2
	s_waitcnt vmcnt(0)
	global_atomic_cmpswap_x2 v[10:11], v31, v[14:17], s[12:13] offset:24 glc
	s_waitcnt vmcnt(0)
	v_cmp_eq_u64_e32 vcc, v[10:11], v[16:17]
	s_or_b64 s[4:5], vcc, s[4:5]
	v_pk_mov_b32 v[16:17], v[10:11], v[10:11] op_sel:[0,1]
	s_andn2_b64 exec, exec, s[4:5]
	s_cbranch_execnz .LBB0_84
	s_branch .LBB0_2
.LBB0_85:
	s_or_b64 exec, exec, s[6:7]
                                        ; implicit-def: $vgpr0
                                        ; implicit-def: $vgpr1
                                        ; implicit-def: $vgpr2
.LBB0_86:
	s_andn2_saveexec_b64 s[6:7], s[10:11]
	s_cbranch_execz .LBB0_109
; %bb.87:
	s_load_dwordx2 s[8:9], s[8:9], 0x50
	s_waitcnt vmcnt(0)
	v_mbcnt_hi_u32_b32 v3, -1, v2
	v_readfirstlane_b32 s4, v3
	v_cmp_eq_u32_e64 s[4:5], s4, v3
	v_pk_mov_b32 v[8:9], 0, 0
	s_and_saveexec_b64 s[10:11], s[4:5]
	s_cbranch_execz .LBB0_93
; %bb.88:
	v_mov_b32_e32 v2, 0
	s_waitcnt lgkmcnt(0)
	global_load_dwordx2 v[6:7], v2, s[8:9] offset:24 glc
	s_waitcnt vmcnt(0)
	buffer_invl2
	buffer_wbinvl1_vol
	global_load_dwordx2 v[4:5], v2, s[8:9] offset:40
	global_load_dwordx2 v[8:9], v2, s[8:9]
	s_waitcnt vmcnt(1)
	v_and_b32_e32 v4, v4, v6
	v_and_b32_e32 v5, v5, v7
	v_mul_lo_u32 v5, v5, 24
	v_mul_hi_u32 v10, v4, 24
	v_mul_lo_u32 v4, v4, 24
	v_add_u32_e32 v5, v10, v5
	s_waitcnt vmcnt(0)
	v_add_co_u32_e32 v4, vcc, v8, v4
	v_addc_co_u32_e32 v5, vcc, v9, v5, vcc
	global_load_dwordx2 v[4:5], v[4:5], off glc
	s_waitcnt vmcnt(0)
	global_atomic_cmpswap_x2 v[8:9], v2, v[4:7], s[8:9] offset:24 glc
	s_waitcnt vmcnt(0)
	buffer_invl2
	buffer_wbinvl1_vol
	v_cmp_ne_u64_e32 vcc, v[8:9], v[6:7]
	s_and_saveexec_b64 s[12:13], vcc
	s_cbranch_execz .LBB0_92
; %bb.89:
	s_mov_b64 s[14:15], 0
.LBB0_90:                               ; =>This Inner Loop Header: Depth=1
	s_sleep 1
	global_load_dwordx2 v[4:5], v2, s[8:9] offset:40
	global_load_dwordx2 v[10:11], v2, s[8:9]
	v_pk_mov_b32 v[6:7], v[8:9], v[8:9] op_sel:[0,1]
	s_waitcnt vmcnt(1)
	v_and_b32_e32 v4, v4, v6
	v_and_b32_e32 v9, v5, v7
	s_waitcnt vmcnt(0)
	v_mad_u64_u32 v[4:5], s[16:17], v4, 24, v[10:11]
	v_mov_b32_e32 v8, v5
	v_mad_u64_u32 v[8:9], s[16:17], v9, 24, v[8:9]
	v_mov_b32_e32 v5, v8
	global_load_dwordx2 v[4:5], v[4:5], off glc
	s_waitcnt vmcnt(0)
	global_atomic_cmpswap_x2 v[8:9], v2, v[4:7], s[8:9] offset:24 glc
	s_waitcnt vmcnt(0)
	buffer_invl2
	buffer_wbinvl1_vol
	v_cmp_eq_u64_e32 vcc, v[8:9], v[6:7]
	s_or_b64 s[14:15], vcc, s[14:15]
	s_andn2_b64 exec, exec, s[14:15]
	s_cbranch_execnz .LBB0_90
; %bb.91:
	s_or_b64 exec, exec, s[14:15]
.LBB0_92:
	s_or_b64 exec, exec, s[12:13]
.LBB0_93:
	s_or_b64 exec, exec, s[10:11]
	v_mov_b32_e32 v2, 0
	s_waitcnt lgkmcnt(0)
	global_load_dwordx2 v[10:11], v2, s[8:9] offset:40
	global_load_dwordx4 v[4:7], v2, s[8:9]
	v_readfirstlane_b32 s10, v8
	v_readfirstlane_b32 s11, v9
	s_mov_b64 s[12:13], exec
	s_waitcnt vmcnt(1)
	v_readfirstlane_b32 s14, v10
	v_readfirstlane_b32 s15, v11
	s_and_b64 s[14:15], s[10:11], s[14:15]
	s_mul_i32 s16, s15, 24
	s_mul_hi_u32 s17, s14, 24
	s_mul_i32 s18, s14, 24
	s_add_i32 s16, s17, s16
	v_mov_b32_e32 v9, s16
	s_waitcnt vmcnt(0)
	v_add_co_u32_e32 v8, vcc, s18, v4
	v_addc_co_u32_e32 v9, vcc, v5, v9, vcc
	s_and_saveexec_b64 s[16:17], s[4:5]
	s_cbranch_execz .LBB0_95
; %bb.94:
	v_pk_mov_b32 v[10:11], s[12:13], s[12:13] op_sel:[0,1]
	v_mov_b32_e32 v12, 2
	v_mov_b32_e32 v13, 1
	global_store_dwordx4 v[8:9], v[10:13], off offset:8
.LBB0_95:
	s_or_b64 exec, exec, s[16:17]
	s_lshl_b64 s[12:13], s[14:15], 12
	v_mov_b32_e32 v10, s13
	v_add_co_u32_e32 v6, vcc, s12, v6
	s_movk_i32 s12, 0xff1f
	v_addc_co_u32_e32 v7, vcc, v7, v10, vcc
	v_and_or_b32 v0, v0, s12, 32
	s_mov_b32 s12, 0
	v_lshlrev_b32_e32 v10, 6, v3
	v_mov_b32_e32 v3, v2
	v_readfirstlane_b32 s16, v6
	v_readfirstlane_b32 s17, v7
	s_mov_b32 s13, s12
	s_mov_b32 s14, s12
	;; [unrolled: 1-line block ×3, first 2 shown]
	s_nop 1
	global_store_dwordx4 v10, v[0:3], s[16:17]
	s_nop 0
	v_pk_mov_b32 v[0:1], s[12:13], s[12:13] op_sel:[0,1]
	v_pk_mov_b32 v[2:3], s[14:15], s[14:15] op_sel:[0,1]
	global_store_dwordx4 v10, v[0:3], s[16:17] offset:16
	global_store_dwordx4 v10, v[0:3], s[16:17] offset:32
	;; [unrolled: 1-line block ×3, first 2 shown]
	s_and_saveexec_b64 s[12:13], s[4:5]
	s_cbranch_execz .LBB0_103
; %bb.96:
	v_mov_b32_e32 v6, 0
	global_load_dwordx2 v[12:13], v6, s[8:9] offset:32 glc
	global_load_dwordx2 v[0:1], v6, s[8:9] offset:40
	v_mov_b32_e32 v10, s10
	v_mov_b32_e32 v11, s11
	s_waitcnt vmcnt(0)
	v_and_b32_e32 v0, s10, v0
	v_and_b32_e32 v1, s11, v1
	v_mul_lo_u32 v1, v1, 24
	v_mul_hi_u32 v2, v0, 24
	v_mul_lo_u32 v0, v0, 24
	v_add_u32_e32 v1, v2, v1
	v_add_co_u32_e32 v4, vcc, v4, v0
	v_addc_co_u32_e32 v5, vcc, v5, v1, vcc
	global_store_dwordx2 v[4:5], v[12:13], off
	buffer_wbl2
	s_waitcnt vmcnt(0)
	global_atomic_cmpswap_x2 v[2:3], v6, v[10:13], s[8:9] offset:32 glc
	s_waitcnt vmcnt(0)
	v_cmp_ne_u64_e32 vcc, v[2:3], v[12:13]
	s_and_saveexec_b64 s[14:15], vcc
	s_cbranch_execz .LBB0_99
; %bb.97:
	s_mov_b64 s[16:17], 0
.LBB0_98:                               ; =>This Inner Loop Header: Depth=1
	s_sleep 1
	global_store_dwordx2 v[4:5], v[2:3], off
	v_mov_b32_e32 v0, s10
	v_mov_b32_e32 v1, s11
	buffer_wbl2
	s_waitcnt vmcnt(0)
	global_atomic_cmpswap_x2 v[0:1], v6, v[0:3], s[8:9] offset:32 glc
	s_waitcnt vmcnt(0)
	v_cmp_eq_u64_e32 vcc, v[0:1], v[2:3]
	s_or_b64 s[16:17], vcc, s[16:17]
	v_pk_mov_b32 v[2:3], v[0:1], v[0:1] op_sel:[0,1]
	s_andn2_b64 exec, exec, s[16:17]
	s_cbranch_execnz .LBB0_98
.LBB0_99:
	s_or_b64 exec, exec, s[14:15]
	v_mov_b32_e32 v3, 0
	global_load_dwordx2 v[0:1], v3, s[8:9] offset:16
	s_mov_b64 s[14:15], exec
	v_mbcnt_lo_u32_b32 v2, s14, 0
	v_mbcnt_hi_u32_b32 v2, s15, v2
	v_cmp_eq_u32_e32 vcc, 0, v2
	s_and_saveexec_b64 s[16:17], vcc
	s_cbranch_execz .LBB0_101
; %bb.100:
	s_bcnt1_i32_b64 s14, s[14:15]
	v_mov_b32_e32 v2, s14
	buffer_wbl2
	s_waitcnt vmcnt(0)
	global_atomic_add_x2 v[0:1], v[2:3], off offset:8
.LBB0_101:
	s_or_b64 exec, exec, s[16:17]
	s_waitcnt vmcnt(0)
	global_load_dwordx2 v[2:3], v[0:1], off offset:16
	s_waitcnt vmcnt(0)
	v_cmp_eq_u64_e32 vcc, 0, v[2:3]
	s_cbranch_vccnz .LBB0_103
; %bb.102:
	global_load_dword v0, v[0:1], off offset:24
	v_mov_b32_e32 v1, 0
	buffer_wbl2
	s_waitcnt vmcnt(0)
	global_store_dwordx2 v[2:3], v[0:1], off
	v_and_b32_e32 v0, 0xffffff, v0
	v_readfirstlane_b32 m0, v0
	s_sendmsg sendmsg(MSG_INTERRUPT)
.LBB0_103:
	s_or_b64 exec, exec, s[12:13]
	s_branch .LBB0_107
.LBB0_104:                              ;   in Loop: Header=BB0_107 Depth=1
	s_or_b64 exec, exec, s[12:13]
	v_readfirstlane_b32 s12, v0
	s_cmp_eq_u32 s12, 0
	s_cbranch_scc1 .LBB0_106
; %bb.105:                              ;   in Loop: Header=BB0_107 Depth=1
	s_sleep 1
	s_cbranch_execnz .LBB0_107
	s_branch .LBB0_110
.LBB0_106:
	s_branch .LBB0_110
.LBB0_107:                              ; =>This Inner Loop Header: Depth=1
	v_mov_b32_e32 v0, 1
	s_and_saveexec_b64 s[12:13], s[4:5]
	s_cbranch_execz .LBB0_104
; %bb.108:                              ;   in Loop: Header=BB0_107 Depth=1
	global_load_dword v0, v[8:9], off offset:20 glc
	s_waitcnt vmcnt(0)
	buffer_invl2
	buffer_wbinvl1_vol
	v_and_b32_e32 v0, 1, v0
	s_branch .LBB0_104
.LBB0_109:
	s_or_b64 exec, exec, s[6:7]
	s_waitcnt vmcnt(0) lgkmcnt(0)
	s_setpc_b64 s[30:31]
.LBB0_110:
	s_and_saveexec_b64 s[12:13], s[4:5]
	s_cbranch_execz .LBB0_113
; %bb.111:
	v_mov_b32_e32 v6, 0
	global_load_dwordx2 v[4:5], v6, s[8:9] offset:40
	global_load_dwordx2 v[8:9], v6, s[8:9] offset:24 glc
	global_load_dwordx2 v[10:11], v6, s[8:9]
	v_mov_b32_e32 v1, s11
	s_mov_b64 s[4:5], 0
	s_waitcnt vmcnt(2)
	v_add_co_u32_e32 v3, vcc, 1, v4
	v_addc_co_u32_e32 v7, vcc, 0, v5, vcc
	v_add_co_u32_e32 v0, vcc, s10, v3
	v_addc_co_u32_e32 v1, vcc, v7, v1, vcc
	v_cmp_eq_u64_e32 vcc, 0, v[0:1]
	v_cndmask_b32_e32 v1, v1, v7, vcc
	v_cndmask_b32_e32 v0, v0, v3, vcc
	v_and_b32_e32 v3, v1, v5
	v_and_b32_e32 v4, v0, v4
	v_mul_lo_u32 v3, v3, 24
	v_mul_hi_u32 v5, v4, 24
	v_mul_lo_u32 v4, v4, 24
	v_add_u32_e32 v3, v5, v3
	s_waitcnt vmcnt(0)
	v_add_co_u32_e32 v4, vcc, v10, v4
	v_addc_co_u32_e32 v5, vcc, v11, v3, vcc
	v_mov_b32_e32 v2, v8
	global_store_dwordx2 v[4:5], v[8:9], off
	v_mov_b32_e32 v3, v9
	buffer_wbl2
	s_waitcnt vmcnt(0)
	global_atomic_cmpswap_x2 v[2:3], v6, v[0:3], s[8:9] offset:24 glc
	s_waitcnt vmcnt(0)
	v_cmp_ne_u64_e32 vcc, v[2:3], v[8:9]
	s_and_b64 exec, exec, vcc
	s_cbranch_execz .LBB0_113
.LBB0_112:                              ; =>This Inner Loop Header: Depth=1
	s_sleep 1
	global_store_dwordx2 v[4:5], v[2:3], off
	buffer_wbl2
	s_waitcnt vmcnt(0)
	global_atomic_cmpswap_x2 v[8:9], v6, v[0:3], s[8:9] offset:24 glc
	s_waitcnt vmcnt(0)
	v_cmp_eq_u64_e32 vcc, v[8:9], v[2:3]
	s_or_b64 s[4:5], vcc, s[4:5]
	v_pk_mov_b32 v[2:3], v[8:9], v[8:9] op_sel:[0,1]
	s_andn2_b64 exec, exec, s[4:5]
	s_cbranch_execnz .LBB0_112
.LBB0_113:
	s_or_b64 exec, exec, s[12:13]
	s_or_b64 exec, exec, s[6:7]
	s_waitcnt vmcnt(0) lgkmcnt(0)
	s_setpc_b64 s[30:31]
.Lfunc_end0:
	.size	__ockl_fprintf_append_string_n, .Lfunc_end0-__ockl_fprintf_append_string_n
                                        ; -- End function
	.section	.AMDGPU.csdata,"",@progbits
; Function info:
; codeLenInByte = 4372
; NumSgprs: 36
; NumVgprs: 38
; NumAgprs: 0
; TotalNumVgprs: 38
; ScratchSize: 0
; MemoryBound: 0
	.text
	.p2align	2                               ; -- Begin function __assert_fail
	.type	__assert_fail,@function
__assert_fail:                          ; @__assert_fail
; %bb.0:
	s_waitcnt vmcnt(0) expcnt(0) lgkmcnt(0)
	s_mov_b32 s25, s33
	s_mov_b32 s33, s32
	s_or_saveexec_b64 s[4:5], -1
	buffer_store_dword v40, off, s[0:3], s33 offset:48 ; 4-byte Folded Spill
	s_mov_b64 exec, s[4:5]
	v_writelane_b32 v40, s30, 0
	s_addk_i32 s32, 0x1000
	v_writelane_b32 v40, s31, 1
	s_getpc_b64 s[4:5]
	s_add_u32 s4, s4, __const.__assert_fail.fmt@rel32@lo+4
	s_addc_u32 s5, s5, __const.__assert_fail.fmt@rel32@hi+12
	s_load_dwordx4 s[4:7], s[4:5], 0x0
	v_mov_b32_e32 v4, v0
	v_mov_b32_e32 v0, 0xa2e
	buffer_store_short v0, off, s[0:3], s33 offset:44
	v_mov_b32_e32 v0, 0x64656c69
	buffer_store_dword v0, off, s[0:3], s33 offset:40
	v_mov_b32_e32 v0, 0x61662027
	s_getpc_b64 s[10:11]
	s_add_u32 s10, s10, __const.__assert_fail.fmt@rel32@lo+20
	s_addc_u32 s11, s11, __const.__assert_fail.fmt@rel32@hi+28
	buffer_store_dword v0, off, s[0:3], s33 offset:36
	v_mov_b32_e32 v0, 0x73256020
	s_load_dwordx4 s[12:15], s[10:11], 0x0
	buffer_store_dword v0, off, s[0:3], s33 offset:32
	s_waitcnt lgkmcnt(0)
	v_mov_b32_e32 v0, s7
	buffer_store_dword v0, off, s[0:3], s33 offset:12
	v_mov_b32_e32 v0, s6
	buffer_store_dword v0, off, s[0:3], s33 offset:8
	v_mov_b32_e32 v0, s5
	buffer_store_dword v0, off, s[0:3], s33 offset:4
	v_mov_b32_e32 v0, s4
	buffer_store_dword v0, off, s[0:3], s33
	v_mov_b32_e32 v0, s15
	buffer_store_dword v0, off, s[0:3], s33 offset:28
	v_mov_b32_e32 v0, s14
	buffer_store_dword v0, off, s[0:3], s33 offset:24
	;; [unrolled: 2-line block ×3, first 2 shown]
	v_mov_b32_e32 v0, s12
	s_load_dwordx2 s[10:11], s[8:9], 0x50
	buffer_store_dword v0, off, s[0:3], s33 offset:16
	v_mbcnt_lo_u32_b32 v0, -1, 0
	v_mbcnt_hi_u32_b32 v37, -1, v0
	v_readfirstlane_b32 s4, v37
	v_mov_b32_e32 v5, v1
	v_mov_b32_e32 v8, 0
	v_cmp_eq_u32_e64 s[4:5], s4, v37
	v_pk_mov_b32 v[6:7], 0, 0
	buffer_store_byte v8, off, s[0:3], s33 offset:46
	s_and_saveexec_b64 s[6:7], s[4:5]
	s_cbranch_execz .LBB1_6
; %bb.1:
	s_waitcnt lgkmcnt(0)
	global_load_dwordx2 v[2:3], v8, s[10:11] offset:24 glc
	s_waitcnt vmcnt(0)
	buffer_invl2
	buffer_wbinvl1_vol
	global_load_dwordx2 v[0:1], v8, s[10:11] offset:40
	global_load_dwordx2 v[6:7], v8, s[10:11]
	s_waitcnt vmcnt(1)
	v_and_b32_e32 v0, v0, v2
	v_and_b32_e32 v1, v1, v3
	v_mul_lo_u32 v1, v1, 24
	v_mul_hi_u32 v9, v0, 24
	v_mul_lo_u32 v0, v0, 24
	v_add_u32_e32 v1, v9, v1
	s_waitcnt vmcnt(0)
	v_add_co_u32_e32 v0, vcc, v6, v0
	v_addc_co_u32_e32 v1, vcc, v7, v1, vcc
	global_load_dwordx2 v[0:1], v[0:1], off glc
	s_waitcnt vmcnt(0)
	global_atomic_cmpswap_x2 v[6:7], v8, v[0:3], s[10:11] offset:24 glc
	s_waitcnt vmcnt(0)
	buffer_invl2
	buffer_wbinvl1_vol
	v_cmp_ne_u64_e32 vcc, v[6:7], v[2:3]
	s_and_saveexec_b64 s[12:13], vcc
	s_cbranch_execz .LBB1_5
; %bb.2:
	s_mov_b64 s[14:15], 0
.LBB1_3:                                ; =>This Inner Loop Header: Depth=1
	s_sleep 1
	global_load_dwordx2 v[0:1], v8, s[10:11] offset:40
	global_load_dwordx2 v[10:11], v8, s[10:11]
	v_pk_mov_b32 v[2:3], v[6:7], v[6:7] op_sel:[0,1]
	s_waitcnt vmcnt(1)
	v_and_b32_e32 v0, v0, v2
	v_and_b32_e32 v7, v1, v3
	s_waitcnt vmcnt(0)
	v_mad_u64_u32 v[0:1], s[16:17], v0, 24, v[10:11]
	v_mov_b32_e32 v6, v1
	v_mad_u64_u32 v[6:7], s[16:17], v7, 24, v[6:7]
	v_mov_b32_e32 v1, v6
	global_load_dwordx2 v[0:1], v[0:1], off glc
	s_waitcnt vmcnt(0)
	global_atomic_cmpswap_x2 v[6:7], v8, v[0:3], s[10:11] offset:24 glc
	s_waitcnt vmcnt(0)
	buffer_invl2
	buffer_wbinvl1_vol
	v_cmp_eq_u64_e32 vcc, v[6:7], v[2:3]
	s_or_b64 s[14:15], vcc, s[14:15]
	s_andn2_b64 exec, exec, s[14:15]
	s_cbranch_execnz .LBB1_3
; %bb.4:
	s_or_b64 exec, exec, s[14:15]
.LBB1_5:
	s_or_b64 exec, exec, s[12:13]
.LBB1_6:
	s_or_b64 exec, exec, s[6:7]
	s_waitcnt lgkmcnt(0)
	global_load_dwordx2 v[10:11], v8, s[10:11] offset:40
	global_load_dwordx4 v[0:3], v8, s[10:11]
	v_readfirstlane_b32 s6, v6
	v_readfirstlane_b32 s7, v7
	s_mov_b64 s[12:13], exec
	s_waitcnt vmcnt(1)
	v_readfirstlane_b32 s14, v10
	v_readfirstlane_b32 s15, v11
	s_and_b64 s[14:15], s[6:7], s[14:15]
	s_mul_i32 s16, s15, 24
	s_mul_hi_u32 s17, s14, 24
	s_mul_i32 s18, s14, 24
	s_add_i32 s16, s17, s16
	v_mov_b32_e32 v6, s16
	s_waitcnt vmcnt(0)
	v_add_co_u32_e32 v10, vcc, s18, v0
	v_addc_co_u32_e32 v11, vcc, v1, v6, vcc
	s_and_saveexec_b64 s[16:17], s[4:5]
	s_cbranch_execz .LBB1_8
; %bb.7:
	v_pk_mov_b32 v[6:7], s[12:13], s[12:13] op_sel:[0,1]
	v_mov_b32_e32 v8, 2
	v_mov_b32_e32 v9, 1
	global_store_dwordx4 v[10:11], v[6:9], off offset:8
.LBB1_8:
	s_or_b64 exec, exec, s[16:17]
	s_lshl_b64 s[12:13], s[14:15], 12
	v_mov_b32_e32 v6, s13
	v_add_co_u32_e32 v2, vcc, s12, v2
	s_mov_b32 s12, 0
	v_addc_co_u32_e32 v3, vcc, v3, v6, vcc
	v_lshlrev_b32_e32 v36, 6, v37
	s_mov_b32 s14, s12
	s_mov_b32 s15, s12
	v_mov_b32_e32 v7, 0
	v_add_co_u32_e32 v12, vcc, v2, v36
	s_mov_b32 s13, s12
	v_pk_mov_b32 v[16:17], s[14:15], s[14:15] op_sel:[0,1]
	v_addc_co_u32_e32 v13, vcc, 0, v3, vcc
	v_mov_b32_e32 v6, 33
	v_mov_b32_e32 v8, 1
	;; [unrolled: 1-line block ×3, first 2 shown]
	v_readfirstlane_b32 s16, v2
	v_readfirstlane_b32 s17, v3
	v_pk_mov_b32 v[14:15], s[12:13], s[12:13] op_sel:[0,1]
	s_nop 3
	global_store_dwordx4 v36, v[6:9], s[16:17]
	global_store_dwordx4 v36, v[14:17], s[16:17] offset:16
	global_store_dwordx4 v36, v[14:17], s[16:17] offset:32
	global_store_dwordx4 v36, v[14:17], s[16:17] offset:48
	s_and_saveexec_b64 s[12:13], s[4:5]
	s_cbranch_execz .LBB1_16
; %bb.9:
	global_load_dwordx2 v[16:17], v7, s[10:11] offset:32 glc
	global_load_dwordx2 v[2:3], v7, s[10:11] offset:40
	v_mov_b32_e32 v14, s6
	v_mov_b32_e32 v15, s7
	s_waitcnt vmcnt(0)
	v_and_b32_e32 v2, s6, v2
	v_and_b32_e32 v3, s7, v3
	v_mul_lo_u32 v3, v3, 24
	v_mul_hi_u32 v6, v2, 24
	v_mul_lo_u32 v2, v2, 24
	v_add_u32_e32 v3, v6, v3
	v_add_co_u32_e32 v8, vcc, v0, v2
	v_addc_co_u32_e32 v9, vcc, v1, v3, vcc
	global_store_dwordx2 v[8:9], v[16:17], off
	buffer_wbl2
	s_waitcnt vmcnt(0)
	global_atomic_cmpswap_x2 v[2:3], v7, v[14:17], s[10:11] offset:32 glc
	s_waitcnt vmcnt(0)
	v_cmp_ne_u64_e32 vcc, v[2:3], v[16:17]
	s_and_saveexec_b64 s[14:15], vcc
	s_cbranch_execz .LBB1_12
; %bb.10:
	s_mov_b64 s[16:17], 0
.LBB1_11:                               ; =>This Inner Loop Header: Depth=1
	s_sleep 1
	global_store_dwordx2 v[8:9], v[2:3], off
	v_mov_b32_e32 v0, s6
	v_mov_b32_e32 v1, s7
	buffer_wbl2
	s_waitcnt vmcnt(0)
	global_atomic_cmpswap_x2 v[0:1], v7, v[0:3], s[10:11] offset:32 glc
	s_waitcnt vmcnt(0)
	v_cmp_eq_u64_e32 vcc, v[0:1], v[2:3]
	s_or_b64 s[16:17], vcc, s[16:17]
	v_pk_mov_b32 v[2:3], v[0:1], v[0:1] op_sel:[0,1]
	s_andn2_b64 exec, exec, s[16:17]
	s_cbranch_execnz .LBB1_11
.LBB1_12:
	s_or_b64 exec, exec, s[14:15]
	v_mov_b32_e32 v3, 0
	global_load_dwordx2 v[0:1], v3, s[10:11] offset:16
	s_mov_b64 s[14:15], exec
	v_mbcnt_lo_u32_b32 v2, s14, 0
	v_mbcnt_hi_u32_b32 v2, s15, v2
	v_cmp_eq_u32_e32 vcc, 0, v2
	s_and_saveexec_b64 s[16:17], vcc
	s_cbranch_execz .LBB1_14
; %bb.13:
	s_bcnt1_i32_b64 s14, s[14:15]
	v_mov_b32_e32 v2, s14
	buffer_wbl2
	s_waitcnt vmcnt(0)
	global_atomic_add_x2 v[0:1], v[2:3], off offset:8
.LBB1_14:
	s_or_b64 exec, exec, s[16:17]
	s_waitcnt vmcnt(0)
	global_load_dwordx2 v[2:3], v[0:1], off offset:16
	s_waitcnt vmcnt(0)
	v_cmp_eq_u64_e32 vcc, 0, v[2:3]
	s_cbranch_vccnz .LBB1_16
; %bb.15:
	global_load_dword v0, v[0:1], off offset:24
	v_mov_b32_e32 v1, 0
	buffer_wbl2
	s_waitcnt vmcnt(0)
	global_store_dwordx2 v[2:3], v[0:1], off
	v_and_b32_e32 v0, 0xffffff, v0
	v_readfirstlane_b32 m0, v0
	s_sendmsg sendmsg(MSG_INTERRUPT)
.LBB1_16:
	s_or_b64 exec, exec, s[12:13]
	s_branch .LBB1_20
.LBB1_17:                               ;   in Loop: Header=BB1_20 Depth=1
	s_or_b64 exec, exec, s[12:13]
	v_readfirstlane_b32 s12, v0
	s_cmp_eq_u32 s12, 0
	s_cbranch_scc1 .LBB1_19
; %bb.18:                               ;   in Loop: Header=BB1_20 Depth=1
	s_sleep 1
	s_cbranch_execnz .LBB1_20
	s_branch .LBB1_22
.LBB1_19:
	s_branch .LBB1_22
.LBB1_20:                               ; =>This Inner Loop Header: Depth=1
	v_mov_b32_e32 v0, 1
	s_and_saveexec_b64 s[12:13], s[4:5]
	s_cbranch_execz .LBB1_17
; %bb.21:                               ;   in Loop: Header=BB1_20 Depth=1
	global_load_dword v0, v[10:11], off offset:20 glc
	s_waitcnt vmcnt(0)
	buffer_invl2
	buffer_wbinvl1_vol
	v_and_b32_e32 v0, 1, v0
	s_branch .LBB1_17
.LBB1_22:
	global_load_dwordx2 v[6:7], v[12:13], off
	s_and_saveexec_b64 s[12:13], s[4:5]
	s_cbranch_execz .LBB1_25
; %bb.23:
	v_mov_b32_e32 v10, 0
	global_load_dwordx2 v[8:9], v10, s[10:11] offset:40
	global_load_dwordx2 v[12:13], v10, s[10:11] offset:24 glc
	global_load_dwordx2 v[14:15], v10, s[10:11]
	v_mov_b32_e32 v1, s7
	s_mov_b64 s[4:5], 0
	s_waitcnt vmcnt(2)
	v_add_co_u32_e32 v3, vcc, 1, v8
	v_addc_co_u32_e32 v11, vcc, 0, v9, vcc
	v_add_co_u32_e32 v0, vcc, s6, v3
	v_addc_co_u32_e32 v1, vcc, v11, v1, vcc
	v_cmp_eq_u64_e32 vcc, 0, v[0:1]
	v_cndmask_b32_e32 v1, v1, v11, vcc
	v_cndmask_b32_e32 v0, v0, v3, vcc
	v_and_b32_e32 v3, v1, v9
	v_and_b32_e32 v8, v0, v8
	v_mul_lo_u32 v3, v3, 24
	v_mul_hi_u32 v9, v8, 24
	v_mul_lo_u32 v8, v8, 24
	v_add_u32_e32 v3, v9, v3
	s_waitcnt vmcnt(0)
	v_add_co_u32_e32 v8, vcc, v14, v8
	v_addc_co_u32_e32 v9, vcc, v15, v3, vcc
	v_mov_b32_e32 v2, v12
	global_store_dwordx2 v[8:9], v[12:13], off
	v_mov_b32_e32 v3, v13
	buffer_wbl2
	s_waitcnt vmcnt(0)
	global_atomic_cmpswap_x2 v[2:3], v10, v[0:3], s[10:11] offset:24 glc
	s_waitcnt vmcnt(0)
	v_cmp_ne_u64_e32 vcc, v[2:3], v[12:13]
	s_and_b64 exec, exec, vcc
	s_cbranch_execz .LBB1_25
.LBB1_24:                               ; =>This Inner Loop Header: Depth=1
	s_sleep 1
	global_store_dwordx2 v[8:9], v[2:3], off
	buffer_wbl2
	s_waitcnt vmcnt(0)
	global_atomic_cmpswap_x2 v[12:13], v10, v[0:3], s[10:11] offset:24 glc
	s_waitcnt vmcnt(0)
	v_cmp_eq_u64_e32 vcc, v[12:13], v[2:3]
	s_or_b64 s[4:5], vcc, s[4:5]
	v_pk_mov_b32 v[2:3], v[12:13], v[12:13] op_sel:[0,1]
	s_andn2_b64 exec, exec, s[4:5]
	s_cbranch_execnz .LBB1_24
.LBB1_25:
	s_or_b64 exec, exec, s[12:13]
	v_lshrrev_b32_e64 v1, 6, s33
	s_mov_b64 s[4:5], 0
.LBB1_26:                               ; =>This Inner Loop Header: Depth=1
	buffer_load_ubyte v2, v1, s[0:3], 0 offen
	v_add_u32_e32 v0, 1, v1
	v_mov_b32_e32 v1, v0
	s_waitcnt vmcnt(0)
	v_cmp_eq_u16_e32 vcc, 0, v2
	s_or_b64 s[4:5], vcc, s[4:5]
	s_andn2_b64 exec, exec, s[4:5]
	s_cbranch_execnz .LBB1_26
; %bb.27:
	s_or_b64 exec, exec, s[4:5]
	v_lshrrev_b32_e64 v31, 6, s33
	v_cmp_ne_u32_e32 vcc, -1, v31
	s_cbranch_vccz .LBB1_112
; %bb.28:
	v_lshrrev_b32_e64 v1, 6, s33
	v_subrev_u32_e32 v28, v1, v0
	v_ashrrev_i32_e32 v29, 31, v28
	v_and_b32_e32 v30, 2, v6
	v_mov_b32_e32 v33, 0
	v_and_b32_e32 v0, -3, v6
	v_mov_b32_e32 v1, v7
	s_mov_b64 s[12:13], 0
	s_mov_b32 s20, 0
	s_movk_i32 s21, 0xff1f
	v_mov_b32_e32 v10, 2
	v_mov_b32_e32 v11, 1
	s_branch .LBB1_30
.LBB1_29:                               ;   in Loop: Header=BB1_30 Depth=1
	s_or_b64 exec, exec, s[6:7]
	v_sub_co_u32_e32 v28, vcc, v28, v38
	v_subb_co_u32_e32 v29, vcc, v29, v39, vcc
	v_cmp_eq_u64_e32 vcc, 0, v[28:29]
	s_or_b64 s[12:13], vcc, s[12:13]
	v_add_u32_e32 v31, v31, v38
	s_andn2_b64 exec, exec, s[12:13]
	s_cbranch_execz .LBB1_113
.LBB1_30:                               ; =>This Loop Header: Depth=1
                                        ;     Child Loop BB1_33 Depth 2
                                        ;     Child Loop BB1_41 Depth 2
	;; [unrolled: 1-line block ×11, first 2 shown]
	v_cmp_gt_u64_e32 vcc, 56, v[28:29]
	v_cndmask_b32_e32 v38, 56, v28, vcc
	v_cmp_gt_u64_e64 s[4:5], 8, v[28:29]
                                        ; implicit-def: $vgpr2_vgpr3
                                        ; implicit-def: $sgpr14
	s_and_saveexec_b64 s[6:7], s[4:5]
	s_xor_b64 s[6:7], exec, s[6:7]
	s_cbranch_execz .LBB1_36
; %bb.31:                               ;   in Loop: Header=BB1_30 Depth=1
	s_mov_b64 s[16:17], 0
	v_cmp_ne_u64_e64 s[4:5], 0, v[28:29]
	s_waitcnt vmcnt(0)
	v_pk_mov_b32 v[2:3], 0, 0
	s_and_saveexec_b64 s[14:15], s[4:5]
	s_cbranch_execz .LBB1_35
; %bb.32:                               ;   in Loop: Header=BB1_30 Depth=1
	s_mov_b32 s22, 0
	v_pk_mov_b32 v[2:3], 0, 0
	s_mov_b64 s[18:19], 0
.LBB1_33:                               ;   Parent Loop BB1_30 Depth=1
                                        ; =>  This Inner Loop Header: Depth=2
	v_add_u32_e32 v8, s22, v31
	buffer_load_ubyte v8, v8, s[0:3], 0 offen
	v_mov_b32_e32 v9, s20
	s_add_i32 s22, s22, 1
	v_cmp_eq_u32_e64 s[4:5], s22, v38
	s_waitcnt vmcnt(0)
	v_and_b32_e32 v8, 0xffff, v8
	v_lshlrev_b64 v[8:9], s18, v[8:9]
	s_add_u32 s18, s18, 8
	s_addc_u32 s19, s19, 0
	v_or_b32_e32 v3, v9, v3
	s_or_b64 s[16:17], s[4:5], s[16:17]
	v_or_b32_e32 v2, v8, v2
	s_andn2_b64 exec, exec, s[16:17]
	s_cbranch_execnz .LBB1_33
; %bb.34:                               ;   in Loop: Header=BB1_30 Depth=1
	s_or_b64 exec, exec, s[16:17]
.LBB1_35:                               ;   in Loop: Header=BB1_30 Depth=1
	s_or_b64 exec, exec, s[14:15]
	s_mov_b32 s14, 0
.LBB1_36:                               ;   in Loop: Header=BB1_30 Depth=1
	s_or_saveexec_b64 s[4:5], s[6:7]
	v_mov_b32_e32 v9, s14
	v_mov_b32_e32 v8, v31
	s_xor_b64 exec, exec, s[4:5]
	s_cbranch_execz .LBB1_38
; %bb.37:                               ;   in Loop: Header=BB1_30 Depth=1
	buffer_load_dword v2, v31, s[0:3], 0 offen offset:4
	buffer_load_dword v3, v31, s[0:3], 0 offen
	v_add_u32_e32 v9, -8, v38
	s_waitcnt vmcnt(1)
	v_and_b32_e32 v8, 0xff, v2
	v_and_b32_e32 v12, 0xff00, v2
	s_waitcnt vmcnt(0)
	v_or3_b32 v3, v3, 0, 0
	v_and_b32_e32 v13, 0xff0000, v2
	v_and_b32_e32 v14, 0xff000000, v2
	v_or3_b32 v8, 0, v8, v12
	v_or3_b32 v2, v3, 0, 0
	;; [unrolled: 1-line block ×3, first 2 shown]
	v_add_u32_e32 v8, 8, v31
.LBB1_38:                               ;   in Loop: Header=BB1_30 Depth=1
	s_or_b64 exec, exec, s[4:5]
	v_cmp_gt_u32_e64 s[4:5], 8, v9
                                        ; implicit-def: $vgpr12_vgpr13
                                        ; implicit-def: $sgpr14
	s_and_saveexec_b64 s[6:7], s[4:5]
	s_xor_b64 s[6:7], exec, s[6:7]
	s_cbranch_execz .LBB1_44
; %bb.39:                               ;   in Loop: Header=BB1_30 Depth=1
	v_cmp_ne_u32_e64 s[4:5], 0, v9
	v_pk_mov_b32 v[12:13], 0, 0
	s_and_saveexec_b64 s[14:15], s[4:5]
	s_cbranch_execz .LBB1_43
; %bb.40:                               ;   in Loop: Header=BB1_30 Depth=1
	s_mov_b32 s22, 0
	s_mov_b64 s[16:17], 0
	v_pk_mov_b32 v[12:13], 0, 0
	s_mov_b64 s[18:19], 0
.LBB1_41:                               ;   Parent Loop BB1_30 Depth=1
                                        ; =>  This Inner Loop Header: Depth=2
	v_add_u32_e32 v14, s22, v8
	buffer_load_ubyte v14, v14, s[0:3], 0 offen
	v_mov_b32_e32 v15, s20
	s_add_i32 s22, s22, 1
	v_cmp_eq_u32_e64 s[4:5], s22, v9
	s_waitcnt vmcnt(0)
	v_and_b32_e32 v14, 0xffff, v14
	v_lshlrev_b64 v[14:15], s18, v[14:15]
	s_add_u32 s18, s18, 8
	s_addc_u32 s19, s19, 0
	v_or_b32_e32 v13, v15, v13
	s_or_b64 s[16:17], s[4:5], s[16:17]
	v_or_b32_e32 v12, v14, v12
	s_andn2_b64 exec, exec, s[16:17]
	s_cbranch_execnz .LBB1_41
; %bb.42:                               ;   in Loop: Header=BB1_30 Depth=1
	s_or_b64 exec, exec, s[16:17]
.LBB1_43:                               ;   in Loop: Header=BB1_30 Depth=1
	s_or_b64 exec, exec, s[14:15]
	s_mov_b32 s14, 0
                                        ; implicit-def: $vgpr9
.LBB1_44:                               ;   in Loop: Header=BB1_30 Depth=1
	s_or_saveexec_b64 s[4:5], s[6:7]
	v_mov_b32_e32 v16, s14
	s_xor_b64 exec, exec, s[4:5]
	s_cbranch_execz .LBB1_46
; %bb.45:                               ;   in Loop: Header=BB1_30 Depth=1
	buffer_load_dword v12, v8, s[0:3], 0 offen offset:4
	buffer_load_dword v13, v8, s[0:3], 0 offen
	v_add_u32_e32 v16, -8, v9
	v_add_u32_e32 v8, 8, v8
	s_waitcnt vmcnt(1)
	v_and_b32_e32 v9, 0xff, v12
	v_and_b32_e32 v14, 0xff00, v12
	s_waitcnt vmcnt(0)
	v_or3_b32 v13, v13, 0, 0
	v_and_b32_e32 v15, 0xff0000, v12
	v_and_b32_e32 v17, 0xff000000, v12
	v_or3_b32 v9, 0, v9, v14
	v_or3_b32 v12, v13, 0, 0
	;; [unrolled: 1-line block ×3, first 2 shown]
.LBB1_46:                               ;   in Loop: Header=BB1_30 Depth=1
	s_or_b64 exec, exec, s[4:5]
	v_cmp_gt_u32_e64 s[4:5], 8, v16
                                        ; implicit-def: $sgpr14
	s_and_saveexec_b64 s[6:7], s[4:5]
	s_xor_b64 s[6:7], exec, s[6:7]
	s_cbranch_execz .LBB1_52
; %bb.47:                               ;   in Loop: Header=BB1_30 Depth=1
	v_cmp_ne_u32_e64 s[4:5], 0, v16
	v_pk_mov_b32 v[14:15], 0, 0
	s_and_saveexec_b64 s[14:15], s[4:5]
	s_cbranch_execz .LBB1_51
; %bb.48:                               ;   in Loop: Header=BB1_30 Depth=1
	s_mov_b32 s22, 0
	s_mov_b64 s[16:17], 0
	v_pk_mov_b32 v[14:15], 0, 0
	s_mov_b64 s[18:19], 0
.LBB1_49:                               ;   Parent Loop BB1_30 Depth=1
                                        ; =>  This Inner Loop Header: Depth=2
	v_add_u32_e32 v9, s22, v8
	buffer_load_ubyte v9, v9, s[0:3], 0 offen
	v_mov_b32_e32 v19, s20
	s_add_i32 s22, s22, 1
	v_cmp_eq_u32_e64 s[4:5], s22, v16
	s_waitcnt vmcnt(0)
	v_and_b32_e32 v18, 0xffff, v9
	v_lshlrev_b64 v[18:19], s18, v[18:19]
	s_add_u32 s18, s18, 8
	s_addc_u32 s19, s19, 0
	v_or_b32_e32 v15, v19, v15
	s_or_b64 s[16:17], s[4:5], s[16:17]
	v_or_b32_e32 v14, v18, v14
	s_andn2_b64 exec, exec, s[16:17]
	s_cbranch_execnz .LBB1_49
; %bb.50:                               ;   in Loop: Header=BB1_30 Depth=1
	s_or_b64 exec, exec, s[16:17]
.LBB1_51:                               ;   in Loop: Header=BB1_30 Depth=1
	s_or_b64 exec, exec, s[14:15]
	s_mov_b32 s14, 0
                                        ; implicit-def: $vgpr16
.LBB1_52:                               ;   in Loop: Header=BB1_30 Depth=1
	s_or_saveexec_b64 s[4:5], s[6:7]
	v_mov_b32_e32 v9, s14
	s_xor_b64 exec, exec, s[4:5]
	s_cbranch_execz .LBB1_54
; %bb.53:                               ;   in Loop: Header=BB1_30 Depth=1
	buffer_load_dword v14, v8, s[0:3], 0 offen offset:4
	buffer_load_dword v15, v8, s[0:3], 0 offen
	v_add_u32_e32 v9, -8, v16
	v_add_u32_e32 v8, 8, v8
	s_waitcnt vmcnt(1)
	v_and_b32_e32 v16, 0xff, v14
	v_and_b32_e32 v17, 0xff00, v14
	s_waitcnt vmcnt(0)
	v_or3_b32 v15, v15, 0, 0
	v_and_b32_e32 v18, 0xff0000, v14
	v_and_b32_e32 v19, 0xff000000, v14
	v_or3_b32 v16, 0, v16, v17
	v_or3_b32 v14, v15, 0, 0
	;; [unrolled: 1-line block ×3, first 2 shown]
.LBB1_54:                               ;   in Loop: Header=BB1_30 Depth=1
	s_or_b64 exec, exec, s[4:5]
	v_cmp_gt_u32_e64 s[4:5], 8, v9
                                        ; implicit-def: $vgpr16_vgpr17
                                        ; implicit-def: $sgpr14
	s_and_saveexec_b64 s[6:7], s[4:5]
	s_xor_b64 s[6:7], exec, s[6:7]
	s_cbranch_execz .LBB1_60
; %bb.55:                               ;   in Loop: Header=BB1_30 Depth=1
	v_cmp_ne_u32_e64 s[4:5], 0, v9
	v_pk_mov_b32 v[16:17], 0, 0
	s_and_saveexec_b64 s[14:15], s[4:5]
	s_cbranch_execz .LBB1_59
; %bb.56:                               ;   in Loop: Header=BB1_30 Depth=1
	s_mov_b32 s22, 0
	s_mov_b64 s[16:17], 0
	v_pk_mov_b32 v[16:17], 0, 0
	s_mov_b64 s[18:19], 0
.LBB1_57:                               ;   Parent Loop BB1_30 Depth=1
                                        ; =>  This Inner Loop Header: Depth=2
	v_add_u32_e32 v18, s22, v8
	buffer_load_ubyte v18, v18, s[0:3], 0 offen
	v_mov_b32_e32 v19, s20
	s_add_i32 s22, s22, 1
	v_cmp_eq_u32_e64 s[4:5], s22, v9
	s_waitcnt vmcnt(0)
	v_and_b32_e32 v18, 0xffff, v18
	v_lshlrev_b64 v[18:19], s18, v[18:19]
	s_add_u32 s18, s18, 8
	s_addc_u32 s19, s19, 0
	v_or_b32_e32 v17, v19, v17
	s_or_b64 s[16:17], s[4:5], s[16:17]
	v_or_b32_e32 v16, v18, v16
	s_andn2_b64 exec, exec, s[16:17]
	s_cbranch_execnz .LBB1_57
; %bb.58:                               ;   in Loop: Header=BB1_30 Depth=1
	s_or_b64 exec, exec, s[16:17]
.LBB1_59:                               ;   in Loop: Header=BB1_30 Depth=1
	s_or_b64 exec, exec, s[14:15]
	s_mov_b32 s14, 0
                                        ; implicit-def: $vgpr9
.LBB1_60:                               ;   in Loop: Header=BB1_30 Depth=1
	s_or_saveexec_b64 s[4:5], s[6:7]
	v_mov_b32_e32 v20, s14
	s_xor_b64 exec, exec, s[4:5]
	s_cbranch_execz .LBB1_62
; %bb.61:                               ;   in Loop: Header=BB1_30 Depth=1
	buffer_load_dword v16, v8, s[0:3], 0 offen offset:4
	buffer_load_dword v17, v8, s[0:3], 0 offen
	v_add_u32_e32 v20, -8, v9
	v_add_u32_e32 v8, 8, v8
	s_waitcnt vmcnt(1)
	v_and_b32_e32 v9, 0xff, v16
	v_and_b32_e32 v18, 0xff00, v16
	s_waitcnt vmcnt(0)
	v_or3_b32 v17, v17, 0, 0
	v_and_b32_e32 v19, 0xff0000, v16
	v_and_b32_e32 v21, 0xff000000, v16
	v_or3_b32 v9, 0, v9, v18
	v_or3_b32 v16, v17, 0, 0
	v_or3_b32 v17, v9, v19, v21
.LBB1_62:                               ;   in Loop: Header=BB1_30 Depth=1
	s_or_b64 exec, exec, s[4:5]
	v_cmp_gt_u32_e64 s[4:5], 8, v20
                                        ; implicit-def: $sgpr14
	s_and_saveexec_b64 s[6:7], s[4:5]
	s_xor_b64 s[6:7], exec, s[6:7]
	s_cbranch_execz .LBB1_68
; %bb.63:                               ;   in Loop: Header=BB1_30 Depth=1
	v_cmp_ne_u32_e64 s[4:5], 0, v20
	v_pk_mov_b32 v[18:19], 0, 0
	s_and_saveexec_b64 s[14:15], s[4:5]
	s_cbranch_execz .LBB1_67
; %bb.64:                               ;   in Loop: Header=BB1_30 Depth=1
	s_mov_b32 s22, 0
	s_mov_b64 s[16:17], 0
	v_pk_mov_b32 v[18:19], 0, 0
	s_mov_b64 s[18:19], 0
.LBB1_65:                               ;   Parent Loop BB1_30 Depth=1
                                        ; =>  This Inner Loop Header: Depth=2
	v_add_u32_e32 v9, s22, v8
	buffer_load_ubyte v9, v9, s[0:3], 0 offen
	v_mov_b32_e32 v23, s20
	s_add_i32 s22, s22, 1
	v_cmp_eq_u32_e64 s[4:5], s22, v20
	s_waitcnt vmcnt(0)
	v_and_b32_e32 v22, 0xffff, v9
	v_lshlrev_b64 v[22:23], s18, v[22:23]
	s_add_u32 s18, s18, 8
	s_addc_u32 s19, s19, 0
	v_or_b32_e32 v19, v23, v19
	s_or_b64 s[16:17], s[4:5], s[16:17]
	v_or_b32_e32 v18, v22, v18
	s_andn2_b64 exec, exec, s[16:17]
	s_cbranch_execnz .LBB1_65
; %bb.66:                               ;   in Loop: Header=BB1_30 Depth=1
	s_or_b64 exec, exec, s[16:17]
.LBB1_67:                               ;   in Loop: Header=BB1_30 Depth=1
	s_or_b64 exec, exec, s[14:15]
	s_mov_b32 s14, 0
                                        ; implicit-def: $vgpr20
.LBB1_68:                               ;   in Loop: Header=BB1_30 Depth=1
	s_or_saveexec_b64 s[4:5], s[6:7]
	v_mov_b32_e32 v9, s14
	s_xor_b64 exec, exec, s[4:5]
	s_cbranch_execz .LBB1_70
; %bb.69:                               ;   in Loop: Header=BB1_30 Depth=1
	buffer_load_dword v18, v8, s[0:3], 0 offen offset:4
	buffer_load_dword v19, v8, s[0:3], 0 offen
	v_add_u32_e32 v9, -8, v20
	v_add_u32_e32 v8, 8, v8
	s_waitcnt vmcnt(1)
	v_and_b32_e32 v20, 0xff, v18
	v_and_b32_e32 v21, 0xff00, v18
	s_waitcnt vmcnt(0)
	v_or3_b32 v19, v19, 0, 0
	v_and_b32_e32 v22, 0xff0000, v18
	v_and_b32_e32 v23, 0xff000000, v18
	v_or3_b32 v20, 0, v20, v21
	v_or3_b32 v18, v19, 0, 0
	v_or3_b32 v19, v20, v22, v23
.LBB1_70:                               ;   in Loop: Header=BB1_30 Depth=1
	s_or_b64 exec, exec, s[4:5]
	v_cmp_gt_u32_e64 s[4:5], 8, v9
                                        ; implicit-def: $vgpr20_vgpr21
                                        ; implicit-def: $sgpr14
	s_and_saveexec_b64 s[6:7], s[4:5]
	s_xor_b64 s[6:7], exec, s[6:7]
	s_cbranch_execz .LBB1_76
; %bb.71:                               ;   in Loop: Header=BB1_30 Depth=1
	v_cmp_ne_u32_e64 s[4:5], 0, v9
	v_pk_mov_b32 v[20:21], 0, 0
	s_and_saveexec_b64 s[14:15], s[4:5]
	s_cbranch_execz .LBB1_75
; %bb.72:                               ;   in Loop: Header=BB1_30 Depth=1
	s_mov_b32 s22, 0
	s_mov_b64 s[16:17], 0
	v_pk_mov_b32 v[20:21], 0, 0
	s_mov_b64 s[18:19], 0
.LBB1_73:                               ;   Parent Loop BB1_30 Depth=1
                                        ; =>  This Inner Loop Header: Depth=2
	v_add_u32_e32 v22, s22, v8
	buffer_load_ubyte v22, v22, s[0:3], 0 offen
	v_mov_b32_e32 v23, s20
	s_add_i32 s22, s22, 1
	v_cmp_eq_u32_e64 s[4:5], s22, v9
	s_waitcnt vmcnt(0)
	v_and_b32_e32 v22, 0xffff, v22
	v_lshlrev_b64 v[22:23], s18, v[22:23]
	s_add_u32 s18, s18, 8
	s_addc_u32 s19, s19, 0
	v_or_b32_e32 v21, v23, v21
	s_or_b64 s[16:17], s[4:5], s[16:17]
	v_or_b32_e32 v20, v22, v20
	s_andn2_b64 exec, exec, s[16:17]
	s_cbranch_execnz .LBB1_73
; %bb.74:                               ;   in Loop: Header=BB1_30 Depth=1
	s_or_b64 exec, exec, s[16:17]
.LBB1_75:                               ;   in Loop: Header=BB1_30 Depth=1
	s_or_b64 exec, exec, s[14:15]
	s_mov_b32 s14, 0
                                        ; implicit-def: $vgpr9
.LBB1_76:                               ;   in Loop: Header=BB1_30 Depth=1
	s_or_saveexec_b64 s[4:5], s[6:7]
	v_mov_b32_e32 v24, s14
	s_xor_b64 exec, exec, s[4:5]
	s_cbranch_execz .LBB1_78
; %bb.77:                               ;   in Loop: Header=BB1_30 Depth=1
	buffer_load_dword v20, v8, s[0:3], 0 offen offset:4
	buffer_load_dword v21, v8, s[0:3], 0 offen
	v_add_u32_e32 v24, -8, v9
	v_add_u32_e32 v8, 8, v8
	s_waitcnt vmcnt(1)
	v_and_b32_e32 v9, 0xff, v20
	v_and_b32_e32 v22, 0xff00, v20
	s_waitcnt vmcnt(0)
	v_or3_b32 v21, v21, 0, 0
	v_and_b32_e32 v23, 0xff0000, v20
	v_and_b32_e32 v25, 0xff000000, v20
	v_or3_b32 v9, 0, v9, v22
	v_or3_b32 v20, v21, 0, 0
	;; [unrolled: 1-line block ×3, first 2 shown]
.LBB1_78:                               ;   in Loop: Header=BB1_30 Depth=1
	s_or_b64 exec, exec, s[4:5]
	v_cmp_gt_u32_e64 s[4:5], 8, v24
	s_and_saveexec_b64 s[6:7], s[4:5]
	s_xor_b64 s[6:7], exec, s[6:7]
	s_cbranch_execz .LBB1_84
; %bb.79:                               ;   in Loop: Header=BB1_30 Depth=1
	v_cmp_ne_u32_e64 s[4:5], 0, v24
	v_pk_mov_b32 v[22:23], 0, 0
	s_and_saveexec_b64 s[14:15], s[4:5]
	s_cbranch_execz .LBB1_83
; %bb.80:                               ;   in Loop: Header=BB1_30 Depth=1
	s_mov_b64 s[16:17], 0
	v_pk_mov_b32 v[22:23], 0, 0
	s_mov_b64 s[18:19], 0
.LBB1_81:                               ;   Parent Loop BB1_30 Depth=1
                                        ; =>  This Inner Loop Header: Depth=2
	buffer_load_ubyte v9, v8, s[0:3], 0 offen
	v_mov_b32_e32 v27, s20
	v_add_u32_e32 v24, -1, v24
	v_cmp_eq_u32_e64 s[4:5], 0, v24
	v_add_u32_e32 v8, 1, v8
	s_waitcnt vmcnt(0)
	v_and_b32_e32 v26, 0xffff, v9
	v_lshlrev_b64 v[26:27], s18, v[26:27]
	s_add_u32 s18, s18, 8
	s_addc_u32 s19, s19, 0
	v_or_b32_e32 v23, v27, v23
	s_or_b64 s[16:17], s[4:5], s[16:17]
	v_or_b32_e32 v22, v26, v22
	s_andn2_b64 exec, exec, s[16:17]
	s_cbranch_execnz .LBB1_81
; %bb.82:                               ;   in Loop: Header=BB1_30 Depth=1
	s_or_b64 exec, exec, s[16:17]
.LBB1_83:                               ;   in Loop: Header=BB1_30 Depth=1
	s_or_b64 exec, exec, s[14:15]
                                        ; implicit-def: $vgpr8
.LBB1_84:                               ;   in Loop: Header=BB1_30 Depth=1
	s_andn2_saveexec_b64 s[4:5], s[6:7]
	s_cbranch_execz .LBB1_86
; %bb.85:                               ;   in Loop: Header=BB1_30 Depth=1
	buffer_load_dword v9, v8, s[0:3], 0 offen offset:4
	buffer_load_dword v22, v8, s[0:3], 0 offen
	s_waitcnt vmcnt(1)
	v_and_b32_e32 v8, 0xff, v9
	v_and_b32_e32 v23, 0xff00, v9
	s_waitcnt vmcnt(0)
	v_or3_b32 v22, v22, 0, 0
	v_and_b32_e32 v24, 0xff0000, v9
	v_and_b32_e32 v9, 0xff000000, v9
	v_or3_b32 v8, 0, v8, v23
	v_or3_b32 v23, v8, v24, v9
	;; [unrolled: 1-line block ×3, first 2 shown]
.LBB1_86:                               ;   in Loop: Header=BB1_30 Depth=1
	s_or_b64 exec, exec, s[4:5]
	v_readfirstlane_b32 s4, v37
	v_cmp_eq_u32_e64 s[4:5], s4, v37
	v_pk_mov_b32 v[8:9], 0, 0
	s_and_saveexec_b64 s[14:15], s[4:5]
	s_cbranch_execz .LBB1_92
; %bb.87:                               ;   in Loop: Header=BB1_30 Depth=1
	global_load_dwordx2 v[26:27], v33, s[10:11] offset:24 glc
	s_waitcnt vmcnt(0)
	buffer_invl2
	buffer_wbinvl1_vol
	global_load_dwordx2 v[8:9], v33, s[10:11] offset:40
	global_load_dwordx2 v[24:25], v33, s[10:11]
	s_waitcnt vmcnt(1)
	v_and_b32_e32 v8, v8, v26
	v_and_b32_e32 v9, v9, v27
	v_mul_lo_u32 v9, v9, 24
	v_mul_hi_u32 v32, v8, 24
	v_mul_lo_u32 v8, v8, 24
	v_add_u32_e32 v9, v32, v9
	s_waitcnt vmcnt(0)
	v_add_co_u32_e64 v8, s[6:7], v24, v8
	v_addc_co_u32_e64 v9, s[6:7], v25, v9, s[6:7]
	global_load_dwordx2 v[24:25], v[8:9], off glc
	s_waitcnt vmcnt(0)
	global_atomic_cmpswap_x2 v[8:9], v33, v[24:27], s[10:11] offset:24 glc
	s_waitcnt vmcnt(0)
	buffer_invl2
	buffer_wbinvl1_vol
	v_cmp_ne_u64_e64 s[6:7], v[8:9], v[26:27]
	s_and_saveexec_b64 s[16:17], s[6:7]
	s_cbranch_execz .LBB1_91
; %bb.88:                               ;   in Loop: Header=BB1_30 Depth=1
	s_mov_b64 s[18:19], 0
.LBB1_89:                               ;   Parent Loop BB1_30 Depth=1
                                        ; =>  This Inner Loop Header: Depth=2
	s_sleep 1
	global_load_dwordx2 v[24:25], v33, s[10:11] offset:40
	global_load_dwordx2 v[34:35], v33, s[10:11]
	v_pk_mov_b32 v[26:27], v[8:9], v[8:9] op_sel:[0,1]
	s_waitcnt vmcnt(1)
	v_and_b32_e32 v8, v24, v26
	s_waitcnt vmcnt(0)
	v_mad_u64_u32 v[8:9], s[6:7], v8, 24, v[34:35]
	v_and_b32_e32 v25, v25, v27
	v_mov_b32_e32 v24, v9
	v_mad_u64_u32 v[24:25], s[6:7], v25, 24, v[24:25]
	v_mov_b32_e32 v9, v24
	global_load_dwordx2 v[24:25], v[8:9], off glc
	s_waitcnt vmcnt(0)
	global_atomic_cmpswap_x2 v[8:9], v33, v[24:27], s[10:11] offset:24 glc
	s_waitcnt vmcnt(0)
	buffer_invl2
	buffer_wbinvl1_vol
	v_cmp_eq_u64_e64 s[6:7], v[8:9], v[26:27]
	s_or_b64 s[18:19], s[6:7], s[18:19]
	s_andn2_b64 exec, exec, s[18:19]
	s_cbranch_execnz .LBB1_89
; %bb.90:                               ;   in Loop: Header=BB1_30 Depth=1
	s_or_b64 exec, exec, s[18:19]
.LBB1_91:                               ;   in Loop: Header=BB1_30 Depth=1
	s_or_b64 exec, exec, s[16:17]
.LBB1_92:                               ;   in Loop: Header=BB1_30 Depth=1
	s_or_b64 exec, exec, s[14:15]
	global_load_dwordx2 v[34:35], v33, s[10:11] offset:40
	global_load_dwordx4 v[24:27], v33, s[10:11]
	v_readfirstlane_b32 s14, v8
	v_readfirstlane_b32 s15, v9
	s_mov_b64 s[16:17], exec
	s_waitcnt vmcnt(1)
	v_readfirstlane_b32 s6, v34
	v_readfirstlane_b32 s7, v35
	s_and_b64 s[18:19], s[14:15], s[6:7]
	s_mul_i32 s6, s19, 24
	s_mul_hi_u32 s7, s18, 24
	s_mul_i32 s22, s18, 24
	s_add_i32 s6, s7, s6
	v_mov_b32_e32 v8, s6
	s_waitcnt vmcnt(0)
	v_add_co_u32_e64 v34, s[6:7], s22, v24
	v_addc_co_u32_e64 v35, s[6:7], v25, v8, s[6:7]
	s_and_saveexec_b64 s[6:7], s[4:5]
	s_cbranch_execz .LBB1_94
; %bb.93:                               ;   in Loop: Header=BB1_30 Depth=1
	v_pk_mov_b32 v[8:9], s[16:17], s[16:17] op_sel:[0,1]
	global_store_dwordx4 v[34:35], v[8:11], off offset:8
.LBB1_94:                               ;   in Loop: Header=BB1_30 Depth=1
	s_or_b64 exec, exec, s[6:7]
	s_lshl_b64 s[6:7], s[18:19], 12
	v_cndmask_b32_e32 v39, 0, v29, vcc
	v_mov_b32_e32 v9, s7
	v_add_co_u32_e32 v8, vcc, s6, v26
	v_addc_co_u32_e32 v9, vcc, v27, v9, vcc
	v_or_b32_e32 v26, 0, v1
	v_cmp_lt_u64_e32 vcc, 56, v[28:29]
	v_or_b32_e32 v27, v0, v30
	v_cndmask_b32_e32 v1, v26, v1, vcc
	v_lshl_add_u32 v26, v38, 2, 28
	v_cndmask_b32_e32 v0, v27, v0, vcc
	v_and_b32_e32 v26, 0x1e0, v26
	v_and_or_b32 v0, v0, s21, v26
	v_readfirstlane_b32 s6, v8
	v_readfirstlane_b32 s7, v9
	s_nop 4
	global_store_dwordx4 v36, v[0:3], s[6:7]
	global_store_dwordx4 v36, v[12:15], s[6:7] offset:16
	global_store_dwordx4 v36, v[16:19], s[6:7] offset:32
	;; [unrolled: 1-line block ×3, first 2 shown]
	s_and_saveexec_b64 s[6:7], s[4:5]
	s_cbranch_execz .LBB1_102
; %bb.95:                               ;   in Loop: Header=BB1_30 Depth=1
	global_load_dwordx2 v[16:17], v33, s[10:11] offset:32 glc
	global_load_dwordx2 v[0:1], v33, s[10:11] offset:40
	v_mov_b32_e32 v14, s14
	v_mov_b32_e32 v15, s15
	s_waitcnt vmcnt(0)
	v_readfirstlane_b32 s16, v0
	v_readfirstlane_b32 s17, v1
	s_and_b64 s[16:17], s[16:17], s[14:15]
	s_mul_i32 s17, s17, 24
	s_mul_hi_u32 s18, s16, 24
	s_mul_i32 s16, s16, 24
	s_add_i32 s17, s18, s17
	v_mov_b32_e32 v0, s17
	v_add_co_u32_e32 v12, vcc, s16, v24
	v_addc_co_u32_e32 v13, vcc, v25, v0, vcc
	global_store_dwordx2 v[12:13], v[16:17], off
	buffer_wbl2
	s_waitcnt vmcnt(0)
	global_atomic_cmpswap_x2 v[2:3], v33, v[14:17], s[10:11] offset:32 glc
	s_waitcnt vmcnt(0)
	v_cmp_ne_u64_e32 vcc, v[2:3], v[16:17]
	s_and_saveexec_b64 s[16:17], vcc
	s_cbranch_execz .LBB1_98
; %bb.96:                               ;   in Loop: Header=BB1_30 Depth=1
	s_mov_b64 s[18:19], 0
.LBB1_97:                               ;   Parent Loop BB1_30 Depth=1
                                        ; =>  This Inner Loop Header: Depth=2
	s_sleep 1
	global_store_dwordx2 v[12:13], v[2:3], off
	v_mov_b32_e32 v0, s14
	v_mov_b32_e32 v1, s15
	buffer_wbl2
	s_waitcnt vmcnt(0)
	global_atomic_cmpswap_x2 v[0:1], v33, v[0:3], s[10:11] offset:32 glc
	s_waitcnt vmcnt(0)
	v_cmp_eq_u64_e32 vcc, v[0:1], v[2:3]
	s_or_b64 s[18:19], vcc, s[18:19]
	v_pk_mov_b32 v[2:3], v[0:1], v[0:1] op_sel:[0,1]
	s_andn2_b64 exec, exec, s[18:19]
	s_cbranch_execnz .LBB1_97
.LBB1_98:                               ;   in Loop: Header=BB1_30 Depth=1
	s_or_b64 exec, exec, s[16:17]
	global_load_dwordx2 v[0:1], v33, s[10:11] offset:16
	s_mov_b64 s[18:19], exec
	v_mbcnt_lo_u32_b32 v2, s18, 0
	v_mbcnt_hi_u32_b32 v2, s19, v2
	v_cmp_eq_u32_e32 vcc, 0, v2
	s_and_saveexec_b64 s[16:17], vcc
	s_cbranch_execz .LBB1_100
; %bb.99:                               ;   in Loop: Header=BB1_30 Depth=1
	s_bcnt1_i32_b64 s18, s[18:19]
	v_mov_b32_e32 v32, s18
	buffer_wbl2
	s_waitcnt vmcnt(0)
	global_atomic_add_x2 v[0:1], v[32:33], off offset:8
.LBB1_100:                              ;   in Loop: Header=BB1_30 Depth=1
	s_or_b64 exec, exec, s[16:17]
	s_waitcnt vmcnt(0)
	global_load_dwordx2 v[2:3], v[0:1], off offset:16
	s_waitcnt vmcnt(0)
	v_cmp_eq_u64_e32 vcc, 0, v[2:3]
	s_cbranch_vccnz .LBB1_102
; %bb.101:                              ;   in Loop: Header=BB1_30 Depth=1
	global_load_dword v32, v[0:1], off offset:24
	s_waitcnt vmcnt(0)
	v_and_b32_e32 v0, 0xffffff, v32
	v_readfirstlane_b32 m0, v0
	buffer_wbl2
	global_store_dwordx2 v[2:3], v[32:33], off
	s_sendmsg sendmsg(MSG_INTERRUPT)
.LBB1_102:                              ;   in Loop: Header=BB1_30 Depth=1
	s_or_b64 exec, exec, s[6:7]
	v_add_co_u32_e32 v0, vcc, v8, v36
	v_addc_co_u32_e32 v1, vcc, 0, v9, vcc
	s_branch .LBB1_106
.LBB1_103:                              ;   in Loop: Header=BB1_106 Depth=2
	s_or_b64 exec, exec, s[6:7]
	v_readfirstlane_b32 s6, v2
	s_cmp_eq_u32 s6, 0
	s_cbranch_scc1 .LBB1_105
; %bb.104:                              ;   in Loop: Header=BB1_106 Depth=2
	s_sleep 1
	s_cbranch_execnz .LBB1_106
	s_branch .LBB1_108
.LBB1_105:                              ;   in Loop: Header=BB1_30 Depth=1
	s_branch .LBB1_108
.LBB1_106:                              ;   Parent Loop BB1_30 Depth=1
                                        ; =>  This Inner Loop Header: Depth=2
	v_mov_b32_e32 v2, 1
	s_and_saveexec_b64 s[6:7], s[4:5]
	s_cbranch_execz .LBB1_103
; %bb.107:                              ;   in Loop: Header=BB1_106 Depth=2
	global_load_dword v2, v[34:35], off offset:20 glc
	s_waitcnt vmcnt(0)
	buffer_invl2
	buffer_wbinvl1_vol
	v_and_b32_e32 v2, 1, v2
	s_branch .LBB1_103
.LBB1_108:                              ;   in Loop: Header=BB1_30 Depth=1
	global_load_dwordx4 v[0:3], v[0:1], off
	s_and_saveexec_b64 s[6:7], s[4:5]
	s_cbranch_execz .LBB1_29
; %bb.109:                              ;   in Loop: Header=BB1_30 Depth=1
	global_load_dwordx2 v[2:3], v33, s[10:11] offset:40
	global_load_dwordx2 v[8:9], v33, s[10:11] offset:24 glc
	global_load_dwordx2 v[16:17], v33, s[10:11]
	v_mov_b32_e32 v13, s15
	s_waitcnt vmcnt(2)
	v_add_co_u32_e32 v15, vcc, 1, v2
	v_addc_co_u32_e32 v18, vcc, 0, v3, vcc
	v_add_co_u32_e32 v12, vcc, s14, v15
	v_addc_co_u32_e32 v13, vcc, v18, v13, vcc
	v_cmp_eq_u64_e32 vcc, 0, v[12:13]
	v_cndmask_b32_e32 v13, v13, v18, vcc
	v_cndmask_b32_e32 v12, v12, v15, vcc
	v_and_b32_e32 v3, v13, v3
	v_and_b32_e32 v2, v12, v2
	v_mul_lo_u32 v3, v3, 24
	v_mul_hi_u32 v15, v2, 24
	v_mul_lo_u32 v2, v2, 24
	v_add_u32_e32 v3, v15, v3
	s_waitcnt vmcnt(0)
	v_add_co_u32_e32 v2, vcc, v16, v2
	v_addc_co_u32_e32 v3, vcc, v17, v3, vcc
	v_mov_b32_e32 v14, v8
	global_store_dwordx2 v[2:3], v[8:9], off
	v_mov_b32_e32 v15, v9
	buffer_wbl2
	s_waitcnt vmcnt(0)
	global_atomic_cmpswap_x2 v[14:15], v33, v[12:15], s[10:11] offset:24 glc
	s_waitcnt vmcnt(0)
	v_cmp_ne_u64_e32 vcc, v[14:15], v[8:9]
	s_and_b64 exec, exec, vcc
	s_cbranch_execz .LBB1_29
; %bb.110:                              ;   in Loop: Header=BB1_30 Depth=1
	s_mov_b64 s[4:5], 0
.LBB1_111:                              ;   Parent Loop BB1_30 Depth=1
                                        ; =>  This Inner Loop Header: Depth=2
	s_sleep 1
	global_store_dwordx2 v[2:3], v[14:15], off
	buffer_wbl2
	s_waitcnt vmcnt(0)
	global_atomic_cmpswap_x2 v[8:9], v33, v[12:15], s[10:11] offset:24 glc
	s_waitcnt vmcnt(0)
	v_cmp_eq_u64_e32 vcc, v[8:9], v[14:15]
	s_or_b64 s[4:5], vcc, s[4:5]
	v_pk_mov_b32 v[14:15], v[8:9], v[8:9] op_sel:[0,1]
	s_andn2_b64 exec, exec, s[4:5]
	s_cbranch_execnz .LBB1_111
	s_branch .LBB1_29
.LBB1_112:
                                        ; implicit-def: $vgpr0_vgpr1
	s_cbranch_execnz .LBB1_114
	s_branch .LBB1_140
.LBB1_113:
	s_or_b64 exec, exec, s[12:13]
	s_branch .LBB1_140
.LBB1_114:
	v_readfirstlane_b32 s4, v37
	v_cmp_eq_u32_e64 s[4:5], s4, v37
	v_pk_mov_b32 v[10:11], 0, 0
	s_and_saveexec_b64 s[6:7], s[4:5]
	s_cbranch_execz .LBB1_120
; %bb.115:
	s_waitcnt vmcnt(0)
	v_mov_b32_e32 v0, 0
	global_load_dwordx2 v[12:13], v0, s[10:11] offset:24 glc
	s_waitcnt vmcnt(0)
	buffer_invl2
	buffer_wbinvl1_vol
	global_load_dwordx2 v[2:3], v0, s[10:11] offset:40
	global_load_dwordx2 v[8:9], v0, s[10:11]
	s_waitcnt vmcnt(1)
	v_and_b32_e32 v1, v2, v12
	v_and_b32_e32 v2, v3, v13
	v_mul_lo_u32 v2, v2, 24
	v_mul_hi_u32 v3, v1, 24
	v_mul_lo_u32 v1, v1, 24
	v_add_u32_e32 v3, v3, v2
	s_waitcnt vmcnt(0)
	v_add_co_u32_e32 v2, vcc, v8, v1
	v_addc_co_u32_e32 v3, vcc, v9, v3, vcc
	global_load_dwordx2 v[10:11], v[2:3], off glc
	s_waitcnt vmcnt(0)
	global_atomic_cmpswap_x2 v[10:11], v0, v[10:13], s[10:11] offset:24 glc
	s_waitcnt vmcnt(0)
	buffer_invl2
	buffer_wbinvl1_vol
	v_cmp_ne_u64_e32 vcc, v[10:11], v[12:13]
	s_and_saveexec_b64 s[12:13], vcc
	s_cbranch_execz .LBB1_119
; %bb.116:
	s_mov_b64 s[14:15], 0
.LBB1_117:                              ; =>This Inner Loop Header: Depth=1
	s_sleep 1
	global_load_dwordx2 v[2:3], v0, s[10:11] offset:40
	global_load_dwordx2 v[8:9], v0, s[10:11]
	v_pk_mov_b32 v[12:13], v[10:11], v[10:11] op_sel:[0,1]
	s_waitcnt vmcnt(1)
	v_and_b32_e32 v2, v2, v12
	v_and_b32_e32 v1, v3, v13
	s_waitcnt vmcnt(0)
	v_mad_u64_u32 v[2:3], s[16:17], v2, 24, v[8:9]
	v_mov_b32_e32 v8, v3
	v_mad_u64_u32 v[8:9], s[16:17], v1, 24, v[8:9]
	v_mov_b32_e32 v3, v8
	global_load_dwordx2 v[10:11], v[2:3], off glc
	s_waitcnt vmcnt(0)
	global_atomic_cmpswap_x2 v[10:11], v0, v[10:13], s[10:11] offset:24 glc
	s_waitcnt vmcnt(0)
	buffer_invl2
	buffer_wbinvl1_vol
	v_cmp_eq_u64_e32 vcc, v[10:11], v[12:13]
	s_or_b64 s[14:15], vcc, s[14:15]
	s_andn2_b64 exec, exec, s[14:15]
	s_cbranch_execnz .LBB1_117
; %bb.118:
	s_or_b64 exec, exec, s[14:15]
.LBB1_119:
	s_or_b64 exec, exec, s[12:13]
.LBB1_120:
	s_or_b64 exec, exec, s[6:7]
	v_mov_b32_e32 v8, 0
	global_load_dwordx2 v[12:13], v8, s[10:11] offset:40
	global_load_dwordx4 v[0:3], v8, s[10:11]
	v_readfirstlane_b32 s6, v10
	v_readfirstlane_b32 s7, v11
	s_mov_b64 s[12:13], exec
	s_waitcnt vmcnt(1)
	v_readfirstlane_b32 s14, v12
	v_readfirstlane_b32 s15, v13
	s_and_b64 s[14:15], s[6:7], s[14:15]
	s_mul_i32 s16, s15, 24
	s_mul_hi_u32 s17, s14, 24
	s_mul_i32 s18, s14, 24
	s_add_i32 s16, s17, s16
	v_mov_b32_e32 v9, s16
	s_waitcnt vmcnt(0)
	v_add_co_u32_e32 v10, vcc, s18, v0
	v_addc_co_u32_e32 v11, vcc, v1, v9, vcc
	s_and_saveexec_b64 s[16:17], s[4:5]
	s_cbranch_execz .LBB1_122
; %bb.121:
	v_pk_mov_b32 v[12:13], s[12:13], s[12:13] op_sel:[0,1]
	v_mov_b32_e32 v14, 2
	v_mov_b32_e32 v15, 1
	global_store_dwordx4 v[10:11], v[12:15], off offset:8
.LBB1_122:
	s_or_b64 exec, exec, s[16:17]
	s_lshl_b64 s[12:13], s[14:15], 12
	v_mov_b32_e32 v9, s13
	v_add_co_u32_e32 v2, vcc, s12, v2
	s_movk_i32 s12, 0xff1f
	v_addc_co_u32_e32 v3, vcc, v3, v9, vcc
	v_and_or_b32 v6, v6, s12, 32
	s_mov_b32 s12, 0
	v_mov_b32_e32 v9, v8
	v_readfirstlane_b32 s16, v2
	v_readfirstlane_b32 s17, v3
	s_mov_b32 s13, s12
	v_add_co_u32_e32 v12, vcc, v2, v36
	s_mov_b32 s14, s12
	s_mov_b32 s15, s12
	s_nop 0
	global_store_dwordx4 v36, v[6:9], s[16:17]
	v_addc_co_u32_e32 v13, vcc, 0, v3, vcc
	v_pk_mov_b32 v[6:7], s[12:13], s[12:13] op_sel:[0,1]
	v_pk_mov_b32 v[8:9], s[14:15], s[14:15] op_sel:[0,1]
	global_store_dwordx4 v36, v[6:9], s[16:17] offset:16
	global_store_dwordx4 v36, v[6:9], s[16:17] offset:32
	;; [unrolled: 1-line block ×3, first 2 shown]
	s_and_saveexec_b64 s[12:13], s[4:5]
	s_cbranch_execz .LBB1_130
; %bb.123:
	v_mov_b32_e32 v8, 0
	global_load_dwordx2 v[16:17], v8, s[10:11] offset:32 glc
	global_load_dwordx2 v[2:3], v8, s[10:11] offset:40
	v_mov_b32_e32 v14, s6
	v_mov_b32_e32 v15, s7
	s_waitcnt vmcnt(0)
	v_readfirstlane_b32 s14, v2
	v_readfirstlane_b32 s15, v3
	s_and_b64 s[14:15], s[14:15], s[6:7]
	s_mul_i32 s15, s15, 24
	s_mul_hi_u32 s16, s14, 24
	s_mul_i32 s14, s14, 24
	s_add_i32 s15, s16, s15
	v_mov_b32_e32 v2, s15
	v_add_co_u32_e32 v6, vcc, s14, v0
	v_addc_co_u32_e32 v7, vcc, v1, v2, vcc
	global_store_dwordx2 v[6:7], v[16:17], off
	buffer_wbl2
	s_waitcnt vmcnt(0)
	global_atomic_cmpswap_x2 v[2:3], v8, v[14:17], s[10:11] offset:32 glc
	s_waitcnt vmcnt(0)
	v_cmp_ne_u64_e32 vcc, v[2:3], v[16:17]
	s_and_saveexec_b64 s[14:15], vcc
	s_cbranch_execz .LBB1_126
; %bb.124:
	s_mov_b64 s[16:17], 0
.LBB1_125:                              ; =>This Inner Loop Header: Depth=1
	s_sleep 1
	global_store_dwordx2 v[6:7], v[2:3], off
	v_mov_b32_e32 v0, s6
	v_mov_b32_e32 v1, s7
	buffer_wbl2
	s_waitcnt vmcnt(0)
	global_atomic_cmpswap_x2 v[0:1], v8, v[0:3], s[10:11] offset:32 glc
	s_waitcnt vmcnt(0)
	v_cmp_eq_u64_e32 vcc, v[0:1], v[2:3]
	s_or_b64 s[16:17], vcc, s[16:17]
	v_pk_mov_b32 v[2:3], v[0:1], v[0:1] op_sel:[0,1]
	s_andn2_b64 exec, exec, s[16:17]
	s_cbranch_execnz .LBB1_125
.LBB1_126:
	s_or_b64 exec, exec, s[14:15]
	v_mov_b32_e32 v3, 0
	global_load_dwordx2 v[0:1], v3, s[10:11] offset:16
	s_mov_b64 s[14:15], exec
	v_mbcnt_lo_u32_b32 v2, s14, 0
	v_mbcnt_hi_u32_b32 v2, s15, v2
	v_cmp_eq_u32_e32 vcc, 0, v2
	s_and_saveexec_b64 s[16:17], vcc
	s_cbranch_execz .LBB1_128
; %bb.127:
	s_bcnt1_i32_b64 s14, s[14:15]
	v_mov_b32_e32 v2, s14
	buffer_wbl2
	s_waitcnt vmcnt(0)
	global_atomic_add_x2 v[0:1], v[2:3], off offset:8
.LBB1_128:
	s_or_b64 exec, exec, s[16:17]
	s_waitcnt vmcnt(0)
	global_load_dwordx2 v[2:3], v[0:1], off offset:16
	s_waitcnt vmcnt(0)
	v_cmp_eq_u64_e32 vcc, 0, v[2:3]
	s_cbranch_vccnz .LBB1_130
; %bb.129:
	global_load_dword v0, v[0:1], off offset:24
	v_mov_b32_e32 v1, 0
	buffer_wbl2
	s_waitcnt vmcnt(0)
	global_store_dwordx2 v[2:3], v[0:1], off
	v_and_b32_e32 v0, 0xffffff, v0
	v_readfirstlane_b32 m0, v0
	s_sendmsg sendmsg(MSG_INTERRUPT)
.LBB1_130:
	s_or_b64 exec, exec, s[12:13]
	s_branch .LBB1_134
.LBB1_131:                              ;   in Loop: Header=BB1_134 Depth=1
	s_or_b64 exec, exec, s[12:13]
	v_readfirstlane_b32 s12, v0
	s_cmp_eq_u32 s12, 0
	s_cbranch_scc1 .LBB1_133
; %bb.132:                              ;   in Loop: Header=BB1_134 Depth=1
	s_sleep 1
	s_cbranch_execnz .LBB1_134
	s_branch .LBB1_136
.LBB1_133:
	s_branch .LBB1_136
.LBB1_134:                              ; =>This Inner Loop Header: Depth=1
	v_mov_b32_e32 v0, 1
	s_and_saveexec_b64 s[12:13], s[4:5]
	s_cbranch_execz .LBB1_131
; %bb.135:                              ;   in Loop: Header=BB1_134 Depth=1
	global_load_dword v0, v[10:11], off offset:20 glc
	s_waitcnt vmcnt(0)
	buffer_invl2
	buffer_wbinvl1_vol
	v_and_b32_e32 v0, 1, v0
	s_branch .LBB1_131
.LBB1_136:
	global_load_dwordx2 v[0:1], v[12:13], off
	s_and_saveexec_b64 s[12:13], s[4:5]
	s_cbranch_execz .LBB1_139
; %bb.137:
	v_mov_b32_e32 v10, 0
	global_load_dwordx2 v[2:3], v10, s[10:11] offset:40
	global_load_dwordx2 v[12:13], v10, s[10:11] offset:24 glc
	global_load_dwordx2 v[14:15], v10, s[10:11]
	v_mov_b32_e32 v7, s7
	s_mov_b64 s[4:5], 0
	s_waitcnt vmcnt(2)
	v_add_co_u32_e32 v9, vcc, 1, v2
	v_addc_co_u32_e32 v11, vcc, 0, v3, vcc
	v_add_co_u32_e32 v6, vcc, s6, v9
	v_addc_co_u32_e32 v7, vcc, v11, v7, vcc
	v_cmp_eq_u64_e32 vcc, 0, v[6:7]
	v_cndmask_b32_e32 v7, v7, v11, vcc
	v_cndmask_b32_e32 v6, v6, v9, vcc
	v_and_b32_e32 v3, v7, v3
	v_and_b32_e32 v2, v6, v2
	v_mul_lo_u32 v3, v3, 24
	v_mul_hi_u32 v9, v2, 24
	v_mul_lo_u32 v2, v2, 24
	v_add_u32_e32 v3, v9, v3
	s_waitcnt vmcnt(0)
	v_add_co_u32_e32 v2, vcc, v14, v2
	v_addc_co_u32_e32 v3, vcc, v15, v3, vcc
	v_mov_b32_e32 v8, v12
	global_store_dwordx2 v[2:3], v[12:13], off
	v_mov_b32_e32 v9, v13
	buffer_wbl2
	s_waitcnt vmcnt(0)
	global_atomic_cmpswap_x2 v[8:9], v10, v[6:9], s[10:11] offset:24 glc
	s_waitcnt vmcnt(0)
	v_cmp_ne_u64_e32 vcc, v[8:9], v[12:13]
	s_and_b64 exec, exec, vcc
	s_cbranch_execz .LBB1_139
.LBB1_138:                              ; =>This Inner Loop Header: Depth=1
	s_sleep 1
	global_store_dwordx2 v[2:3], v[8:9], off
	buffer_wbl2
	s_waitcnt vmcnt(0)
	global_atomic_cmpswap_x2 v[12:13], v10, v[6:9], s[10:11] offset:24 glc
	s_waitcnt vmcnt(0)
	v_cmp_eq_u64_e32 vcc, v[12:13], v[8:9]
	s_or_b64 s[4:5], vcc, s[4:5]
	v_pk_mov_b32 v[8:9], v[12:13], v[12:13] op_sel:[0,1]
	s_andn2_b64 exec, exec, s[4:5]
	s_cbranch_execnz .LBB1_138
.LBB1_139:
	s_or_b64 exec, exec, s[12:13]
.LBB1_140:
	s_getpc_b64 s[6:7]
	s_add_u32 s6, s6, .str.2@rel32@lo+4
	s_addc_u32 s7, s7, .str.2@rel32@hi+12
	s_cmp_lg_u64 s[6:7], 0
	s_cbranch_scc0 .LBB1_224
; %bb.141:
	s_getpc_b64 s[4:5]
	s_add_u32 s4, s4, .str.2@rel32@lo+80
	s_addc_u32 s5, s5, .str.2@rel32@hi+88
	s_sub_i32 s12, s4, s6
	s_ashr_i32 s13, s12, 31
	s_waitcnt vmcnt(0)
	v_and_b32_e32 v2, 2, v0
	v_mov_b32_e32 v33, 0
	v_and_b32_e32 v6, -3, v0
	v_mov_b32_e32 v7, v1
	v_mov_b32_e32 v10, 2
	;; [unrolled: 1-line block ×3, first 2 shown]
	s_branch .LBB1_143
.LBB1_142:                              ;   in Loop: Header=BB1_143 Depth=1
	s_or_b64 exec, exec, s[18:19]
	s_sub_u32 s12, s12, s14
	s_subb_u32 s13, s13, s15
	s_add_u32 s6, s6, s14
	s_addc_u32 s7, s7, s15
	s_cmp_lg_u64 s[12:13], 0
	s_cbranch_scc0 .LBB1_225
.LBB1_143:                              ; =>This Loop Header: Depth=1
                                        ;     Child Loop BB1_146 Depth 2
                                        ;     Child Loop BB1_153 Depth 2
	;; [unrolled: 1-line block ×11, first 2 shown]
	v_cmp_lt_u64_e64 s[4:5], s[12:13], 56
	s_and_b64 s[4:5], s[4:5], exec
	v_cmp_gt_u64_e64 s[4:5], s[12:13], 7
	s_cselect_b32 s15, s13, 0
	s_cselect_b32 s14, s12, 56
	s_and_b64 vcc, exec, s[4:5]
	s_cbranch_vccnz .LBB1_148
; %bb.144:                              ;   in Loop: Header=BB1_143 Depth=1
	s_mov_b64 s[4:5], 0
	s_cmp_eq_u64 s[12:13], 0
	v_pk_mov_b32 v[14:15], 0, 0
	s_cbranch_scc1 .LBB1_147
; %bb.145:                              ;   in Loop: Header=BB1_143 Depth=1
	s_lshl_b64 s[16:17], s[14:15], 3
	s_mov_b64 s[18:19], 0
	v_pk_mov_b32 v[14:15], 0, 0
	s_mov_b64 s[20:21], s[6:7]
.LBB1_146:                              ;   Parent Loop BB1_143 Depth=1
                                        ; =>  This Inner Loop Header: Depth=2
	global_load_ubyte v3, v33, s[20:21]
	s_waitcnt vmcnt(0)
	v_and_b32_e32 v32, 0xffff, v3
	v_lshlrev_b64 v[8:9], s18, v[32:33]
	s_add_u32 s18, s18, 8
	s_addc_u32 s19, s19, 0
	s_add_u32 s20, s20, 1
	s_addc_u32 s21, s21, 0
	v_or_b32_e32 v14, v8, v14
	s_cmp_lg_u32 s16, s18
	v_or_b32_e32 v15, v9, v15
	s_cbranch_scc1 .LBB1_146
.LBB1_147:                              ;   in Loop: Header=BB1_143 Depth=1
	s_mov_b32 s20, 0
	s_andn2_b64 vcc, exec, s[4:5]
	s_mov_b64 s[4:5], s[6:7]
	s_cbranch_vccz .LBB1_149
	s_branch .LBB1_150
.LBB1_148:                              ;   in Loop: Header=BB1_143 Depth=1
                                        ; implicit-def: $vgpr14_vgpr15
                                        ; implicit-def: $sgpr20
	s_mov_b64 s[4:5], s[6:7]
.LBB1_149:                              ;   in Loop: Header=BB1_143 Depth=1
	global_load_dwordx2 v[14:15], v33, s[6:7]
	s_add_i32 s20, s14, -8
	s_add_u32 s4, s6, 8
	s_addc_u32 s5, s7, 0
.LBB1_150:                              ;   in Loop: Header=BB1_143 Depth=1
	s_cmp_gt_u32 s20, 7
	s_cbranch_scc1 .LBB1_154
; %bb.151:                              ;   in Loop: Header=BB1_143 Depth=1
	s_cmp_eq_u32 s20, 0
	s_cbranch_scc1 .LBB1_155
; %bb.152:                              ;   in Loop: Header=BB1_143 Depth=1
	s_mov_b64 s[16:17], 0
	v_pk_mov_b32 v[16:17], 0, 0
	s_mov_b64 s[18:19], 0
.LBB1_153:                              ;   Parent Loop BB1_143 Depth=1
                                        ; =>  This Inner Loop Header: Depth=2
	s_add_u32 s22, s4, s18
	s_addc_u32 s23, s5, s19
	global_load_ubyte v3, v33, s[22:23]
	s_add_u32 s18, s18, 1
	s_addc_u32 s19, s19, 0
	s_waitcnt vmcnt(0)
	v_and_b32_e32 v32, 0xffff, v3
	v_lshlrev_b64 v[8:9], s16, v[32:33]
	s_add_u32 s16, s16, 8
	s_addc_u32 s17, s17, 0
	v_or_b32_e32 v16, v8, v16
	s_cmp_lg_u32 s20, s18
	v_or_b32_e32 v17, v9, v17
	s_cbranch_scc1 .LBB1_153
	s_branch .LBB1_156
.LBB1_154:                              ;   in Loop: Header=BB1_143 Depth=1
                                        ; implicit-def: $vgpr16_vgpr17
                                        ; implicit-def: $sgpr21
	s_branch .LBB1_157
.LBB1_155:                              ;   in Loop: Header=BB1_143 Depth=1
	v_pk_mov_b32 v[16:17], 0, 0
.LBB1_156:                              ;   in Loop: Header=BB1_143 Depth=1
	s_mov_b32 s21, 0
	s_cbranch_execnz .LBB1_158
.LBB1_157:                              ;   in Loop: Header=BB1_143 Depth=1
	global_load_dwordx2 v[16:17], v33, s[4:5]
	s_add_i32 s21, s20, -8
	s_add_u32 s4, s4, 8
	s_addc_u32 s5, s5, 0
.LBB1_158:                              ;   in Loop: Header=BB1_143 Depth=1
	s_cmp_gt_u32 s21, 7
	s_cbranch_scc1 .LBB1_162
; %bb.159:                              ;   in Loop: Header=BB1_143 Depth=1
	s_cmp_eq_u32 s21, 0
	s_cbranch_scc1 .LBB1_163
; %bb.160:                              ;   in Loop: Header=BB1_143 Depth=1
	s_mov_b64 s[16:17], 0
	v_pk_mov_b32 v[18:19], 0, 0
	s_mov_b64 s[18:19], 0
.LBB1_161:                              ;   Parent Loop BB1_143 Depth=1
                                        ; =>  This Inner Loop Header: Depth=2
	s_add_u32 s22, s4, s18
	s_addc_u32 s23, s5, s19
	global_load_ubyte v3, v33, s[22:23]
	s_add_u32 s18, s18, 1
	s_addc_u32 s19, s19, 0
	s_waitcnt vmcnt(0)
	v_and_b32_e32 v32, 0xffff, v3
	v_lshlrev_b64 v[8:9], s16, v[32:33]
	s_add_u32 s16, s16, 8
	s_addc_u32 s17, s17, 0
	v_or_b32_e32 v18, v8, v18
	s_cmp_lg_u32 s21, s18
	v_or_b32_e32 v19, v9, v19
	s_cbranch_scc1 .LBB1_161
	s_branch .LBB1_164
.LBB1_162:                              ;   in Loop: Header=BB1_143 Depth=1
                                        ; implicit-def: $sgpr20
	s_branch .LBB1_165
.LBB1_163:                              ;   in Loop: Header=BB1_143 Depth=1
	v_pk_mov_b32 v[18:19], 0, 0
.LBB1_164:                              ;   in Loop: Header=BB1_143 Depth=1
	s_mov_b32 s20, 0
	s_cbranch_execnz .LBB1_166
.LBB1_165:                              ;   in Loop: Header=BB1_143 Depth=1
	global_load_dwordx2 v[18:19], v33, s[4:5]
	s_add_i32 s20, s21, -8
	s_add_u32 s4, s4, 8
	s_addc_u32 s5, s5, 0
.LBB1_166:                              ;   in Loop: Header=BB1_143 Depth=1
	s_cmp_gt_u32 s20, 7
	s_cbranch_scc1 .LBB1_170
; %bb.167:                              ;   in Loop: Header=BB1_143 Depth=1
	s_cmp_eq_u32 s20, 0
	s_cbranch_scc1 .LBB1_171
; %bb.168:                              ;   in Loop: Header=BB1_143 Depth=1
	s_mov_b64 s[16:17], 0
	v_pk_mov_b32 v[20:21], 0, 0
	s_mov_b64 s[18:19], 0
.LBB1_169:                              ;   Parent Loop BB1_143 Depth=1
                                        ; =>  This Inner Loop Header: Depth=2
	s_add_u32 s22, s4, s18
	s_addc_u32 s23, s5, s19
	global_load_ubyte v3, v33, s[22:23]
	s_add_u32 s18, s18, 1
	s_addc_u32 s19, s19, 0
	s_waitcnt vmcnt(0)
	v_and_b32_e32 v32, 0xffff, v3
	v_lshlrev_b64 v[8:9], s16, v[32:33]
	s_add_u32 s16, s16, 8
	s_addc_u32 s17, s17, 0
	v_or_b32_e32 v20, v8, v20
	s_cmp_lg_u32 s20, s18
	v_or_b32_e32 v21, v9, v21
	s_cbranch_scc1 .LBB1_169
	s_branch .LBB1_172
.LBB1_170:                              ;   in Loop: Header=BB1_143 Depth=1
                                        ; implicit-def: $vgpr20_vgpr21
                                        ; implicit-def: $sgpr21
	s_branch .LBB1_173
.LBB1_171:                              ;   in Loop: Header=BB1_143 Depth=1
	v_pk_mov_b32 v[20:21], 0, 0
.LBB1_172:                              ;   in Loop: Header=BB1_143 Depth=1
	s_mov_b32 s21, 0
	s_cbranch_execnz .LBB1_174
.LBB1_173:                              ;   in Loop: Header=BB1_143 Depth=1
	global_load_dwordx2 v[20:21], v33, s[4:5]
	s_add_i32 s21, s20, -8
	s_add_u32 s4, s4, 8
	s_addc_u32 s5, s5, 0
.LBB1_174:                              ;   in Loop: Header=BB1_143 Depth=1
	s_cmp_gt_u32 s21, 7
	s_cbranch_scc1 .LBB1_178
; %bb.175:                              ;   in Loop: Header=BB1_143 Depth=1
	s_cmp_eq_u32 s21, 0
	s_cbranch_scc1 .LBB1_179
; %bb.176:                              ;   in Loop: Header=BB1_143 Depth=1
	s_mov_b64 s[16:17], 0
	v_pk_mov_b32 v[22:23], 0, 0
	s_mov_b64 s[18:19], 0
.LBB1_177:                              ;   Parent Loop BB1_143 Depth=1
                                        ; =>  This Inner Loop Header: Depth=2
	s_add_u32 s22, s4, s18
	s_addc_u32 s23, s5, s19
	global_load_ubyte v3, v33, s[22:23]
	s_add_u32 s18, s18, 1
	s_addc_u32 s19, s19, 0
	s_waitcnt vmcnt(0)
	v_and_b32_e32 v32, 0xffff, v3
	v_lshlrev_b64 v[8:9], s16, v[32:33]
	s_add_u32 s16, s16, 8
	s_addc_u32 s17, s17, 0
	v_or_b32_e32 v22, v8, v22
	s_cmp_lg_u32 s21, s18
	v_or_b32_e32 v23, v9, v23
	s_cbranch_scc1 .LBB1_177
	s_branch .LBB1_180
.LBB1_178:                              ;   in Loop: Header=BB1_143 Depth=1
                                        ; implicit-def: $sgpr20
	s_branch .LBB1_181
.LBB1_179:                              ;   in Loop: Header=BB1_143 Depth=1
	v_pk_mov_b32 v[22:23], 0, 0
.LBB1_180:                              ;   in Loop: Header=BB1_143 Depth=1
	s_mov_b32 s20, 0
	s_cbranch_execnz .LBB1_182
.LBB1_181:                              ;   in Loop: Header=BB1_143 Depth=1
	global_load_dwordx2 v[22:23], v33, s[4:5]
	s_add_i32 s20, s21, -8
	s_add_u32 s4, s4, 8
	s_addc_u32 s5, s5, 0
.LBB1_182:                              ;   in Loop: Header=BB1_143 Depth=1
	s_cmp_gt_u32 s20, 7
	s_cbranch_scc1 .LBB1_186
; %bb.183:                              ;   in Loop: Header=BB1_143 Depth=1
	s_cmp_eq_u32 s20, 0
	s_cbranch_scc1 .LBB1_187
; %bb.184:                              ;   in Loop: Header=BB1_143 Depth=1
	s_mov_b64 s[16:17], 0
	v_pk_mov_b32 v[24:25], 0, 0
	s_mov_b64 s[18:19], 0
.LBB1_185:                              ;   Parent Loop BB1_143 Depth=1
                                        ; =>  This Inner Loop Header: Depth=2
	s_add_u32 s22, s4, s18
	s_addc_u32 s23, s5, s19
	global_load_ubyte v3, v33, s[22:23]
	s_add_u32 s18, s18, 1
	s_addc_u32 s19, s19, 0
	s_waitcnt vmcnt(0)
	v_and_b32_e32 v32, 0xffff, v3
	v_lshlrev_b64 v[8:9], s16, v[32:33]
	s_add_u32 s16, s16, 8
	s_addc_u32 s17, s17, 0
	v_or_b32_e32 v24, v8, v24
	s_cmp_lg_u32 s20, s18
	v_or_b32_e32 v25, v9, v25
	s_cbranch_scc1 .LBB1_185
	s_branch .LBB1_188
.LBB1_186:                              ;   in Loop: Header=BB1_143 Depth=1
                                        ; implicit-def: $vgpr24_vgpr25
                                        ; implicit-def: $sgpr21
	s_branch .LBB1_189
.LBB1_187:                              ;   in Loop: Header=BB1_143 Depth=1
	v_pk_mov_b32 v[24:25], 0, 0
.LBB1_188:                              ;   in Loop: Header=BB1_143 Depth=1
	s_mov_b32 s21, 0
	s_cbranch_execnz .LBB1_190
.LBB1_189:                              ;   in Loop: Header=BB1_143 Depth=1
	global_load_dwordx2 v[24:25], v33, s[4:5]
	s_add_i32 s21, s20, -8
	s_add_u32 s4, s4, 8
	s_addc_u32 s5, s5, 0
.LBB1_190:                              ;   in Loop: Header=BB1_143 Depth=1
	s_cmp_gt_u32 s21, 7
	s_cbranch_scc1 .LBB1_194
; %bb.191:                              ;   in Loop: Header=BB1_143 Depth=1
	s_cmp_eq_u32 s21, 0
	s_cbranch_scc1 .LBB1_195
; %bb.192:                              ;   in Loop: Header=BB1_143 Depth=1
	s_mov_b64 s[16:17], 0
	v_pk_mov_b32 v[26:27], 0, 0
	s_mov_b64 s[18:19], s[4:5]
.LBB1_193:                              ;   Parent Loop BB1_143 Depth=1
                                        ; =>  This Inner Loop Header: Depth=2
	global_load_ubyte v3, v33, s[18:19]
	s_add_i32 s21, s21, -1
	s_waitcnt vmcnt(0)
	v_and_b32_e32 v32, 0xffff, v3
	v_lshlrev_b64 v[8:9], s16, v[32:33]
	s_add_u32 s16, s16, 8
	s_addc_u32 s17, s17, 0
	s_add_u32 s18, s18, 1
	s_addc_u32 s19, s19, 0
	v_or_b32_e32 v26, v8, v26
	s_cmp_lg_u32 s21, 0
	v_or_b32_e32 v27, v9, v27
	s_cbranch_scc1 .LBB1_193
	s_branch .LBB1_196
.LBB1_194:                              ;   in Loop: Header=BB1_143 Depth=1
	s_branch .LBB1_197
.LBB1_195:                              ;   in Loop: Header=BB1_143 Depth=1
	v_pk_mov_b32 v[26:27], 0, 0
.LBB1_196:                              ;   in Loop: Header=BB1_143 Depth=1
	s_cbranch_execnz .LBB1_198
.LBB1_197:                              ;   in Loop: Header=BB1_143 Depth=1
	global_load_dwordx2 v[26:27], v33, s[4:5]
.LBB1_198:                              ;   in Loop: Header=BB1_143 Depth=1
	v_readfirstlane_b32 s4, v37
	v_cmp_eq_u32_e64 s[4:5], s4, v37
	s_waitcnt vmcnt(0)
	v_pk_mov_b32 v[8:9], 0, 0
	s_and_saveexec_b64 s[16:17], s[4:5]
	s_cbranch_execz .LBB1_204
; %bb.199:                              ;   in Loop: Header=BB1_143 Depth=1
	global_load_dwordx2 v[30:31], v33, s[10:11] offset:24 glc
	s_waitcnt vmcnt(0)
	buffer_invl2
	buffer_wbinvl1_vol
	global_load_dwordx2 v[8:9], v33, s[10:11] offset:40
	global_load_dwordx2 v[12:13], v33, s[10:11]
	s_waitcnt vmcnt(1)
	v_and_b32_e32 v3, v8, v30
	v_and_b32_e32 v8, v9, v31
	v_mul_lo_u32 v8, v8, 24
	v_mul_hi_u32 v9, v3, 24
	v_mul_lo_u32 v3, v3, 24
	v_add_u32_e32 v9, v9, v8
	s_waitcnt vmcnt(0)
	v_add_co_u32_e32 v8, vcc, v12, v3
	v_addc_co_u32_e32 v9, vcc, v13, v9, vcc
	global_load_dwordx2 v[28:29], v[8:9], off glc
	s_waitcnt vmcnt(0)
	global_atomic_cmpswap_x2 v[8:9], v33, v[28:31], s[10:11] offset:24 glc
	s_waitcnt vmcnt(0)
	buffer_invl2
	buffer_wbinvl1_vol
	v_cmp_ne_u64_e32 vcc, v[8:9], v[30:31]
	s_and_saveexec_b64 s[18:19], vcc
	s_cbranch_execz .LBB1_203
; %bb.200:                              ;   in Loop: Header=BB1_143 Depth=1
	s_mov_b64 s[20:21], 0
.LBB1_201:                              ;   Parent Loop BB1_143 Depth=1
                                        ; =>  This Inner Loop Header: Depth=2
	s_sleep 1
	global_load_dwordx2 v[12:13], v33, s[10:11] offset:40
	global_load_dwordx2 v[28:29], v33, s[10:11]
	v_pk_mov_b32 v[30:31], v[8:9], v[8:9] op_sel:[0,1]
	s_waitcnt vmcnt(1)
	v_and_b32_e32 v8, v12, v30
	s_waitcnt vmcnt(0)
	v_mad_u64_u32 v[8:9], s[22:23], v8, 24, v[28:29]
	v_and_b32_e32 v3, v13, v31
	v_mov_b32_e32 v12, v9
	v_mad_u64_u32 v[12:13], s[22:23], v3, 24, v[12:13]
	v_mov_b32_e32 v9, v12
	global_load_dwordx2 v[28:29], v[8:9], off glc
	s_waitcnt vmcnt(0)
	global_atomic_cmpswap_x2 v[8:9], v33, v[28:31], s[10:11] offset:24 glc
	s_waitcnt vmcnt(0)
	buffer_invl2
	buffer_wbinvl1_vol
	v_cmp_eq_u64_e32 vcc, v[8:9], v[30:31]
	s_or_b64 s[20:21], vcc, s[20:21]
	s_andn2_b64 exec, exec, s[20:21]
	s_cbranch_execnz .LBB1_201
; %bb.202:                              ;   in Loop: Header=BB1_143 Depth=1
	s_or_b64 exec, exec, s[20:21]
.LBB1_203:                              ;   in Loop: Header=BB1_143 Depth=1
	s_or_b64 exec, exec, s[18:19]
.LBB1_204:                              ;   in Loop: Header=BB1_143 Depth=1
	s_or_b64 exec, exec, s[16:17]
	global_load_dwordx2 v[12:13], v33, s[10:11] offset:40
	global_load_dwordx4 v[28:31], v33, s[10:11]
	v_readfirstlane_b32 s16, v8
	v_readfirstlane_b32 s17, v9
	s_mov_b64 s[18:19], exec
	s_waitcnt vmcnt(1)
	v_readfirstlane_b32 s20, v12
	v_readfirstlane_b32 s21, v13
	s_and_b64 s[20:21], s[16:17], s[20:21]
	s_mul_i32 s22, s21, 24
	s_mul_hi_u32 s23, s20, 24
	s_mul_i32 s24, s20, 24
	s_add_i32 s22, s23, s22
	v_mov_b32_e32 v3, s22
	s_waitcnt vmcnt(0)
	v_add_co_u32_e32 v34, vcc, s24, v28
	v_addc_co_u32_e32 v35, vcc, v29, v3, vcc
	s_and_saveexec_b64 s[22:23], s[4:5]
	s_cbranch_execz .LBB1_206
; %bb.205:                              ;   in Loop: Header=BB1_143 Depth=1
	v_pk_mov_b32 v[8:9], s[18:19], s[18:19] op_sel:[0,1]
	global_store_dwordx4 v[34:35], v[8:11], off offset:8
.LBB1_206:                              ;   in Loop: Header=BB1_143 Depth=1
	s_or_b64 exec, exec, s[22:23]
	s_lshl_b64 s[18:19], s[20:21], 12
	v_mov_b32_e32 v3, s19
	v_add_co_u32_e32 v30, vcc, s18, v30
	v_addc_co_u32_e32 v3, vcc, v31, v3, vcc
	v_or_b32_e32 v9, v6, v2
	v_cmp_gt_u64_e64 vcc, s[12:13], 56
	s_lshl_b32 s18, s14, 2
	v_cndmask_b32_e32 v6, v9, v6, vcc
	s_add_i32 s18, s18, 28
	v_or_b32_e32 v8, 0, v7
	s_and_b32 s18, s18, 0x1e0
	v_and_b32_e32 v6, 0xffffff1f, v6
	v_cndmask_b32_e32 v13, v8, v7, vcc
	v_or_b32_e32 v12, s18, v6
	v_readfirstlane_b32 s18, v30
	v_readfirstlane_b32 s19, v3
	s_nop 4
	global_store_dwordx4 v36, v[12:15], s[18:19]
	global_store_dwordx4 v36, v[16:19], s[18:19] offset:16
	global_store_dwordx4 v36, v[20:23], s[18:19] offset:32
	global_store_dwordx4 v36, v[24:27], s[18:19] offset:48
	s_and_saveexec_b64 s[18:19], s[4:5]
	s_cbranch_execz .LBB1_214
; %bb.207:                              ;   in Loop: Header=BB1_143 Depth=1
	global_load_dwordx2 v[16:17], v33, s[10:11] offset:32 glc
	global_load_dwordx2 v[6:7], v33, s[10:11] offset:40
	v_mov_b32_e32 v14, s16
	v_mov_b32_e32 v15, s17
	s_waitcnt vmcnt(0)
	v_readfirstlane_b32 s20, v6
	v_readfirstlane_b32 s21, v7
	s_and_b64 s[20:21], s[20:21], s[16:17]
	s_mul_i32 s21, s21, 24
	s_mul_hi_u32 s22, s20, 24
	s_mul_i32 s20, s20, 24
	s_add_i32 s21, s22, s21
	v_mov_b32_e32 v6, s21
	v_add_co_u32_e32 v12, vcc, s20, v28
	v_addc_co_u32_e32 v13, vcc, v29, v6, vcc
	global_store_dwordx2 v[12:13], v[16:17], off
	buffer_wbl2
	s_waitcnt vmcnt(0)
	global_atomic_cmpswap_x2 v[8:9], v33, v[14:17], s[10:11] offset:32 glc
	s_waitcnt vmcnt(0)
	v_cmp_ne_u64_e32 vcc, v[8:9], v[16:17]
	s_and_saveexec_b64 s[20:21], vcc
	s_cbranch_execz .LBB1_210
; %bb.208:                              ;   in Loop: Header=BB1_143 Depth=1
	s_mov_b64 s[22:23], 0
.LBB1_209:                              ;   Parent Loop BB1_143 Depth=1
                                        ; =>  This Inner Loop Header: Depth=2
	s_sleep 1
	global_store_dwordx2 v[12:13], v[8:9], off
	v_mov_b32_e32 v6, s16
	v_mov_b32_e32 v7, s17
	buffer_wbl2
	s_waitcnt vmcnt(0)
	global_atomic_cmpswap_x2 v[6:7], v33, v[6:9], s[10:11] offset:32 glc
	s_waitcnt vmcnt(0)
	v_cmp_eq_u64_e32 vcc, v[6:7], v[8:9]
	s_or_b64 s[22:23], vcc, s[22:23]
	v_pk_mov_b32 v[8:9], v[6:7], v[6:7] op_sel:[0,1]
	s_andn2_b64 exec, exec, s[22:23]
	s_cbranch_execnz .LBB1_209
.LBB1_210:                              ;   in Loop: Header=BB1_143 Depth=1
	s_or_b64 exec, exec, s[20:21]
	global_load_dwordx2 v[6:7], v33, s[10:11] offset:16
	s_mov_b64 s[22:23], exec
	v_mbcnt_lo_u32_b32 v8, s22, 0
	v_mbcnt_hi_u32_b32 v8, s23, v8
	v_cmp_eq_u32_e32 vcc, 0, v8
	s_and_saveexec_b64 s[20:21], vcc
	s_cbranch_execz .LBB1_212
; %bb.211:                              ;   in Loop: Header=BB1_143 Depth=1
	s_bcnt1_i32_b64 s22, s[22:23]
	v_mov_b32_e32 v32, s22
	buffer_wbl2
	s_waitcnt vmcnt(0)
	global_atomic_add_x2 v[6:7], v[32:33], off offset:8
.LBB1_212:                              ;   in Loop: Header=BB1_143 Depth=1
	s_or_b64 exec, exec, s[20:21]
	s_waitcnt vmcnt(0)
	global_load_dwordx2 v[8:9], v[6:7], off offset:16
	s_waitcnt vmcnt(0)
	v_cmp_eq_u64_e32 vcc, 0, v[8:9]
	s_cbranch_vccnz .LBB1_214
; %bb.213:                              ;   in Loop: Header=BB1_143 Depth=1
	global_load_dword v32, v[6:7], off offset:24
	s_waitcnt vmcnt(0)
	v_and_b32_e32 v6, 0xffffff, v32
	v_readfirstlane_b32 m0, v6
	buffer_wbl2
	global_store_dwordx2 v[8:9], v[32:33], off
	s_sendmsg sendmsg(MSG_INTERRUPT)
.LBB1_214:                              ;   in Loop: Header=BB1_143 Depth=1
	s_or_b64 exec, exec, s[18:19]
	v_add_co_u32_e32 v6, vcc, v30, v36
	v_addc_co_u32_e32 v7, vcc, 0, v3, vcc
	s_branch .LBB1_218
.LBB1_215:                              ;   in Loop: Header=BB1_218 Depth=2
	s_or_b64 exec, exec, s[18:19]
	v_readfirstlane_b32 s18, v3
	s_cmp_eq_u32 s18, 0
	s_cbranch_scc1 .LBB1_217
; %bb.216:                              ;   in Loop: Header=BB1_218 Depth=2
	s_sleep 1
	s_cbranch_execnz .LBB1_218
	s_branch .LBB1_220
.LBB1_217:                              ;   in Loop: Header=BB1_143 Depth=1
	s_branch .LBB1_220
.LBB1_218:                              ;   Parent Loop BB1_143 Depth=1
                                        ; =>  This Inner Loop Header: Depth=2
	v_mov_b32_e32 v3, 1
	s_and_saveexec_b64 s[18:19], s[4:5]
	s_cbranch_execz .LBB1_215
; %bb.219:                              ;   in Loop: Header=BB1_218 Depth=2
	global_load_dword v3, v[34:35], off offset:20 glc
	s_waitcnt vmcnt(0)
	buffer_invl2
	buffer_wbinvl1_vol
	v_and_b32_e32 v3, 1, v3
	s_branch .LBB1_215
.LBB1_220:                              ;   in Loop: Header=BB1_143 Depth=1
	global_load_dwordx4 v[6:9], v[6:7], off
	s_and_saveexec_b64 s[18:19], s[4:5]
	s_cbranch_execz .LBB1_142
; %bb.221:                              ;   in Loop: Header=BB1_143 Depth=1
	global_load_dwordx2 v[8:9], v33, s[10:11] offset:40
	global_load_dwordx2 v[16:17], v33, s[10:11] offset:24 glc
	global_load_dwordx2 v[18:19], v33, s[10:11]
	v_mov_b32_e32 v3, s17
	s_waitcnt vmcnt(2)
	v_add_co_u32_e32 v15, vcc, 1, v8
	v_addc_co_u32_e32 v20, vcc, 0, v9, vcc
	v_add_co_u32_e32 v12, vcc, s16, v15
	v_addc_co_u32_e32 v13, vcc, v20, v3, vcc
	v_cmp_eq_u64_e32 vcc, 0, v[12:13]
	v_cndmask_b32_e32 v13, v13, v20, vcc
	v_cndmask_b32_e32 v12, v12, v15, vcc
	v_and_b32_e32 v3, v13, v9
	v_and_b32_e32 v8, v12, v8
	v_mul_lo_u32 v3, v3, 24
	v_mul_hi_u32 v9, v8, 24
	v_mul_lo_u32 v8, v8, 24
	v_add_u32_e32 v3, v9, v3
	s_waitcnt vmcnt(0)
	v_add_co_u32_e32 v8, vcc, v18, v8
	v_addc_co_u32_e32 v9, vcc, v19, v3, vcc
	v_mov_b32_e32 v14, v16
	global_store_dwordx2 v[8:9], v[16:17], off
	v_mov_b32_e32 v15, v17
	buffer_wbl2
	s_waitcnt vmcnt(0)
	global_atomic_cmpswap_x2 v[14:15], v33, v[12:15], s[10:11] offset:24 glc
	s_waitcnt vmcnt(0)
	v_cmp_ne_u64_e32 vcc, v[14:15], v[16:17]
	s_and_b64 exec, exec, vcc
	s_cbranch_execz .LBB1_142
; %bb.222:                              ;   in Loop: Header=BB1_143 Depth=1
	s_mov_b64 s[4:5], 0
.LBB1_223:                              ;   Parent Loop BB1_143 Depth=1
                                        ; =>  This Inner Loop Header: Depth=2
	s_sleep 1
	global_store_dwordx2 v[8:9], v[14:15], off
	buffer_wbl2
	s_waitcnt vmcnt(0)
	global_atomic_cmpswap_x2 v[16:17], v33, v[12:15], s[10:11] offset:24 glc
	s_waitcnt vmcnt(0)
	v_cmp_eq_u64_e32 vcc, v[16:17], v[14:15]
	s_or_b64 s[4:5], vcc, s[4:5]
	v_pk_mov_b32 v[14:15], v[16:17], v[16:17] op_sel:[0,1]
	s_andn2_b64 exec, exec, s[4:5]
	s_cbranch_execnz .LBB1_223
	s_branch .LBB1_142
.LBB1_224:
                                        ; implicit-def: $vgpr6_vgpr7
	s_cbranch_execnz .LBB1_226
	s_branch .LBB1_252
.LBB1_225:
	s_branch .LBB1_252
.LBB1_226:
	v_readfirstlane_b32 s4, v37
	v_cmp_eq_u32_e64 s[4:5], s4, v37
	v_pk_mov_b32 v[10:11], 0, 0
	s_and_saveexec_b64 s[6:7], s[4:5]
	s_cbranch_execz .LBB1_232
; %bb.227:
	s_waitcnt vmcnt(0)
	v_mov_b32_e32 v2, 0
	global_load_dwordx2 v[8:9], v2, s[10:11] offset:24 glc
	s_waitcnt vmcnt(0)
	buffer_invl2
	buffer_wbinvl1_vol
	global_load_dwordx2 v[6:7], v2, s[10:11] offset:40
	global_load_dwordx2 v[10:11], v2, s[10:11]
	s_waitcnt vmcnt(1)
	v_and_b32_e32 v3, v6, v8
	v_and_b32_e32 v6, v7, v9
	v_mul_lo_u32 v6, v6, 24
	v_mul_hi_u32 v7, v3, 24
	v_mul_lo_u32 v3, v3, 24
	v_add_u32_e32 v7, v7, v6
	s_waitcnt vmcnt(0)
	v_add_co_u32_e32 v6, vcc, v10, v3
	v_addc_co_u32_e32 v7, vcc, v11, v7, vcc
	global_load_dwordx2 v[6:7], v[6:7], off glc
	s_waitcnt vmcnt(0)
	global_atomic_cmpswap_x2 v[10:11], v2, v[6:9], s[10:11] offset:24 glc
	s_waitcnt vmcnt(0)
	buffer_invl2
	buffer_wbinvl1_vol
	v_cmp_ne_u64_e32 vcc, v[10:11], v[8:9]
	s_and_saveexec_b64 s[12:13], vcc
	s_cbranch_execz .LBB1_231
; %bb.228:
	s_mov_b64 s[14:15], 0
.LBB1_229:                              ; =>This Inner Loop Header: Depth=1
	s_sleep 1
	global_load_dwordx2 v[6:7], v2, s[10:11] offset:40
	global_load_dwordx2 v[12:13], v2, s[10:11]
	v_pk_mov_b32 v[8:9], v[10:11], v[10:11] op_sel:[0,1]
	s_waitcnt vmcnt(1)
	v_and_b32_e32 v6, v6, v8
	v_and_b32_e32 v3, v7, v9
	s_waitcnt vmcnt(0)
	v_mad_u64_u32 v[6:7], s[16:17], v6, 24, v[12:13]
	v_mov_b32_e32 v10, v7
	v_mad_u64_u32 v[10:11], s[16:17], v3, 24, v[10:11]
	v_mov_b32_e32 v7, v10
	global_load_dwordx2 v[6:7], v[6:7], off glc
	s_waitcnt vmcnt(0)
	global_atomic_cmpswap_x2 v[10:11], v2, v[6:9], s[10:11] offset:24 glc
	s_waitcnt vmcnt(0)
	buffer_invl2
	buffer_wbinvl1_vol
	v_cmp_eq_u64_e32 vcc, v[10:11], v[8:9]
	s_or_b64 s[14:15], vcc, s[14:15]
	s_andn2_b64 exec, exec, s[14:15]
	s_cbranch_execnz .LBB1_229
; %bb.230:
	s_or_b64 exec, exec, s[14:15]
.LBB1_231:
	s_or_b64 exec, exec, s[12:13]
.LBB1_232:
	s_or_b64 exec, exec, s[6:7]
	s_waitcnt vmcnt(0)
	v_mov_b32_e32 v2, 0
	global_load_dwordx2 v[12:13], v2, s[10:11] offset:40
	global_load_dwordx4 v[6:9], v2, s[10:11]
	v_readfirstlane_b32 s6, v10
	v_readfirstlane_b32 s7, v11
	s_mov_b64 s[12:13], exec
	s_waitcnt vmcnt(1)
	v_readfirstlane_b32 s14, v12
	v_readfirstlane_b32 s15, v13
	s_and_b64 s[14:15], s[6:7], s[14:15]
	s_mul_i32 s16, s15, 24
	s_mul_hi_u32 s17, s14, 24
	s_mul_i32 s18, s14, 24
	s_add_i32 s16, s17, s16
	v_mov_b32_e32 v3, s16
	s_waitcnt vmcnt(0)
	v_add_co_u32_e32 v10, vcc, s18, v6
	v_addc_co_u32_e32 v11, vcc, v7, v3, vcc
	s_and_saveexec_b64 s[16:17], s[4:5]
	s_cbranch_execz .LBB1_234
; %bb.233:
	v_pk_mov_b32 v[12:13], s[12:13], s[12:13] op_sel:[0,1]
	v_mov_b32_e32 v14, 2
	v_mov_b32_e32 v15, 1
	global_store_dwordx4 v[10:11], v[12:15], off offset:8
.LBB1_234:
	s_or_b64 exec, exec, s[16:17]
	s_lshl_b64 s[12:13], s[14:15], 12
	v_mov_b32_e32 v3, s13
	v_add_co_u32_e32 v12, vcc, s12, v8
	s_movk_i32 s12, 0xff1f
	v_addc_co_u32_e32 v13, vcc, v9, v3, vcc
	v_and_or_b32 v0, v0, s12, 32
	s_mov_b32 s12, 0
	v_mov_b32_e32 v3, v2
	v_readfirstlane_b32 s16, v12
	v_readfirstlane_b32 s17, v13
	s_mov_b32 s13, s12
	v_add_co_u32_e32 v8, vcc, v12, v36
	s_mov_b32 s14, s12
	s_mov_b32 s15, s12
	s_nop 0
	global_store_dwordx4 v36, v[0:3], s[16:17]
	v_addc_co_u32_e32 v9, vcc, 0, v13, vcc
	v_pk_mov_b32 v[0:1], s[12:13], s[12:13] op_sel:[0,1]
	v_pk_mov_b32 v[2:3], s[14:15], s[14:15] op_sel:[0,1]
	global_store_dwordx4 v36, v[0:3], s[16:17] offset:16
	global_store_dwordx4 v36, v[0:3], s[16:17] offset:32
	;; [unrolled: 1-line block ×3, first 2 shown]
	s_and_saveexec_b64 s[12:13], s[4:5]
	s_cbranch_execz .LBB1_242
; %bb.235:
	v_mov_b32_e32 v12, 0
	global_load_dwordx2 v[16:17], v12, s[10:11] offset:32 glc
	global_load_dwordx2 v[0:1], v12, s[10:11] offset:40
	v_mov_b32_e32 v14, s6
	v_mov_b32_e32 v15, s7
	s_waitcnt vmcnt(0)
	v_readfirstlane_b32 s14, v0
	v_readfirstlane_b32 s15, v1
	s_and_b64 s[14:15], s[14:15], s[6:7]
	s_mul_i32 s15, s15, 24
	s_mul_hi_u32 s16, s14, 24
	s_mul_i32 s14, s14, 24
	s_add_i32 s15, s16, s15
	v_mov_b32_e32 v0, s15
	v_add_co_u32_e32 v6, vcc, s14, v6
	v_addc_co_u32_e32 v7, vcc, v7, v0, vcc
	global_store_dwordx2 v[6:7], v[16:17], off
	buffer_wbl2
	s_waitcnt vmcnt(0)
	global_atomic_cmpswap_x2 v[2:3], v12, v[14:17], s[10:11] offset:32 glc
	s_waitcnt vmcnt(0)
	v_cmp_ne_u64_e32 vcc, v[2:3], v[16:17]
	s_and_saveexec_b64 s[14:15], vcc
	s_cbranch_execz .LBB1_238
; %bb.236:
	s_mov_b64 s[16:17], 0
.LBB1_237:                              ; =>This Inner Loop Header: Depth=1
	s_sleep 1
	global_store_dwordx2 v[6:7], v[2:3], off
	v_mov_b32_e32 v0, s6
	v_mov_b32_e32 v1, s7
	buffer_wbl2
	s_waitcnt vmcnt(0)
	global_atomic_cmpswap_x2 v[0:1], v12, v[0:3], s[10:11] offset:32 glc
	s_waitcnt vmcnt(0)
	v_cmp_eq_u64_e32 vcc, v[0:1], v[2:3]
	s_or_b64 s[16:17], vcc, s[16:17]
	v_pk_mov_b32 v[2:3], v[0:1], v[0:1] op_sel:[0,1]
	s_andn2_b64 exec, exec, s[16:17]
	s_cbranch_execnz .LBB1_237
.LBB1_238:
	s_or_b64 exec, exec, s[14:15]
	v_mov_b32_e32 v3, 0
	global_load_dwordx2 v[0:1], v3, s[10:11] offset:16
	s_mov_b64 s[14:15], exec
	v_mbcnt_lo_u32_b32 v2, s14, 0
	v_mbcnt_hi_u32_b32 v2, s15, v2
	v_cmp_eq_u32_e32 vcc, 0, v2
	s_and_saveexec_b64 s[16:17], vcc
	s_cbranch_execz .LBB1_240
; %bb.239:
	s_bcnt1_i32_b64 s14, s[14:15]
	v_mov_b32_e32 v2, s14
	buffer_wbl2
	s_waitcnt vmcnt(0)
	global_atomic_add_x2 v[0:1], v[2:3], off offset:8
.LBB1_240:
	s_or_b64 exec, exec, s[16:17]
	s_waitcnt vmcnt(0)
	global_load_dwordx2 v[2:3], v[0:1], off offset:16
	s_waitcnt vmcnt(0)
	v_cmp_eq_u64_e32 vcc, 0, v[2:3]
	s_cbranch_vccnz .LBB1_242
; %bb.241:
	global_load_dword v0, v[0:1], off offset:24
	v_mov_b32_e32 v1, 0
	buffer_wbl2
	s_waitcnt vmcnt(0)
	global_store_dwordx2 v[2:3], v[0:1], off
	v_and_b32_e32 v0, 0xffffff, v0
	v_readfirstlane_b32 m0, v0
	s_sendmsg sendmsg(MSG_INTERRUPT)
.LBB1_242:
	s_or_b64 exec, exec, s[12:13]
	s_branch .LBB1_246
.LBB1_243:                              ;   in Loop: Header=BB1_246 Depth=1
	s_or_b64 exec, exec, s[12:13]
	v_readfirstlane_b32 s12, v0
	s_cmp_eq_u32 s12, 0
	s_cbranch_scc1 .LBB1_245
; %bb.244:                              ;   in Loop: Header=BB1_246 Depth=1
	s_sleep 1
	s_cbranch_execnz .LBB1_246
	s_branch .LBB1_248
.LBB1_245:
	s_branch .LBB1_248
.LBB1_246:                              ; =>This Inner Loop Header: Depth=1
	v_mov_b32_e32 v0, 1
	s_and_saveexec_b64 s[12:13], s[4:5]
	s_cbranch_execz .LBB1_243
; %bb.247:                              ;   in Loop: Header=BB1_246 Depth=1
	global_load_dword v0, v[10:11], off offset:20 glc
	s_waitcnt vmcnt(0)
	buffer_invl2
	buffer_wbinvl1_vol
	v_and_b32_e32 v0, 1, v0
	s_branch .LBB1_243
.LBB1_248:
	global_load_dwordx2 v[6:7], v[8:9], off
	s_and_saveexec_b64 s[12:13], s[4:5]
	s_cbranch_execz .LBB1_251
; %bb.249:
	v_mov_b32_e32 v10, 0
	global_load_dwordx2 v[8:9], v10, s[10:11] offset:40
	global_load_dwordx2 v[12:13], v10, s[10:11] offset:24 glc
	global_load_dwordx2 v[14:15], v10, s[10:11]
	v_mov_b32_e32 v1, s7
	s_mov_b64 s[4:5], 0
	s_waitcnt vmcnt(2)
	v_add_co_u32_e32 v3, vcc, 1, v8
	v_addc_co_u32_e32 v11, vcc, 0, v9, vcc
	v_add_co_u32_e32 v0, vcc, s6, v3
	v_addc_co_u32_e32 v1, vcc, v11, v1, vcc
	v_cmp_eq_u64_e32 vcc, 0, v[0:1]
	v_cndmask_b32_e32 v1, v1, v11, vcc
	v_cndmask_b32_e32 v0, v0, v3, vcc
	v_and_b32_e32 v3, v1, v9
	v_and_b32_e32 v8, v0, v8
	v_mul_lo_u32 v3, v3, 24
	v_mul_hi_u32 v9, v8, 24
	v_mul_lo_u32 v8, v8, 24
	v_add_u32_e32 v3, v9, v3
	s_waitcnt vmcnt(0)
	v_add_co_u32_e32 v8, vcc, v14, v8
	v_addc_co_u32_e32 v9, vcc, v15, v3, vcc
	v_mov_b32_e32 v2, v12
	global_store_dwordx2 v[8:9], v[12:13], off
	v_mov_b32_e32 v3, v13
	buffer_wbl2
	s_waitcnt vmcnt(0)
	global_atomic_cmpswap_x2 v[2:3], v10, v[0:3], s[10:11] offset:24 glc
	s_waitcnt vmcnt(0)
	v_cmp_ne_u64_e32 vcc, v[2:3], v[12:13]
	s_and_b64 exec, exec, vcc
	s_cbranch_execz .LBB1_251
.LBB1_250:                              ; =>This Inner Loop Header: Depth=1
	s_sleep 1
	global_store_dwordx2 v[8:9], v[2:3], off
	buffer_wbl2
	s_waitcnt vmcnt(0)
	global_atomic_cmpswap_x2 v[12:13], v10, v[0:3], s[10:11] offset:24 glc
	s_waitcnt vmcnt(0)
	v_cmp_eq_u64_e32 vcc, v[12:13], v[2:3]
	s_or_b64 s[4:5], vcc, s[4:5]
	v_pk_mov_b32 v[2:3], v[12:13], v[12:13] op_sel:[0,1]
	s_andn2_b64 exec, exec, s[4:5]
	s_cbranch_execnz .LBB1_250
.LBB1_251:
	s_or_b64 exec, exec, s[12:13]
.LBB1_252:
	v_readfirstlane_b32 s4, v37
	v_cmp_eq_u32_e64 s[4:5], s4, v37
	v_pk_mov_b32 v[10:11], 0, 0
	s_and_saveexec_b64 s[6:7], s[4:5]
	s_cbranch_execz .LBB1_258
; %bb.253:
	s_waitcnt vmcnt(0)
	v_mov_b32_e32 v0, 0
	global_load_dwordx2 v[12:13], v0, s[10:11] offset:24 glc
	s_waitcnt vmcnt(0)
	buffer_invl2
	buffer_wbinvl1_vol
	global_load_dwordx2 v[2:3], v0, s[10:11] offset:40
	global_load_dwordx2 v[8:9], v0, s[10:11]
	s_waitcnt vmcnt(1)
	v_and_b32_e32 v1, v2, v12
	v_and_b32_e32 v2, v3, v13
	v_mul_lo_u32 v2, v2, 24
	v_mul_hi_u32 v3, v1, 24
	v_mul_lo_u32 v1, v1, 24
	v_add_u32_e32 v3, v3, v2
	s_waitcnt vmcnt(0)
	v_add_co_u32_e32 v2, vcc, v8, v1
	v_addc_co_u32_e32 v3, vcc, v9, v3, vcc
	global_load_dwordx2 v[10:11], v[2:3], off glc
	s_waitcnt vmcnt(0)
	global_atomic_cmpswap_x2 v[10:11], v0, v[10:13], s[10:11] offset:24 glc
	s_waitcnt vmcnt(0)
	buffer_invl2
	buffer_wbinvl1_vol
	v_cmp_ne_u64_e32 vcc, v[10:11], v[12:13]
	s_and_saveexec_b64 s[12:13], vcc
	s_cbranch_execz .LBB1_257
; %bb.254:
	s_mov_b64 s[14:15], 0
.LBB1_255:                              ; =>This Inner Loop Header: Depth=1
	s_sleep 1
	global_load_dwordx2 v[2:3], v0, s[10:11] offset:40
	global_load_dwordx2 v[8:9], v0, s[10:11]
	v_pk_mov_b32 v[12:13], v[10:11], v[10:11] op_sel:[0,1]
	s_waitcnt vmcnt(1)
	v_and_b32_e32 v2, v2, v12
	v_and_b32_e32 v1, v3, v13
	s_waitcnt vmcnt(0)
	v_mad_u64_u32 v[2:3], s[16:17], v2, 24, v[8:9]
	v_mov_b32_e32 v8, v3
	v_mad_u64_u32 v[8:9], s[16:17], v1, 24, v[8:9]
	v_mov_b32_e32 v3, v8
	global_load_dwordx2 v[10:11], v[2:3], off glc
	s_waitcnt vmcnt(0)
	global_atomic_cmpswap_x2 v[10:11], v0, v[10:13], s[10:11] offset:24 glc
	s_waitcnt vmcnt(0)
	buffer_invl2
	buffer_wbinvl1_vol
	v_cmp_eq_u64_e32 vcc, v[10:11], v[12:13]
	s_or_b64 s[14:15], vcc, s[14:15]
	s_andn2_b64 exec, exec, s[14:15]
	s_cbranch_execnz .LBB1_255
; %bb.256:
	s_or_b64 exec, exec, s[14:15]
.LBB1_257:
	s_or_b64 exec, exec, s[12:13]
.LBB1_258:
	s_or_b64 exec, exec, s[6:7]
	s_waitcnt vmcnt(0)
	v_mov_b32_e32 v9, 0
	global_load_dwordx2 v[12:13], v9, s[10:11] offset:40
	global_load_dwordx4 v[0:3], v9, s[10:11]
	v_readfirstlane_b32 s6, v10
	v_readfirstlane_b32 s7, v11
	s_mov_b64 s[12:13], exec
	s_waitcnt vmcnt(1)
	v_readfirstlane_b32 s14, v12
	v_readfirstlane_b32 s15, v13
	s_and_b64 s[14:15], s[6:7], s[14:15]
	s_mul_i32 s16, s15, 24
	s_mul_hi_u32 s17, s14, 24
	s_mul_i32 s18, s14, 24
	s_add_i32 s16, s17, s16
	v_mov_b32_e32 v8, s16
	s_waitcnt vmcnt(0)
	v_add_co_u32_e32 v10, vcc, s18, v0
	v_addc_co_u32_e32 v11, vcc, v1, v8, vcc
	s_and_saveexec_b64 s[16:17], s[4:5]
	s_cbranch_execz .LBB1_260
; %bb.259:
	v_pk_mov_b32 v[12:13], s[12:13], s[12:13] op_sel:[0,1]
	v_mov_b32_e32 v14, 2
	v_mov_b32_e32 v15, 1
	global_store_dwordx4 v[10:11], v[12:15], off offset:8
.LBB1_260:
	s_or_b64 exec, exec, s[16:17]
	s_lshl_b64 s[12:13], s[14:15], 12
	v_mov_b32_e32 v8, s13
	v_add_co_u32_e32 v2, vcc, s12, v2
	s_movk_i32 s12, 0xff1f
	v_addc_co_u32_e32 v3, vcc, v3, v8, vcc
	v_and_or_b32 v6, v6, s12, 32
	s_mov_b32 s12, 0
	v_mov_b32_e32 v8, 0x331
	v_readfirstlane_b32 s16, v2
	v_readfirstlane_b32 s17, v3
	s_mov_b32 s13, s12
	v_add_co_u32_e32 v12, vcc, v2, v36
	s_mov_b32 s14, s12
	s_mov_b32 s15, s12
	s_nop 0
	global_store_dwordx4 v36, v[6:9], s[16:17]
	v_addc_co_u32_e32 v13, vcc, 0, v3, vcc
	v_pk_mov_b32 v[6:7], s[12:13], s[12:13] op_sel:[0,1]
	v_pk_mov_b32 v[8:9], s[14:15], s[14:15] op_sel:[0,1]
	global_store_dwordx4 v36, v[6:9], s[16:17] offset:16
	global_store_dwordx4 v36, v[6:9], s[16:17] offset:32
	;; [unrolled: 1-line block ×3, first 2 shown]
	s_and_saveexec_b64 s[12:13], s[4:5]
	s_cbranch_execz .LBB1_268
; %bb.261:
	v_mov_b32_e32 v8, 0
	global_load_dwordx2 v[16:17], v8, s[10:11] offset:32 glc
	global_load_dwordx2 v[2:3], v8, s[10:11] offset:40
	v_mov_b32_e32 v14, s6
	v_mov_b32_e32 v15, s7
	s_waitcnt vmcnt(0)
	v_readfirstlane_b32 s14, v2
	v_readfirstlane_b32 s15, v3
	s_and_b64 s[14:15], s[14:15], s[6:7]
	s_mul_i32 s15, s15, 24
	s_mul_hi_u32 s16, s14, 24
	s_mul_i32 s14, s14, 24
	s_add_i32 s15, s16, s15
	v_mov_b32_e32 v2, s15
	v_add_co_u32_e32 v6, vcc, s14, v0
	v_addc_co_u32_e32 v7, vcc, v1, v2, vcc
	global_store_dwordx2 v[6:7], v[16:17], off
	buffer_wbl2
	s_waitcnt vmcnt(0)
	global_atomic_cmpswap_x2 v[2:3], v8, v[14:17], s[10:11] offset:32 glc
	s_waitcnt vmcnt(0)
	v_cmp_ne_u64_e32 vcc, v[2:3], v[16:17]
	s_and_saveexec_b64 s[14:15], vcc
	s_cbranch_execz .LBB1_264
; %bb.262:
	s_mov_b64 s[16:17], 0
.LBB1_263:                              ; =>This Inner Loop Header: Depth=1
	s_sleep 1
	global_store_dwordx2 v[6:7], v[2:3], off
	v_mov_b32_e32 v0, s6
	v_mov_b32_e32 v1, s7
	buffer_wbl2
	s_waitcnt vmcnt(0)
	global_atomic_cmpswap_x2 v[0:1], v8, v[0:3], s[10:11] offset:32 glc
	s_waitcnt vmcnt(0)
	v_cmp_eq_u64_e32 vcc, v[0:1], v[2:3]
	s_or_b64 s[16:17], vcc, s[16:17]
	v_pk_mov_b32 v[2:3], v[0:1], v[0:1] op_sel:[0,1]
	s_andn2_b64 exec, exec, s[16:17]
	s_cbranch_execnz .LBB1_263
.LBB1_264:
	s_or_b64 exec, exec, s[14:15]
	v_mov_b32_e32 v3, 0
	global_load_dwordx2 v[0:1], v3, s[10:11] offset:16
	s_mov_b64 s[14:15], exec
	v_mbcnt_lo_u32_b32 v2, s14, 0
	v_mbcnt_hi_u32_b32 v2, s15, v2
	v_cmp_eq_u32_e32 vcc, 0, v2
	s_and_saveexec_b64 s[16:17], vcc
	s_cbranch_execz .LBB1_266
; %bb.265:
	s_bcnt1_i32_b64 s14, s[14:15]
	v_mov_b32_e32 v2, s14
	buffer_wbl2
	s_waitcnt vmcnt(0)
	global_atomic_add_x2 v[0:1], v[2:3], off offset:8
.LBB1_266:
	s_or_b64 exec, exec, s[16:17]
	s_waitcnt vmcnt(0)
	global_load_dwordx2 v[2:3], v[0:1], off offset:16
	s_waitcnt vmcnt(0)
	v_cmp_eq_u64_e32 vcc, 0, v[2:3]
	s_cbranch_vccnz .LBB1_268
; %bb.267:
	global_load_dword v0, v[0:1], off offset:24
	v_mov_b32_e32 v1, 0
	buffer_wbl2
	s_waitcnt vmcnt(0)
	global_store_dwordx2 v[2:3], v[0:1], off
	v_and_b32_e32 v0, 0xffffff, v0
	v_readfirstlane_b32 m0, v0
	s_sendmsg sendmsg(MSG_INTERRUPT)
.LBB1_268:
	s_or_b64 exec, exec, s[12:13]
	s_branch .LBB1_272
.LBB1_269:                              ;   in Loop: Header=BB1_272 Depth=1
	s_or_b64 exec, exec, s[12:13]
	v_readfirstlane_b32 s12, v0
	s_cmp_eq_u32 s12, 0
	s_cbranch_scc1 .LBB1_271
; %bb.270:                              ;   in Loop: Header=BB1_272 Depth=1
	s_sleep 1
	s_cbranch_execnz .LBB1_272
	s_branch .LBB1_274
.LBB1_271:
	s_branch .LBB1_274
.LBB1_272:                              ; =>This Inner Loop Header: Depth=1
	v_mov_b32_e32 v0, 1
	s_and_saveexec_b64 s[12:13], s[4:5]
	s_cbranch_execz .LBB1_269
; %bb.273:                              ;   in Loop: Header=BB1_272 Depth=1
	global_load_dword v0, v[10:11], off offset:20 glc
	s_waitcnt vmcnt(0)
	buffer_invl2
	buffer_wbinvl1_vol
	v_and_b32_e32 v0, 1, v0
	s_branch .LBB1_269
.LBB1_274:
	global_load_dwordx2 v[0:1], v[12:13], off
	s_and_saveexec_b64 s[12:13], s[4:5]
	s_cbranch_execz .LBB1_277
; %bb.275:
	v_mov_b32_e32 v10, 0
	global_load_dwordx2 v[2:3], v10, s[10:11] offset:40
	global_load_dwordx2 v[12:13], v10, s[10:11] offset:24 glc
	global_load_dwordx2 v[14:15], v10, s[10:11]
	v_mov_b32_e32 v7, s7
	s_mov_b64 s[4:5], 0
	s_waitcnt vmcnt(2)
	v_add_co_u32_e32 v9, vcc, 1, v2
	v_addc_co_u32_e32 v11, vcc, 0, v3, vcc
	v_add_co_u32_e32 v6, vcc, s6, v9
	v_addc_co_u32_e32 v7, vcc, v11, v7, vcc
	v_cmp_eq_u64_e32 vcc, 0, v[6:7]
	v_cndmask_b32_e32 v7, v7, v11, vcc
	v_cndmask_b32_e32 v6, v6, v9, vcc
	v_and_b32_e32 v3, v7, v3
	v_and_b32_e32 v2, v6, v2
	v_mul_lo_u32 v3, v3, 24
	v_mul_hi_u32 v9, v2, 24
	v_mul_lo_u32 v2, v2, 24
	v_add_u32_e32 v3, v9, v3
	s_waitcnt vmcnt(0)
	v_add_co_u32_e32 v2, vcc, v14, v2
	v_addc_co_u32_e32 v3, vcc, v15, v3, vcc
	v_mov_b32_e32 v8, v12
	global_store_dwordx2 v[2:3], v[12:13], off
	v_mov_b32_e32 v9, v13
	buffer_wbl2
	s_waitcnt vmcnt(0)
	global_atomic_cmpswap_x2 v[8:9], v10, v[6:9], s[10:11] offset:24 glc
	s_waitcnt vmcnt(0)
	v_cmp_ne_u64_e32 vcc, v[8:9], v[12:13]
	s_and_b64 exec, exec, vcc
	s_cbranch_execz .LBB1_277
.LBB1_276:                              ; =>This Inner Loop Header: Depth=1
	s_sleep 1
	global_store_dwordx2 v[2:3], v[8:9], off
	buffer_wbl2
	s_waitcnt vmcnt(0)
	global_atomic_cmpswap_x2 v[12:13], v10, v[6:9], s[10:11] offset:24 glc
	s_waitcnt vmcnt(0)
	v_cmp_eq_u64_e32 vcc, v[12:13], v[8:9]
	s_or_b64 s[4:5], vcc, s[4:5]
	v_pk_mov_b32 v[8:9], v[12:13], v[12:13] op_sel:[0,1]
	s_andn2_b64 exec, exec, s[4:5]
	s_cbranch_execnz .LBB1_276
.LBB1_277:
	s_or_b64 exec, exec, s[12:13]
	s_mov_b64 s[4:5], 0
	v_pk_mov_b32 v[6:7], v[4:5], v[4:5] op_sel:[0,1]
.LBB1_278:                              ; =>This Inner Loop Header: Depth=1
	flat_load_ubyte v8, v[6:7]
	v_add_co_u32_e32 v2, vcc, 1, v6
	v_addc_co_u32_e32 v3, vcc, 0, v7, vcc
	v_pk_mov_b32 v[6:7], v[2:3], v[2:3] op_sel:[0,1]
	s_waitcnt vmcnt(0) lgkmcnt(0)
	v_cmp_eq_u16_e32 vcc, 0, v8
	s_or_b64 s[4:5], vcc, s[4:5]
	s_andn2_b64 exec, exec, s[4:5]
	s_cbranch_execnz .LBB1_278
; %bb.279:
	s_or_b64 exec, exec, s[4:5]
	s_mov_b64 s[6:7], 0
	v_cmp_ne_u64_e32 vcc, 0, v[4:5]
	s_and_saveexec_b64 s[4:5], vcc
	s_xor_b64 s[12:13], exec, s[4:5]
	s_cbranch_execz .LBB1_365
; %bb.280:
	v_sub_u32_e32 v26, v2, v4
	v_ashrrev_i32_e32 v27, 31, v26
	v_and_b32_e32 v28, 2, v0
	v_mov_b32_e32 v31, 0
	v_and_b32_e32 v0, -3, v0
	s_mov_b32 s22, 0
	s_movk_i32 s23, 0xff1f
	v_mov_b32_e32 v8, 2
	v_mov_b32_e32 v9, 1
	s_branch .LBB1_282
.LBB1_281:                              ;   in Loop: Header=BB1_282 Depth=1
	s_or_b64 exec, exec, s[16:17]
	v_sub_co_u32_e32 v26, vcc, v26, v32
	v_subb_co_u32_e32 v27, vcc, v27, v33, vcc
	v_cmp_eq_u64_e32 vcc, 0, v[26:27]
	s_or_b64 s[6:7], vcc, s[6:7]
	v_add_co_u32_e32 v4, vcc, v4, v32
	v_addc_co_u32_e32 v5, vcc, v5, v33, vcc
	s_andn2_b64 exec, exec, s[6:7]
	s_cbranch_execz .LBB1_364
.LBB1_282:                              ; =>This Loop Header: Depth=1
                                        ;     Child Loop BB1_285 Depth 2
                                        ;     Child Loop BB1_293 Depth 2
                                        ;     Child Loop BB1_301 Depth 2
                                        ;     Child Loop BB1_309 Depth 2
                                        ;     Child Loop BB1_317 Depth 2
                                        ;     Child Loop BB1_325 Depth 2
                                        ;     Child Loop BB1_333 Depth 2
                                        ;     Child Loop BB1_341 Depth 2
                                        ;     Child Loop BB1_349 Depth 2
                                        ;     Child Loop BB1_358 Depth 2
                                        ;     Child Loop BB1_363 Depth 2
	v_cmp_gt_u64_e32 vcc, 56, v[26:27]
	v_cndmask_b32_e32 v33, 0, v27, vcc
	v_cndmask_b32_e32 v32, 56, v26, vcc
	v_cmp_gt_u64_e32 vcc, 8, v[26:27]
                                        ; implicit-def: $vgpr2_vgpr3
                                        ; implicit-def: $sgpr14
	s_and_saveexec_b64 s[4:5], vcc
	s_xor_b64 s[4:5], exec, s[4:5]
	s_cbranch_execz .LBB1_288
; %bb.283:                              ;   in Loop: Header=BB1_282 Depth=1
	s_mov_b64 s[16:17], 0
	v_cmp_ne_u64_e32 vcc, 0, v[26:27]
	s_waitcnt vmcnt(0)
	v_pk_mov_b32 v[2:3], 0, 0
	s_and_saveexec_b64 s[14:15], vcc
	s_cbranch_execz .LBB1_287
; %bb.284:                              ;   in Loop: Header=BB1_282 Depth=1
	v_lshlrev_b64 v[6:7], 3, v[32:33]
	v_pk_mov_b32 v[2:3], 0, 0
	v_pk_mov_b32 v[10:11], v[4:5], v[4:5] op_sel:[0,1]
	s_mov_b64 s[18:19], 0
.LBB1_285:                              ;   Parent Loop BB1_282 Depth=1
                                        ; =>  This Inner Loop Header: Depth=2
	flat_load_ubyte v7, v[10:11]
	v_mov_b32_e32 v13, s22
	v_add_co_u32_e32 v10, vcc, 1, v10
	v_addc_co_u32_e32 v11, vcc, 0, v11, vcc
	s_waitcnt vmcnt(0) lgkmcnt(0)
	v_and_b32_e32 v12, 0xffff, v7
	v_lshlrev_b64 v[12:13], s18, v[12:13]
	s_add_u32 s18, s18, 8
	s_addc_u32 s19, s19, 0
	v_cmp_eq_u32_e32 vcc, s18, v6
	v_or_b32_e32 v3, v13, v3
	s_or_b64 s[16:17], vcc, s[16:17]
	v_or_b32_e32 v2, v12, v2
	s_andn2_b64 exec, exec, s[16:17]
	s_cbranch_execnz .LBB1_285
; %bb.286:                              ;   in Loop: Header=BB1_282 Depth=1
	s_or_b64 exec, exec, s[16:17]
.LBB1_287:                              ;   in Loop: Header=BB1_282 Depth=1
	s_or_b64 exec, exec, s[14:15]
	s_mov_b32 s14, 0
.LBB1_288:                              ;   in Loop: Header=BB1_282 Depth=1
	s_or_saveexec_b64 s[4:5], s[4:5]
	v_mov_b32_e32 v12, s14
	v_pk_mov_b32 v[6:7], v[4:5], v[4:5] op_sel:[0,1]
	s_xor_b64 exec, exec, s[4:5]
	s_cbranch_execz .LBB1_290
; %bb.289:                              ;   in Loop: Header=BB1_282 Depth=1
	s_waitcnt vmcnt(0)
	flat_load_dwordx2 v[2:3], v[4:5]
	v_add_u32_e32 v12, -8, v32
	s_waitcnt vmcnt(0) lgkmcnt(0)
	v_and_b32_e32 v6, 0xff, v3
	v_and_b32_e32 v7, 0xff00, v3
	;; [unrolled: 1-line block ×4, first 2 shown]
	v_or_b32_e32 v6, v6, v7
	v_or3_b32 v3, v6, v10, v3
	v_add_co_u32_e32 v6, vcc, 8, v4
	v_or3_b32 v2, v2, 0, 0
	v_addc_co_u32_e32 v7, vcc, 0, v5, vcc
.LBB1_290:                              ;   in Loop: Header=BB1_282 Depth=1
	s_or_b64 exec, exec, s[4:5]
	v_cmp_gt_u32_e32 vcc, 8, v12
                                        ; implicit-def: $vgpr10_vgpr11
                                        ; implicit-def: $sgpr14
	s_and_saveexec_b64 s[4:5], vcc
	s_xor_b64 s[4:5], exec, s[4:5]
	s_cbranch_execz .LBB1_296
; %bb.291:                              ;   in Loop: Header=BB1_282 Depth=1
	v_cmp_ne_u32_e32 vcc, 0, v12
	v_pk_mov_b32 v[10:11], 0, 0
	s_and_saveexec_b64 s[14:15], vcc
	s_cbranch_execz .LBB1_295
; %bb.292:                              ;   in Loop: Header=BB1_282 Depth=1
	s_mov_b64 s[16:17], 0
	v_pk_mov_b32 v[10:11], 0, 0
	s_mov_b64 s[18:19], 0
	s_mov_b64 s[20:21], 0
.LBB1_293:                              ;   Parent Loop BB1_282 Depth=1
                                        ; =>  This Inner Loop Header: Depth=2
	v_mov_b32_e32 v13, s21
	v_add_co_u32_e32 v14, vcc, s20, v6
	v_addc_co_u32_e32 v15, vcc, v7, v13, vcc
	flat_load_ubyte v13, v[14:15]
	s_add_u32 s20, s20, 1
	v_mov_b32_e32 v15, s22
	s_addc_u32 s21, s21, 0
	v_cmp_eq_u32_e32 vcc, s20, v12
	s_waitcnt vmcnt(0) lgkmcnt(0)
	v_and_b32_e32 v14, 0xffff, v13
	v_lshlrev_b64 v[14:15], s18, v[14:15]
	s_add_u32 s18, s18, 8
	s_addc_u32 s19, s19, 0
	v_or_b32_e32 v11, v15, v11
	s_or_b64 s[16:17], vcc, s[16:17]
	v_or_b32_e32 v10, v14, v10
	s_andn2_b64 exec, exec, s[16:17]
	s_cbranch_execnz .LBB1_293
; %bb.294:                              ;   in Loop: Header=BB1_282 Depth=1
	s_or_b64 exec, exec, s[16:17]
.LBB1_295:                              ;   in Loop: Header=BB1_282 Depth=1
	s_or_b64 exec, exec, s[14:15]
	s_mov_b32 s14, 0
                                        ; implicit-def: $vgpr12
.LBB1_296:                              ;   in Loop: Header=BB1_282 Depth=1
	s_or_saveexec_b64 s[4:5], s[4:5]
	v_mov_b32_e32 v14, s14
	s_xor_b64 exec, exec, s[4:5]
	s_cbranch_execz .LBB1_298
; %bb.297:                              ;   in Loop: Header=BB1_282 Depth=1
	flat_load_dwordx2 v[10:11], v[6:7]
	v_add_u32_e32 v14, -8, v12
	v_add_co_u32_e32 v6, vcc, 8, v6
	v_addc_co_u32_e32 v7, vcc, 0, v7, vcc
	s_waitcnt vmcnt(0) lgkmcnt(0)
	v_and_b32_e32 v12, 0xff, v11
	v_and_b32_e32 v13, 0xff00, v11
	;; [unrolled: 1-line block ×4, first 2 shown]
	v_or_b32_e32 v12, v12, v13
	v_or3_b32 v10, v10, 0, 0
	v_or3_b32 v11, v12, v15, v11
.LBB1_298:                              ;   in Loop: Header=BB1_282 Depth=1
	s_or_b64 exec, exec, s[4:5]
	v_cmp_gt_u32_e32 vcc, 8, v14
                                        ; implicit-def: $sgpr14
	s_and_saveexec_b64 s[4:5], vcc
	s_xor_b64 s[4:5], exec, s[4:5]
	s_cbranch_execz .LBB1_304
; %bb.299:                              ;   in Loop: Header=BB1_282 Depth=1
	v_cmp_ne_u32_e32 vcc, 0, v14
	v_pk_mov_b32 v[12:13], 0, 0
	s_and_saveexec_b64 s[14:15], vcc
	s_cbranch_execz .LBB1_303
; %bb.300:                              ;   in Loop: Header=BB1_282 Depth=1
	s_mov_b64 s[16:17], 0
	v_pk_mov_b32 v[12:13], 0, 0
	s_mov_b64 s[18:19], 0
	s_mov_b64 s[20:21], 0
.LBB1_301:                              ;   Parent Loop BB1_282 Depth=1
                                        ; =>  This Inner Loop Header: Depth=2
	v_mov_b32_e32 v15, s21
	v_add_co_u32_e32 v16, vcc, s20, v6
	v_addc_co_u32_e32 v17, vcc, v7, v15, vcc
	flat_load_ubyte v15, v[16:17]
	s_add_u32 s20, s20, 1
	v_mov_b32_e32 v17, s22
	s_addc_u32 s21, s21, 0
	v_cmp_eq_u32_e32 vcc, s20, v14
	s_waitcnt vmcnt(0) lgkmcnt(0)
	v_and_b32_e32 v16, 0xffff, v15
	v_lshlrev_b64 v[16:17], s18, v[16:17]
	s_add_u32 s18, s18, 8
	s_addc_u32 s19, s19, 0
	v_or_b32_e32 v13, v17, v13
	s_or_b64 s[16:17], vcc, s[16:17]
	v_or_b32_e32 v12, v16, v12
	s_andn2_b64 exec, exec, s[16:17]
	s_cbranch_execnz .LBB1_301
; %bb.302:                              ;   in Loop: Header=BB1_282 Depth=1
	s_or_b64 exec, exec, s[16:17]
.LBB1_303:                              ;   in Loop: Header=BB1_282 Depth=1
	s_or_b64 exec, exec, s[14:15]
	s_mov_b32 s14, 0
                                        ; implicit-def: $vgpr14
.LBB1_304:                              ;   in Loop: Header=BB1_282 Depth=1
	s_or_saveexec_b64 s[4:5], s[4:5]
	v_mov_b32_e32 v16, s14
	s_xor_b64 exec, exec, s[4:5]
	s_cbranch_execz .LBB1_306
; %bb.305:                              ;   in Loop: Header=BB1_282 Depth=1
	flat_load_dwordx2 v[12:13], v[6:7]
	v_add_u32_e32 v16, -8, v14
	v_add_co_u32_e32 v6, vcc, 8, v6
	v_addc_co_u32_e32 v7, vcc, 0, v7, vcc
	s_waitcnt vmcnt(0) lgkmcnt(0)
	v_and_b32_e32 v14, 0xff, v13
	v_and_b32_e32 v15, 0xff00, v13
	;; [unrolled: 1-line block ×4, first 2 shown]
	v_or_b32_e32 v14, v14, v15
	v_or3_b32 v12, v12, 0, 0
	v_or3_b32 v13, v14, v17, v13
.LBB1_306:                              ;   in Loop: Header=BB1_282 Depth=1
	s_or_b64 exec, exec, s[4:5]
	v_cmp_gt_u32_e32 vcc, 8, v16
                                        ; implicit-def: $vgpr14_vgpr15
                                        ; implicit-def: $sgpr14
	s_and_saveexec_b64 s[4:5], vcc
	s_xor_b64 s[4:5], exec, s[4:5]
	s_cbranch_execz .LBB1_312
; %bb.307:                              ;   in Loop: Header=BB1_282 Depth=1
	v_cmp_ne_u32_e32 vcc, 0, v16
	v_pk_mov_b32 v[14:15], 0, 0
	s_and_saveexec_b64 s[14:15], vcc
	s_cbranch_execz .LBB1_311
; %bb.308:                              ;   in Loop: Header=BB1_282 Depth=1
	s_mov_b64 s[16:17], 0
	v_pk_mov_b32 v[14:15], 0, 0
	s_mov_b64 s[18:19], 0
	s_mov_b64 s[20:21], 0
.LBB1_309:                              ;   Parent Loop BB1_282 Depth=1
                                        ; =>  This Inner Loop Header: Depth=2
	v_mov_b32_e32 v17, s21
	v_add_co_u32_e32 v18, vcc, s20, v6
	v_addc_co_u32_e32 v19, vcc, v7, v17, vcc
	flat_load_ubyte v17, v[18:19]
	s_add_u32 s20, s20, 1
	v_mov_b32_e32 v19, s22
	s_addc_u32 s21, s21, 0
	v_cmp_eq_u32_e32 vcc, s20, v16
	s_waitcnt vmcnt(0) lgkmcnt(0)
	v_and_b32_e32 v18, 0xffff, v17
	v_lshlrev_b64 v[18:19], s18, v[18:19]
	s_add_u32 s18, s18, 8
	s_addc_u32 s19, s19, 0
	v_or_b32_e32 v15, v19, v15
	s_or_b64 s[16:17], vcc, s[16:17]
	v_or_b32_e32 v14, v18, v14
	s_andn2_b64 exec, exec, s[16:17]
	s_cbranch_execnz .LBB1_309
; %bb.310:                              ;   in Loop: Header=BB1_282 Depth=1
	s_or_b64 exec, exec, s[16:17]
.LBB1_311:                              ;   in Loop: Header=BB1_282 Depth=1
	s_or_b64 exec, exec, s[14:15]
	s_mov_b32 s14, 0
                                        ; implicit-def: $vgpr16
.LBB1_312:                              ;   in Loop: Header=BB1_282 Depth=1
	s_or_saveexec_b64 s[4:5], s[4:5]
	v_mov_b32_e32 v18, s14
	s_xor_b64 exec, exec, s[4:5]
	s_cbranch_execz .LBB1_314
; %bb.313:                              ;   in Loop: Header=BB1_282 Depth=1
	flat_load_dwordx2 v[14:15], v[6:7]
	v_add_u32_e32 v18, -8, v16
	v_add_co_u32_e32 v6, vcc, 8, v6
	v_addc_co_u32_e32 v7, vcc, 0, v7, vcc
	s_waitcnt vmcnt(0) lgkmcnt(0)
	v_and_b32_e32 v16, 0xff, v15
	v_and_b32_e32 v17, 0xff00, v15
	;; [unrolled: 1-line block ×4, first 2 shown]
	v_or_b32_e32 v16, v16, v17
	v_or3_b32 v14, v14, 0, 0
	v_or3_b32 v15, v16, v19, v15
.LBB1_314:                              ;   in Loop: Header=BB1_282 Depth=1
	s_or_b64 exec, exec, s[4:5]
	v_cmp_gt_u32_e32 vcc, 8, v18
                                        ; implicit-def: $sgpr14
	s_and_saveexec_b64 s[4:5], vcc
	s_xor_b64 s[4:5], exec, s[4:5]
	s_cbranch_execz .LBB1_320
; %bb.315:                              ;   in Loop: Header=BB1_282 Depth=1
	v_cmp_ne_u32_e32 vcc, 0, v18
	v_pk_mov_b32 v[16:17], 0, 0
	s_and_saveexec_b64 s[14:15], vcc
	s_cbranch_execz .LBB1_319
; %bb.316:                              ;   in Loop: Header=BB1_282 Depth=1
	s_mov_b64 s[16:17], 0
	v_pk_mov_b32 v[16:17], 0, 0
	s_mov_b64 s[18:19], 0
	s_mov_b64 s[20:21], 0
.LBB1_317:                              ;   Parent Loop BB1_282 Depth=1
                                        ; =>  This Inner Loop Header: Depth=2
	v_mov_b32_e32 v19, s21
	v_add_co_u32_e32 v20, vcc, s20, v6
	v_addc_co_u32_e32 v21, vcc, v7, v19, vcc
	flat_load_ubyte v19, v[20:21]
	s_add_u32 s20, s20, 1
	v_mov_b32_e32 v21, s22
	s_addc_u32 s21, s21, 0
	v_cmp_eq_u32_e32 vcc, s20, v18
	s_waitcnt vmcnt(0) lgkmcnt(0)
	v_and_b32_e32 v20, 0xffff, v19
	v_lshlrev_b64 v[20:21], s18, v[20:21]
	s_add_u32 s18, s18, 8
	s_addc_u32 s19, s19, 0
	v_or_b32_e32 v17, v21, v17
	s_or_b64 s[16:17], vcc, s[16:17]
	v_or_b32_e32 v16, v20, v16
	s_andn2_b64 exec, exec, s[16:17]
	s_cbranch_execnz .LBB1_317
; %bb.318:                              ;   in Loop: Header=BB1_282 Depth=1
	s_or_b64 exec, exec, s[16:17]
.LBB1_319:                              ;   in Loop: Header=BB1_282 Depth=1
	s_or_b64 exec, exec, s[14:15]
	s_mov_b32 s14, 0
                                        ; implicit-def: $vgpr18
.LBB1_320:                              ;   in Loop: Header=BB1_282 Depth=1
	s_or_saveexec_b64 s[4:5], s[4:5]
	v_mov_b32_e32 v20, s14
	s_xor_b64 exec, exec, s[4:5]
	s_cbranch_execz .LBB1_322
; %bb.321:                              ;   in Loop: Header=BB1_282 Depth=1
	flat_load_dwordx2 v[16:17], v[6:7]
	v_add_u32_e32 v20, -8, v18
	v_add_co_u32_e32 v6, vcc, 8, v6
	v_addc_co_u32_e32 v7, vcc, 0, v7, vcc
	s_waitcnt vmcnt(0) lgkmcnt(0)
	v_and_b32_e32 v18, 0xff, v17
	v_and_b32_e32 v19, 0xff00, v17
	;; [unrolled: 1-line block ×4, first 2 shown]
	v_or_b32_e32 v18, v18, v19
	v_or3_b32 v16, v16, 0, 0
	v_or3_b32 v17, v18, v21, v17
.LBB1_322:                              ;   in Loop: Header=BB1_282 Depth=1
	s_or_b64 exec, exec, s[4:5]
	v_cmp_gt_u32_e32 vcc, 8, v20
                                        ; implicit-def: $vgpr18_vgpr19
                                        ; implicit-def: $sgpr14
	s_and_saveexec_b64 s[4:5], vcc
	s_xor_b64 s[4:5], exec, s[4:5]
	s_cbranch_execz .LBB1_328
; %bb.323:                              ;   in Loop: Header=BB1_282 Depth=1
	v_cmp_ne_u32_e32 vcc, 0, v20
	v_pk_mov_b32 v[18:19], 0, 0
	s_and_saveexec_b64 s[14:15], vcc
	s_cbranch_execz .LBB1_327
; %bb.324:                              ;   in Loop: Header=BB1_282 Depth=1
	s_mov_b64 s[16:17], 0
	v_pk_mov_b32 v[18:19], 0, 0
	s_mov_b64 s[18:19], 0
	s_mov_b64 s[20:21], 0
.LBB1_325:                              ;   Parent Loop BB1_282 Depth=1
                                        ; =>  This Inner Loop Header: Depth=2
	v_mov_b32_e32 v21, s21
	v_add_co_u32_e32 v22, vcc, s20, v6
	v_addc_co_u32_e32 v23, vcc, v7, v21, vcc
	flat_load_ubyte v21, v[22:23]
	s_add_u32 s20, s20, 1
	v_mov_b32_e32 v23, s22
	s_addc_u32 s21, s21, 0
	v_cmp_eq_u32_e32 vcc, s20, v20
	s_waitcnt vmcnt(0) lgkmcnt(0)
	v_and_b32_e32 v22, 0xffff, v21
	v_lshlrev_b64 v[22:23], s18, v[22:23]
	s_add_u32 s18, s18, 8
	s_addc_u32 s19, s19, 0
	v_or_b32_e32 v19, v23, v19
	s_or_b64 s[16:17], vcc, s[16:17]
	v_or_b32_e32 v18, v22, v18
	s_andn2_b64 exec, exec, s[16:17]
	s_cbranch_execnz .LBB1_325
; %bb.326:                              ;   in Loop: Header=BB1_282 Depth=1
	s_or_b64 exec, exec, s[16:17]
.LBB1_327:                              ;   in Loop: Header=BB1_282 Depth=1
	s_or_b64 exec, exec, s[14:15]
	s_mov_b32 s14, 0
                                        ; implicit-def: $vgpr20
.LBB1_328:                              ;   in Loop: Header=BB1_282 Depth=1
	s_or_saveexec_b64 s[4:5], s[4:5]
	v_mov_b32_e32 v22, s14
	s_xor_b64 exec, exec, s[4:5]
	s_cbranch_execz .LBB1_330
; %bb.329:                              ;   in Loop: Header=BB1_282 Depth=1
	flat_load_dwordx2 v[18:19], v[6:7]
	v_add_u32_e32 v22, -8, v20
	v_add_co_u32_e32 v6, vcc, 8, v6
	v_addc_co_u32_e32 v7, vcc, 0, v7, vcc
	s_waitcnt vmcnt(0) lgkmcnt(0)
	v_and_b32_e32 v20, 0xff, v19
	v_and_b32_e32 v21, 0xff00, v19
	;; [unrolled: 1-line block ×4, first 2 shown]
	v_or_b32_e32 v20, v20, v21
	v_or3_b32 v18, v18, 0, 0
	v_or3_b32 v19, v20, v23, v19
.LBB1_330:                              ;   in Loop: Header=BB1_282 Depth=1
	s_or_b64 exec, exec, s[4:5]
	v_cmp_gt_u32_e32 vcc, 8, v22
	s_and_saveexec_b64 s[4:5], vcc
	s_xor_b64 s[4:5], exec, s[4:5]
	s_cbranch_execz .LBB1_336
; %bb.331:                              ;   in Loop: Header=BB1_282 Depth=1
	v_cmp_ne_u32_e32 vcc, 0, v22
	v_pk_mov_b32 v[20:21], 0, 0
	s_and_saveexec_b64 s[14:15], vcc
	s_cbranch_execz .LBB1_335
; %bb.332:                              ;   in Loop: Header=BB1_282 Depth=1
	s_mov_b64 s[16:17], 0
	v_pk_mov_b32 v[20:21], 0, 0
	s_mov_b64 s[18:19], 0
.LBB1_333:                              ;   Parent Loop BB1_282 Depth=1
                                        ; =>  This Inner Loop Header: Depth=2
	flat_load_ubyte v23, v[6:7]
	v_mov_b32_e32 v25, s22
	v_add_co_u32_e32 v6, vcc, 1, v6
	v_add_u32_e32 v22, -1, v22
	v_addc_co_u32_e32 v7, vcc, 0, v7, vcc
	v_cmp_eq_u32_e32 vcc, 0, v22
	s_waitcnt vmcnt(0) lgkmcnt(0)
	v_and_b32_e32 v24, 0xffff, v23
	v_lshlrev_b64 v[24:25], s18, v[24:25]
	s_add_u32 s18, s18, 8
	s_addc_u32 s19, s19, 0
	v_or_b32_e32 v21, v25, v21
	s_or_b64 s[16:17], vcc, s[16:17]
	v_or_b32_e32 v20, v24, v20
	s_andn2_b64 exec, exec, s[16:17]
	s_cbranch_execnz .LBB1_333
; %bb.334:                              ;   in Loop: Header=BB1_282 Depth=1
	s_or_b64 exec, exec, s[16:17]
.LBB1_335:                              ;   in Loop: Header=BB1_282 Depth=1
	s_or_b64 exec, exec, s[14:15]
                                        ; implicit-def: $vgpr6_vgpr7
.LBB1_336:                              ;   in Loop: Header=BB1_282 Depth=1
	s_andn2_saveexec_b64 s[4:5], s[4:5]
	s_cbranch_execz .LBB1_338
; %bb.337:                              ;   in Loop: Header=BB1_282 Depth=1
	flat_load_dwordx2 v[6:7], v[6:7]
	s_waitcnt vmcnt(0) lgkmcnt(0)
	v_and_b32_e32 v20, 0xff, v7
	v_and_b32_e32 v21, 0xff00, v7
	;; [unrolled: 1-line block ×4, first 2 shown]
	v_or_b32_e32 v20, v20, v21
	v_or3_b32 v21, v20, v22, v7
	v_or3_b32 v20, v6, 0, 0
.LBB1_338:                              ;   in Loop: Header=BB1_282 Depth=1
	s_or_b64 exec, exec, s[4:5]
	v_readfirstlane_b32 s4, v37
	v_cmp_eq_u32_e64 s[4:5], s4, v37
	v_pk_mov_b32 v[6:7], 0, 0
	s_and_saveexec_b64 s[14:15], s[4:5]
	s_cbranch_execz .LBB1_344
; %bb.339:                              ;   in Loop: Header=BB1_282 Depth=1
	global_load_dwordx2 v[24:25], v31, s[10:11] offset:24 glc
	s_waitcnt vmcnt(0)
	buffer_invl2
	buffer_wbinvl1_vol
	global_load_dwordx2 v[6:7], v31, s[10:11] offset:40
	global_load_dwordx2 v[22:23], v31, s[10:11]
	s_waitcnt vmcnt(1)
	v_and_b32_e32 v6, v6, v24
	v_and_b32_e32 v7, v7, v25
	v_mul_lo_u32 v7, v7, 24
	v_mul_hi_u32 v29, v6, 24
	v_mul_lo_u32 v6, v6, 24
	v_add_u32_e32 v7, v29, v7
	s_waitcnt vmcnt(0)
	v_add_co_u32_e32 v6, vcc, v22, v6
	v_addc_co_u32_e32 v7, vcc, v23, v7, vcc
	global_load_dwordx2 v[22:23], v[6:7], off glc
	s_waitcnt vmcnt(0)
	global_atomic_cmpswap_x2 v[6:7], v31, v[22:25], s[10:11] offset:24 glc
	s_waitcnt vmcnt(0)
	buffer_invl2
	buffer_wbinvl1_vol
	v_cmp_ne_u64_e32 vcc, v[6:7], v[24:25]
	s_and_saveexec_b64 s[16:17], vcc
	s_cbranch_execz .LBB1_343
; %bb.340:                              ;   in Loop: Header=BB1_282 Depth=1
	s_mov_b64 s[18:19], 0
.LBB1_341:                              ;   Parent Loop BB1_282 Depth=1
                                        ; =>  This Inner Loop Header: Depth=2
	s_sleep 1
	global_load_dwordx2 v[22:23], v31, s[10:11] offset:40
	global_load_dwordx2 v[34:35], v31, s[10:11]
	v_pk_mov_b32 v[24:25], v[6:7], v[6:7] op_sel:[0,1]
	s_waitcnt vmcnt(1)
	v_and_b32_e32 v6, v22, v24
	s_waitcnt vmcnt(0)
	v_mad_u64_u32 v[6:7], s[20:21], v6, 24, v[34:35]
	v_and_b32_e32 v23, v23, v25
	v_mov_b32_e32 v22, v7
	v_mad_u64_u32 v[22:23], s[20:21], v23, 24, v[22:23]
	v_mov_b32_e32 v7, v22
	global_load_dwordx2 v[22:23], v[6:7], off glc
	s_waitcnt vmcnt(0)
	global_atomic_cmpswap_x2 v[6:7], v31, v[22:25], s[10:11] offset:24 glc
	s_waitcnt vmcnt(0)
	buffer_invl2
	buffer_wbinvl1_vol
	v_cmp_eq_u64_e32 vcc, v[6:7], v[24:25]
	s_or_b64 s[18:19], vcc, s[18:19]
	s_andn2_b64 exec, exec, s[18:19]
	s_cbranch_execnz .LBB1_341
; %bb.342:                              ;   in Loop: Header=BB1_282 Depth=1
	s_or_b64 exec, exec, s[18:19]
.LBB1_343:                              ;   in Loop: Header=BB1_282 Depth=1
	s_or_b64 exec, exec, s[16:17]
.LBB1_344:                              ;   in Loop: Header=BB1_282 Depth=1
	s_or_b64 exec, exec, s[14:15]
	global_load_dwordx2 v[34:35], v31, s[10:11] offset:40
	global_load_dwordx4 v[22:25], v31, s[10:11]
	v_readfirstlane_b32 s14, v6
	v_readfirstlane_b32 s15, v7
	s_mov_b64 s[16:17], exec
	s_waitcnt vmcnt(1)
	v_readfirstlane_b32 s18, v34
	v_readfirstlane_b32 s19, v35
	s_and_b64 s[18:19], s[14:15], s[18:19]
	s_mul_i32 s20, s19, 24
	s_mul_hi_u32 s21, s18, 24
	s_mul_i32 s24, s18, 24
	s_add_i32 s20, s21, s20
	v_mov_b32_e32 v6, s20
	s_waitcnt vmcnt(0)
	v_add_co_u32_e32 v34, vcc, s24, v22
	v_addc_co_u32_e32 v35, vcc, v23, v6, vcc
	s_and_saveexec_b64 s[20:21], s[4:5]
	s_cbranch_execz .LBB1_346
; %bb.345:                              ;   in Loop: Header=BB1_282 Depth=1
	v_pk_mov_b32 v[6:7], s[16:17], s[16:17] op_sel:[0,1]
	global_store_dwordx4 v[34:35], v[6:9], off offset:8
.LBB1_346:                              ;   in Loop: Header=BB1_282 Depth=1
	s_or_b64 exec, exec, s[20:21]
	s_lshl_b64 s[16:17], s[18:19], 12
	v_mov_b32_e32 v7, s17
	v_add_co_u32_e32 v6, vcc, s16, v24
	v_addc_co_u32_e32 v7, vcc, v25, v7, vcc
	v_or_b32_e32 v24, 0, v1
	v_cmp_lt_u64_e32 vcc, 56, v[26:27]
	v_or_b32_e32 v25, v0, v28
	v_cndmask_b32_e32 v1, v24, v1, vcc
	v_lshl_add_u32 v24, v32, 2, 28
	v_cndmask_b32_e32 v0, v25, v0, vcc
	v_and_b32_e32 v24, 0x1e0, v24
	v_and_or_b32 v0, v0, s23, v24
	v_readfirstlane_b32 s16, v6
	v_readfirstlane_b32 s17, v7
	s_nop 4
	global_store_dwordx4 v36, v[0:3], s[16:17]
	global_store_dwordx4 v36, v[10:13], s[16:17] offset:16
	global_store_dwordx4 v36, v[14:17], s[16:17] offset:32
	;; [unrolled: 1-line block ×3, first 2 shown]
	s_and_saveexec_b64 s[16:17], s[4:5]
	s_cbranch_execz .LBB1_354
; %bb.347:                              ;   in Loop: Header=BB1_282 Depth=1
	global_load_dwordx2 v[14:15], v31, s[10:11] offset:32 glc
	global_load_dwordx2 v[0:1], v31, s[10:11] offset:40
	v_mov_b32_e32 v12, s14
	v_mov_b32_e32 v13, s15
	s_waitcnt vmcnt(0)
	v_readfirstlane_b32 s18, v0
	v_readfirstlane_b32 s19, v1
	s_and_b64 s[18:19], s[18:19], s[14:15]
	s_mul_i32 s19, s19, 24
	s_mul_hi_u32 s20, s18, 24
	s_mul_i32 s18, s18, 24
	s_add_i32 s19, s20, s19
	v_mov_b32_e32 v0, s19
	v_add_co_u32_e32 v10, vcc, s18, v22
	v_addc_co_u32_e32 v11, vcc, v23, v0, vcc
	global_store_dwordx2 v[10:11], v[14:15], off
	buffer_wbl2
	s_waitcnt vmcnt(0)
	global_atomic_cmpswap_x2 v[2:3], v31, v[12:15], s[10:11] offset:32 glc
	s_waitcnt vmcnt(0)
	v_cmp_ne_u64_e32 vcc, v[2:3], v[14:15]
	s_and_saveexec_b64 s[18:19], vcc
	s_cbranch_execz .LBB1_350
; %bb.348:                              ;   in Loop: Header=BB1_282 Depth=1
	s_mov_b64 s[20:21], 0
.LBB1_349:                              ;   Parent Loop BB1_282 Depth=1
                                        ; =>  This Inner Loop Header: Depth=2
	s_sleep 1
	global_store_dwordx2 v[10:11], v[2:3], off
	v_mov_b32_e32 v0, s14
	v_mov_b32_e32 v1, s15
	buffer_wbl2
	s_waitcnt vmcnt(0)
	global_atomic_cmpswap_x2 v[0:1], v31, v[0:3], s[10:11] offset:32 glc
	s_waitcnt vmcnt(0)
	v_cmp_eq_u64_e32 vcc, v[0:1], v[2:3]
	s_or_b64 s[20:21], vcc, s[20:21]
	v_pk_mov_b32 v[2:3], v[0:1], v[0:1] op_sel:[0,1]
	s_andn2_b64 exec, exec, s[20:21]
	s_cbranch_execnz .LBB1_349
.LBB1_350:                              ;   in Loop: Header=BB1_282 Depth=1
	s_or_b64 exec, exec, s[18:19]
	global_load_dwordx2 v[0:1], v31, s[10:11] offset:16
	s_mov_b64 s[20:21], exec
	v_mbcnt_lo_u32_b32 v2, s20, 0
	v_mbcnt_hi_u32_b32 v2, s21, v2
	v_cmp_eq_u32_e32 vcc, 0, v2
	s_and_saveexec_b64 s[18:19], vcc
	s_cbranch_execz .LBB1_352
; %bb.351:                              ;   in Loop: Header=BB1_282 Depth=1
	s_bcnt1_i32_b64 s20, s[20:21]
	v_mov_b32_e32 v30, s20
	buffer_wbl2
	s_waitcnt vmcnt(0)
	global_atomic_add_x2 v[0:1], v[30:31], off offset:8
.LBB1_352:                              ;   in Loop: Header=BB1_282 Depth=1
	s_or_b64 exec, exec, s[18:19]
	s_waitcnt vmcnt(0)
	global_load_dwordx2 v[2:3], v[0:1], off offset:16
	s_waitcnt vmcnt(0)
	v_cmp_eq_u64_e32 vcc, 0, v[2:3]
	s_cbranch_vccnz .LBB1_354
; %bb.353:                              ;   in Loop: Header=BB1_282 Depth=1
	global_load_dword v30, v[0:1], off offset:24
	s_waitcnt vmcnt(0)
	v_and_b32_e32 v0, 0xffffff, v30
	v_readfirstlane_b32 m0, v0
	buffer_wbl2
	global_store_dwordx2 v[2:3], v[30:31], off
	s_sendmsg sendmsg(MSG_INTERRUPT)
.LBB1_354:                              ;   in Loop: Header=BB1_282 Depth=1
	s_or_b64 exec, exec, s[16:17]
	v_add_co_u32_e32 v0, vcc, v6, v36
	v_addc_co_u32_e32 v1, vcc, 0, v7, vcc
	s_branch .LBB1_358
.LBB1_355:                              ;   in Loop: Header=BB1_358 Depth=2
	s_or_b64 exec, exec, s[16:17]
	v_readfirstlane_b32 s16, v2
	s_cmp_eq_u32 s16, 0
	s_cbranch_scc1 .LBB1_357
; %bb.356:                              ;   in Loop: Header=BB1_358 Depth=2
	s_sleep 1
	s_cbranch_execnz .LBB1_358
	s_branch .LBB1_360
.LBB1_357:                              ;   in Loop: Header=BB1_282 Depth=1
	s_branch .LBB1_360
.LBB1_358:                              ;   Parent Loop BB1_282 Depth=1
                                        ; =>  This Inner Loop Header: Depth=2
	v_mov_b32_e32 v2, 1
	s_and_saveexec_b64 s[16:17], s[4:5]
	s_cbranch_execz .LBB1_355
; %bb.359:                              ;   in Loop: Header=BB1_358 Depth=2
	global_load_dword v2, v[34:35], off offset:20 glc
	s_waitcnt vmcnt(0)
	buffer_invl2
	buffer_wbinvl1_vol
	v_and_b32_e32 v2, 1, v2
	s_branch .LBB1_355
.LBB1_360:                              ;   in Loop: Header=BB1_282 Depth=1
	global_load_dwordx4 v[0:3], v[0:1], off
	s_and_saveexec_b64 s[16:17], s[4:5]
	s_cbranch_execz .LBB1_281
; %bb.361:                              ;   in Loop: Header=BB1_282 Depth=1
	global_load_dwordx2 v[2:3], v31, s[10:11] offset:40
	global_load_dwordx2 v[6:7], v31, s[10:11] offset:24 glc
	global_load_dwordx2 v[14:15], v31, s[10:11]
	v_mov_b32_e32 v11, s15
	s_waitcnt vmcnt(2)
	v_add_co_u32_e32 v13, vcc, 1, v2
	v_addc_co_u32_e32 v16, vcc, 0, v3, vcc
	v_add_co_u32_e32 v10, vcc, s14, v13
	v_addc_co_u32_e32 v11, vcc, v16, v11, vcc
	v_cmp_eq_u64_e32 vcc, 0, v[10:11]
	v_cndmask_b32_e32 v11, v11, v16, vcc
	v_cndmask_b32_e32 v10, v10, v13, vcc
	v_and_b32_e32 v3, v11, v3
	v_and_b32_e32 v2, v10, v2
	v_mul_lo_u32 v3, v3, 24
	v_mul_hi_u32 v13, v2, 24
	v_mul_lo_u32 v2, v2, 24
	v_add_u32_e32 v3, v13, v3
	s_waitcnt vmcnt(0)
	v_add_co_u32_e32 v2, vcc, v14, v2
	v_addc_co_u32_e32 v3, vcc, v15, v3, vcc
	v_mov_b32_e32 v12, v6
	global_store_dwordx2 v[2:3], v[6:7], off
	v_mov_b32_e32 v13, v7
	buffer_wbl2
	s_waitcnt vmcnt(0)
	global_atomic_cmpswap_x2 v[12:13], v31, v[10:13], s[10:11] offset:24 glc
	s_waitcnt vmcnt(0)
	v_cmp_ne_u64_e32 vcc, v[12:13], v[6:7]
	s_and_b64 exec, exec, vcc
	s_cbranch_execz .LBB1_281
; %bb.362:                              ;   in Loop: Header=BB1_282 Depth=1
	s_mov_b64 s[4:5], 0
.LBB1_363:                              ;   Parent Loop BB1_282 Depth=1
                                        ; =>  This Inner Loop Header: Depth=2
	s_sleep 1
	global_store_dwordx2 v[2:3], v[12:13], off
	buffer_wbl2
	s_waitcnt vmcnt(0)
	global_atomic_cmpswap_x2 v[6:7], v31, v[10:13], s[10:11] offset:24 glc
	s_waitcnt vmcnt(0)
	v_cmp_eq_u64_e32 vcc, v[6:7], v[12:13]
	s_or_b64 s[4:5], vcc, s[4:5]
	v_pk_mov_b32 v[12:13], v[6:7], v[6:7] op_sel:[0,1]
	s_andn2_b64 exec, exec, s[4:5]
	s_cbranch_execnz .LBB1_363
	s_branch .LBB1_281
.LBB1_364:
	s_or_b64 exec, exec, s[6:7]
                                        ; implicit-def: $vgpr36
                                        ; implicit-def: $vgpr37
.LBB1_365:
	s_andn2_saveexec_b64 s[6:7], s[12:13]
	s_cbranch_execz .LBB1_392
; %bb.366:
	v_readfirstlane_b32 s4, v37
	v_cmp_eq_u32_e64 s[4:5], s4, v37
	v_pk_mov_b32 v[8:9], 0, 0
	s_and_saveexec_b64 s[12:13], s[4:5]
	s_cbranch_execz .LBB1_372
; %bb.367:
	s_waitcnt vmcnt(0)
	v_mov_b32_e32 v2, 0
	global_load_dwordx2 v[6:7], v2, s[10:11] offset:24 glc
	s_waitcnt vmcnt(0)
	buffer_invl2
	buffer_wbinvl1_vol
	global_load_dwordx2 v[4:5], v2, s[10:11] offset:40
	global_load_dwordx2 v[8:9], v2, s[10:11]
	s_waitcnt vmcnt(1)
	v_and_b32_e32 v3, v4, v6
	v_and_b32_e32 v4, v5, v7
	v_mul_lo_u32 v4, v4, 24
	v_mul_hi_u32 v5, v3, 24
	v_mul_lo_u32 v3, v3, 24
	v_add_u32_e32 v5, v5, v4
	s_waitcnt vmcnt(0)
	v_add_co_u32_e32 v4, vcc, v8, v3
	v_addc_co_u32_e32 v5, vcc, v9, v5, vcc
	global_load_dwordx2 v[4:5], v[4:5], off glc
	s_waitcnt vmcnt(0)
	global_atomic_cmpswap_x2 v[8:9], v2, v[4:7], s[10:11] offset:24 glc
	s_waitcnt vmcnt(0)
	buffer_invl2
	buffer_wbinvl1_vol
	v_cmp_ne_u64_e32 vcc, v[8:9], v[6:7]
	s_and_saveexec_b64 s[14:15], vcc
	s_cbranch_execz .LBB1_371
; %bb.368:
	s_mov_b64 s[16:17], 0
.LBB1_369:                              ; =>This Inner Loop Header: Depth=1
	s_sleep 1
	global_load_dwordx2 v[4:5], v2, s[10:11] offset:40
	global_load_dwordx2 v[10:11], v2, s[10:11]
	v_pk_mov_b32 v[6:7], v[8:9], v[8:9] op_sel:[0,1]
	s_waitcnt vmcnt(1)
	v_and_b32_e32 v4, v4, v6
	v_and_b32_e32 v3, v5, v7
	s_waitcnt vmcnt(0)
	v_mad_u64_u32 v[4:5], s[18:19], v4, 24, v[10:11]
	v_mov_b32_e32 v8, v5
	v_mad_u64_u32 v[8:9], s[18:19], v3, 24, v[8:9]
	v_mov_b32_e32 v5, v8
	global_load_dwordx2 v[4:5], v[4:5], off glc
	s_waitcnt vmcnt(0)
	global_atomic_cmpswap_x2 v[8:9], v2, v[4:7], s[10:11] offset:24 glc
	s_waitcnt vmcnt(0)
	buffer_invl2
	buffer_wbinvl1_vol
	v_cmp_eq_u64_e32 vcc, v[8:9], v[6:7]
	s_or_b64 s[16:17], vcc, s[16:17]
	s_andn2_b64 exec, exec, s[16:17]
	s_cbranch_execnz .LBB1_369
; %bb.370:
	s_or_b64 exec, exec, s[16:17]
.LBB1_371:
	s_or_b64 exec, exec, s[14:15]
.LBB1_372:
	s_or_b64 exec, exec, s[12:13]
	s_waitcnt vmcnt(0)
	v_mov_b32_e32 v2, 0
	global_load_dwordx2 v[10:11], v2, s[10:11] offset:40
	global_load_dwordx4 v[4:7], v2, s[10:11]
	v_readfirstlane_b32 s12, v8
	v_readfirstlane_b32 s13, v9
	s_mov_b64 s[14:15], exec
	s_waitcnt vmcnt(1)
	v_readfirstlane_b32 s16, v10
	v_readfirstlane_b32 s17, v11
	s_and_b64 s[16:17], s[12:13], s[16:17]
	s_mul_i32 s18, s17, 24
	s_mul_hi_u32 s19, s16, 24
	s_mul_i32 s20, s16, 24
	s_add_i32 s18, s19, s18
	v_mov_b32_e32 v3, s18
	s_waitcnt vmcnt(0)
	v_add_co_u32_e32 v8, vcc, s20, v4
	v_addc_co_u32_e32 v9, vcc, v5, v3, vcc
	s_and_saveexec_b64 s[18:19], s[4:5]
	s_cbranch_execz .LBB1_374
; %bb.373:
	v_pk_mov_b32 v[10:11], s[14:15], s[14:15] op_sel:[0,1]
	v_mov_b32_e32 v12, 2
	v_mov_b32_e32 v13, 1
	global_store_dwordx4 v[8:9], v[10:13], off offset:8
.LBB1_374:
	s_or_b64 exec, exec, s[18:19]
	s_lshl_b64 s[14:15], s[16:17], 12
	v_mov_b32_e32 v3, s15
	v_add_co_u32_e32 v10, vcc, s14, v6
	v_addc_co_u32_e32 v11, vcc, v7, v3, vcc
	s_movk_i32 s14, 0xff1f
	s_mov_b32 s16, 0
	v_and_or_b32 v0, v0, s14, 32
	v_mov_b32_e32 v3, v2
	v_readfirstlane_b32 s14, v10
	v_readfirstlane_b32 s15, v11
	s_mov_b32 s17, s16
	v_add_co_u32_e32 v6, vcc, v10, v36
	s_mov_b32 s18, s16
	s_mov_b32 s19, s16
	s_nop 0
	global_store_dwordx4 v36, v[0:3], s[14:15]
	v_addc_co_u32_e32 v7, vcc, 0, v11, vcc
	v_pk_mov_b32 v[0:1], s[16:17], s[16:17] op_sel:[0,1]
	v_pk_mov_b32 v[2:3], s[18:19], s[18:19] op_sel:[0,1]
	global_store_dwordx4 v36, v[0:3], s[14:15] offset:16
	global_store_dwordx4 v36, v[0:3], s[14:15] offset:32
	;; [unrolled: 1-line block ×3, first 2 shown]
	s_and_saveexec_b64 s[14:15], s[4:5]
	s_cbranch_execz .LBB1_382
; %bb.375:
	v_mov_b32_e32 v10, 0
	global_load_dwordx2 v[14:15], v10, s[10:11] offset:32 glc
	global_load_dwordx2 v[0:1], v10, s[10:11] offset:40
	v_mov_b32_e32 v12, s12
	v_mov_b32_e32 v13, s13
	s_waitcnt vmcnt(0)
	v_readfirstlane_b32 s16, v0
	v_readfirstlane_b32 s17, v1
	s_and_b64 s[16:17], s[16:17], s[12:13]
	s_mul_i32 s17, s17, 24
	s_mul_hi_u32 s18, s16, 24
	s_mul_i32 s16, s16, 24
	s_add_i32 s17, s18, s17
	v_mov_b32_e32 v0, s17
	v_add_co_u32_e32 v4, vcc, s16, v4
	v_addc_co_u32_e32 v5, vcc, v5, v0, vcc
	global_store_dwordx2 v[4:5], v[14:15], off
	buffer_wbl2
	s_waitcnt vmcnt(0)
	global_atomic_cmpswap_x2 v[2:3], v10, v[12:15], s[10:11] offset:32 glc
	s_waitcnt vmcnt(0)
	v_cmp_ne_u64_e32 vcc, v[2:3], v[14:15]
	s_and_saveexec_b64 s[16:17], vcc
	s_cbranch_execz .LBB1_378
; %bb.376:
	s_mov_b64 s[18:19], 0
.LBB1_377:                              ; =>This Inner Loop Header: Depth=1
	s_sleep 1
	global_store_dwordx2 v[4:5], v[2:3], off
	v_mov_b32_e32 v0, s12
	v_mov_b32_e32 v1, s13
	buffer_wbl2
	s_waitcnt vmcnt(0)
	global_atomic_cmpswap_x2 v[0:1], v10, v[0:3], s[10:11] offset:32 glc
	s_waitcnt vmcnt(0)
	v_cmp_eq_u64_e32 vcc, v[0:1], v[2:3]
	s_or_b64 s[18:19], vcc, s[18:19]
	v_pk_mov_b32 v[2:3], v[0:1], v[0:1] op_sel:[0,1]
	s_andn2_b64 exec, exec, s[18:19]
	s_cbranch_execnz .LBB1_377
.LBB1_378:
	s_or_b64 exec, exec, s[16:17]
	v_mov_b32_e32 v3, 0
	global_load_dwordx2 v[0:1], v3, s[10:11] offset:16
	s_mov_b64 s[16:17], exec
	v_mbcnt_lo_u32_b32 v2, s16, 0
	v_mbcnt_hi_u32_b32 v2, s17, v2
	v_cmp_eq_u32_e32 vcc, 0, v2
	s_and_saveexec_b64 s[18:19], vcc
	s_cbranch_execz .LBB1_380
; %bb.379:
	s_bcnt1_i32_b64 s16, s[16:17]
	v_mov_b32_e32 v2, s16
	buffer_wbl2
	s_waitcnt vmcnt(0)
	global_atomic_add_x2 v[0:1], v[2:3], off offset:8
.LBB1_380:
	s_or_b64 exec, exec, s[18:19]
	s_waitcnt vmcnt(0)
	global_load_dwordx2 v[2:3], v[0:1], off offset:16
	s_waitcnt vmcnt(0)
	v_cmp_eq_u64_e32 vcc, 0, v[2:3]
	s_cbranch_vccnz .LBB1_382
; %bb.381:
	global_load_dword v0, v[0:1], off offset:24
	v_mov_b32_e32 v1, 0
	buffer_wbl2
	s_waitcnt vmcnt(0)
	global_store_dwordx2 v[2:3], v[0:1], off
	v_and_b32_e32 v0, 0xffffff, v0
	v_readfirstlane_b32 m0, v0
	s_sendmsg sendmsg(MSG_INTERRUPT)
.LBB1_382:
	s_or_b64 exec, exec, s[14:15]
	s_branch .LBB1_386
.LBB1_383:                              ;   in Loop: Header=BB1_386 Depth=1
	s_or_b64 exec, exec, s[14:15]
	v_readfirstlane_b32 s14, v0
	s_cmp_eq_u32 s14, 0
	s_cbranch_scc1 .LBB1_385
; %bb.384:                              ;   in Loop: Header=BB1_386 Depth=1
	s_sleep 1
	s_cbranch_execnz .LBB1_386
	s_branch .LBB1_388
.LBB1_385:
	s_branch .LBB1_388
.LBB1_386:                              ; =>This Inner Loop Header: Depth=1
	v_mov_b32_e32 v0, 1
	s_and_saveexec_b64 s[14:15], s[4:5]
	s_cbranch_execz .LBB1_383
; %bb.387:                              ;   in Loop: Header=BB1_386 Depth=1
	global_load_dword v0, v[8:9], off offset:20 glc
	s_waitcnt vmcnt(0)
	buffer_invl2
	buffer_wbinvl1_vol
	v_and_b32_e32 v0, 1, v0
	s_branch .LBB1_383
.LBB1_388:
	global_load_dwordx2 v[0:1], v[6:7], off
	s_and_saveexec_b64 s[14:15], s[4:5]
	s_cbranch_execz .LBB1_391
; %bb.389:
	v_mov_b32_e32 v8, 0
	global_load_dwordx2 v[6:7], v8, s[10:11] offset:40
	global_load_dwordx2 v[10:11], v8, s[10:11] offset:24 glc
	global_load_dwordx2 v[12:13], v8, s[10:11]
	v_mov_b32_e32 v3, s13
	s_mov_b64 s[4:5], 0
	s_waitcnt vmcnt(2)
	v_add_co_u32_e32 v5, vcc, 1, v6
	v_addc_co_u32_e32 v9, vcc, 0, v7, vcc
	v_add_co_u32_e32 v2, vcc, s12, v5
	v_addc_co_u32_e32 v3, vcc, v9, v3, vcc
	v_cmp_eq_u64_e32 vcc, 0, v[2:3]
	v_cndmask_b32_e32 v3, v3, v9, vcc
	v_cndmask_b32_e32 v2, v2, v5, vcc
	v_and_b32_e32 v5, v3, v7
	v_and_b32_e32 v6, v2, v6
	v_mul_lo_u32 v5, v5, 24
	v_mul_hi_u32 v7, v6, 24
	v_mul_lo_u32 v6, v6, 24
	v_add_u32_e32 v5, v7, v5
	s_waitcnt vmcnt(0)
	v_add_co_u32_e32 v6, vcc, v12, v6
	v_addc_co_u32_e32 v7, vcc, v13, v5, vcc
	v_mov_b32_e32 v4, v10
	global_store_dwordx2 v[6:7], v[10:11], off
	v_mov_b32_e32 v5, v11
	buffer_wbl2
	s_waitcnt vmcnt(0)
	global_atomic_cmpswap_x2 v[4:5], v8, v[2:5], s[10:11] offset:24 glc
	s_waitcnt vmcnt(0)
	v_cmp_ne_u64_e32 vcc, v[4:5], v[10:11]
	s_and_b64 exec, exec, vcc
	s_cbranch_execz .LBB1_391
.LBB1_390:                              ; =>This Inner Loop Header: Depth=1
	s_sleep 1
	global_store_dwordx2 v[6:7], v[4:5], off
	buffer_wbl2
	s_waitcnt vmcnt(0)
	global_atomic_cmpswap_x2 v[10:11], v8, v[2:5], s[10:11] offset:24 glc
	s_waitcnt vmcnt(0)
	v_cmp_eq_u64_e32 vcc, v[10:11], v[4:5]
	s_or_b64 s[4:5], vcc, s[4:5]
	v_pk_mov_b32 v[4:5], v[10:11], v[10:11] op_sel:[0,1]
	s_andn2_b64 exec, exec, s[4:5]
	s_cbranch_execnz .LBB1_390
.LBB1_391:
	s_or_b64 exec, exec, s[14:15]
.LBB1_392:
	s_or_b64 exec, exec, s[6:7]
	s_getpc_b64 s[4:5]
	s_add_u32 s4, s4, .str.1@rel32@lo+4
	s_addc_u32 s5, s5, .str.1@rel32@hi+12
	s_getpc_b64 s[6:7]
	s_add_u32 s6, s6, .str.1@rel32@lo+32
	s_addc_u32 s7, s7, .str.1@rel32@hi+40
	s_sub_i32 s10, s6, s4
	s_ashr_i32 s11, s10, 31
	s_waitcnt vmcnt(0)
	v_mov_b32_e32 v2, s4
	v_mov_b32_e32 v3, s5
	;; [unrolled: 1-line block ×5, first 2 shown]
	s_getpc_b64 s[6:7]
	s_add_u32 s6, s6, __ockl_fprintf_append_string_n@rel32@lo+4
	s_addc_u32 s7, s7, __ockl_fprintf_append_string_n@rel32@hi+12
	s_swappc_b64 s[30:31], s[6:7]
	s_trap 2
.Lfunc_end1:
	.size	__assert_fail, .Lfunc_end1-__assert_fail
                                        ; -- End function
	.section	.AMDGPU.csdata,"",@progbits
; Function info:
; codeLenInByte = 15360
; NumSgprs: 38
; NumVgprs: 41
; NumAgprs: 0
; TotalNumVgprs: 41
; ScratchSize: 64
; MemoryBound: 0
	.text
	.p2align	2                               ; -- Begin function _ZN12_GLOBAL__N_17runRingI12hip_bfloat1610FuncMinMaxIS1_E11ProtoSimpleILi2ELi2ELi0ELi1ELi0ELi0EELi0ELi0ELi1ELi0EEEviiP15ncclDevWorkColl
	.type	_ZN12_GLOBAL__N_17runRingI12hip_bfloat1610FuncMinMaxIS1_E11ProtoSimpleILi2ELi2ELi0ELi1ELi0ELi0EELi0ELi0ELi1ELi0EEEviiP15ncclDevWorkColl,@function
_ZN12_GLOBAL__N_17runRingI12hip_bfloat1610FuncMinMaxIS1_E11ProtoSimpleILi2ELi2ELi0ELi1ELi0ELi0EELi0ELi0ELi1ELi0EEEviiP15ncclDevWorkColl: ; @_ZN12_GLOBAL__N_17runRingI12hip_bfloat1610FuncMinMaxIS1_E11ProtoSimpleILi2ELi2ELi0ELi1ELi0ELi0EELi0ELi0ELi1ELi0EEEviiP15ncclDevWorkColl
; %bb.0:
	s_waitcnt vmcnt(0) expcnt(0) lgkmcnt(0)
	s_mov_b32 s4, s33
	s_mov_b32 s33, s32
	s_or_saveexec_b64 s[6:7], -1
	buffer_store_dword v63, off, s[0:3], s33 offset:88 ; 4-byte Folded Spill
	s_mov_b64 exec, s[6:7]
	v_writelane_b32 v63, s4, 58
	s_addk_i32 s32, 0x1800
	buffer_store_dword v40, off, s[0:3], s33 offset:84 ; 4-byte Folded Spill
	buffer_store_dword v41, off, s[0:3], s33 offset:80 ; 4-byte Folded Spill
	;; [unrolled: 1-line block ×21, first 2 shown]
	buffer_store_dword a39, off, s[0:3], s33 ; 4-byte Folded Spill
	v_writelane_b32 v63, s34, 0
	v_writelane_b32 v63, s35, 1
	v_writelane_b32 v63, s36, 2
	v_writelane_b32 v63, s37, 3
	v_writelane_b32 v63, s38, 4
	v_writelane_b32 v63, s39, 5
	v_writelane_b32 v63, s40, 6
	v_writelane_b32 v63, s41, 7
	v_writelane_b32 v63, s42, 8
	v_writelane_b32 v63, s43, 9
	v_writelane_b32 v63, s44, 10
	v_writelane_b32 v63, s45, 11
	v_writelane_b32 v63, s46, 12
	v_writelane_b32 v63, s47, 13
	v_writelane_b32 v63, s48, 14
	v_writelane_b32 v63, s49, 15
	v_writelane_b32 v63, s50, 16
	v_writelane_b32 v63, s51, 17
	v_writelane_b32 v63, s52, 18
	v_writelane_b32 v63, s53, 19
	v_writelane_b32 v63, s54, 20
	v_writelane_b32 v63, s55, 21
	v_writelane_b32 v63, s56, 22
	v_writelane_b32 v63, s57, 23
	v_writelane_b32 v63, s58, 24
	v_writelane_b32 v63, s59, 25
	v_writelane_b32 v63, s60, 26
	v_writelane_b32 v63, s61, 27
	v_writelane_b32 v63, s62, 28
	v_writelane_b32 v63, s63, 29
	v_writelane_b32 v63, s64, 30
	v_writelane_b32 v63, s65, 31
	v_writelane_b32 v63, s66, 32
	v_writelane_b32 v63, s67, 33
	v_writelane_b32 v63, s68, 34
	v_writelane_b32 v63, s69, 35
	v_writelane_b32 v63, s70, 36
	v_writelane_b32 v63, s71, 37
	v_writelane_b32 v63, s72, 38
	v_writelane_b32 v63, s73, 39
	v_writelane_b32 v63, s74, 40
	v_writelane_b32 v63, s75, 41
	v_writelane_b32 v63, s76, 42
	v_writelane_b32 v63, s77, 43
	v_writelane_b32 v63, s78, 44
	v_writelane_b32 v63, s79, 45
	v_writelane_b32 v63, s80, 46
	v_writelane_b32 v63, s81, 47
	v_writelane_b32 v63, s82, 48
	v_writelane_b32 v63, s83, 49
	v_writelane_b32 v63, s84, 50
	v_writelane_b32 v63, s85, 51
	v_writelane_b32 v63, s86, 52
	v_writelane_b32 v63, s87, 53
	v_writelane_b32 v63, s88, 54
	v_writelane_b32 v63, s89, 55
	v_writelane_b32 v63, s30, 56
	v_writelane_b32 v63, s31, 57
	v_mov_b32_e32 v18, v1
	s_trap 2
	flat_load_dword v1, v[2:3]
	ds_read_b32 v6, v0
	v_mov_b32_e32 v56, v0
                                        ; implicit-def: $vgpr4_vgpr5
                                        ; implicit-def: $agpr4_agpr5
                                        ; implicit-def: $vgpr8_vgpr9
	s_waitcnt lgkmcnt(0)
	v_readfirstlane_b32 s72, v6
	s_waitcnt vmcnt(0)
	v_cmp_ne_u32_sdwa s[4:5], v1, v6 src0_sel:BYTE_0 src1_sel:DWORD
	s_and_saveexec_b64 s[6:7], s[4:5]
	s_xor_b64 s[4:5], exec, s[6:7]
	s_cbranch_execz .LBB2_6
; %bb.1:
	v_not_b32_sdwa v0, v1 dst_sel:DWORD dst_unused:UNUSED_PAD src0_sel:BYTE_0
	v_cmp_ne_u32_sdwa s[6:7], v1, v6 src0_sel:BYTE_1 src1_sel:DWORD
                                        ; implicit-def: $vgpr4_vgpr5
                                        ; implicit-def: $agpr4_agpr5
                                        ; implicit-def: $vgpr8_vgpr9
	s_and_saveexec_b64 s[10:11], s[6:7]
	s_xor_b64 s[6:7], exec, s[10:11]
	s_cbranch_execz .LBB2_3
; %bb.2:
	flat_load_dwordx4 v[8:11], v[2:3] offset:72
	flat_load_dwordx2 v[4:5], v[2:3] offset:96
	v_add_u32_e32 v0, v6, v0
	v_ashrrev_i32_e32 v1, 31, v0
	s_waitcnt vmcnt(0) lgkmcnt(0)
	v_mul_lo_u32 v1, v10, v1
	v_mad_u64_u32 v[6:7], s[10:11], v10, v0, v[8:9]
	v_mul_lo_u32 v0, v11, v0
	v_add3_u32 v7, v0, v7, v1
	v_accvgpr_write_b32 a4, v6
	v_lshrrev_b64 v[4:5], 13, v[4:5]
	v_accvgpr_write_b32 a5, v7
	v_pk_mov_b32 v[8:9], v[10:11], v[10:11] op_sel:[0,1]
                                        ; implicit-def: $vgpr1
                                        ; implicit-def: $vgpr0
.LBB2_3:
	s_andn2_saveexec_b64 s[6:7], s[6:7]
	s_cbranch_execz .LBB2_5
; %bb.4:
	flat_load_dwordx4 v[4:7], v[2:3] offset:72
	flat_load_dwordx4 v[8:11], v[2:3] offset:88
	v_add_u32_sdwa v0, v1, v0 dst_sel:DWORD dst_unused:UNUSED_PAD src0_sel:BYTE_1 src1_sel:DWORD
	v_ashrrev_i32_e32 v1, 31, v0
	s_waitcnt vmcnt(0) lgkmcnt(0)
	v_mul_lo_u32 v1, v6, v1
	v_mad_u64_u32 v[4:5], s[10:11], v6, v0, v[4:5]
	v_mul_lo_u32 v0, v7, v0
	v_add3_u32 v5, v0, v5, v1
	v_accvgpr_write_b32 a4, v4
	v_accvgpr_write_b32 a5, v5
	v_lshrrev_b32_e32 v4, 2, v11
.LBB2_5:
	s_or_b64 exec, exec, s[6:7]
.LBB2_6:
	s_andn2_saveexec_b64 s[4:5], s[4:5]
	s_cbranch_execz .LBB2_8
; %bb.7:
	flat_load_dwordx2 v[0:1], v[2:3] offset:96
	flat_load_dwordx2 v[8:9], v[2:3] offset:72
	s_waitcnt vmcnt(0) lgkmcnt(0)
	v_lshlrev_b64 v[4:5], 8, v[0:1]
	v_pk_mov_b32 v[0:1], 0, 0
	v_accvgpr_write_b32 a5, v1
	v_accvgpr_write_b32 a4, v0
.LBB2_8:
	s_or_b64 exec, exec, s[4:5]
	s_trap 2
	ds_read_b64 v[0:1], v0
	s_waitcnt lgkmcnt(0)
	v_cmp_ne_u32_e32 vcc, -1, v0
	v_cndmask_b32_e64 v0, 0, 1, vcc
	v_cmp_ne_u32_e32 vcc, -1, v1
	v_addc_co_u32_e64 v1, s[4:5], 0, v0, vcc
	v_lshlrev_b32_e32 v5, 1, v1
	v_cmp_le_i32_e64 s[4:5], v5, v18
	s_and_saveexec_b64 s[6:7], s[4:5]
	s_xor_b64 s[40:41], exec, s[6:7]
	s_cbranch_execz .LBB2_1582
; %bb.9:
	flat_load_dwordx2 v[14:15], v[2:3] offset:104
	flat_load_dwordx4 v[10:13], v[2:3] offset:16
	flat_load_ushort v7, v[2:3] offset:8
	flat_load_dword v6, v[2:3] offset:4
	s_trap 2
	s_load_dword s4, s[8:9], 0x0
	v_mov_b32_e32 v5, 0
	v_accvgpr_write_b32 a6, v8
	v_accvgpr_write_b32 a7, v9
	v_mov_b32_e32 v62, 4
	s_waitcnt lgkmcnt(0)
	s_cmp_lt_u32 s12, s4
	s_cselect_b32 s4, 12, 18
	s_add_u32 s4, s8, s4
	s_addc_u32 s5, s9, 0
	global_load_ushort v19, v5, s[4:5]
	ds_read_b32 v5, v0
	v_cmp_ge_i32_e64 s[4:5], v56, v0
	s_waitcnt lgkmcnt(0)
	v_readfirstlane_b32 s18, v5
	s_and_saveexec_b64 s[6:7], s[4:5]
	s_cbranch_execz .LBB2_19
; %bb.10:
	v_cmp_le_u32_e64 s[4:5], v1, v56
                                        ; implicit-def: $vgpr62
	s_and_saveexec_b64 s[10:11], s[4:5]
	s_xor_b64 s[4:5], exec, s[10:11]
	s_cbranch_execz .LBB2_16
; %bb.11:
	v_cndmask_b32_e64 v5, 0, 1, vcc
	v_sub_u32_e32 v5, v18, v5
	v_cmp_ge_u32_e32 vcc, v56, v5
                                        ; implicit-def: $sgpr12
	s_and_saveexec_b64 s[10:11], vcc
	s_xor_b64 s[10:11], exec, s[10:11]
; %bb.12:
	s_mov_b32 s12, 16
                                        ; implicit-def: $vgpr1
; %bb.13:
	s_or_saveexec_b64 s[10:11], s[10:11]
	v_mov_b32_e32 v62, s12
	s_xor_b64 exec, exec, s[10:11]
; %bb.14:
	v_sub_u32_e32 v1, v18, v1
	v_cmp_ge_i32_e32 vcc, v56, v1
	v_cndmask_b32_e64 v1, 0, 1, vcc
	v_lshlrev_b32_e32 v62, 5, v1
; %bb.15:
	s_or_b64 exec, exec, s[10:11]
.LBB2_16:
	s_andn2_saveexec_b64 s[4:5], s[4:5]
; %bb.17:
	v_mov_b32_e32 v62, 8
; %bb.18:
	s_or_b64 exec, exec, s[4:5]
.LBB2_19:
	s_or_b64 exec, exec, s[6:7]
	v_and_b32_e32 v1, 36, v62
	v_cmp_ne_u32_e32 vcc, 0, v1
	v_mov_b32_e32 v8, -1
	s_and_saveexec_b64 s[4:5], vcc
	s_cbranch_execz .LBB2_21
; %bb.20:
	s_trap 2
	ds_read_b32 v8, v0
.LBB2_21:
	s_or_b64 exec, exec, s[4:5]
	v_and_b32_e32 v1, 24, v62
	v_cmp_ne_u32_e64 s[4:5], 0, v1
	s_and_saveexec_b64 s[6:7], s[4:5]
	s_cbranch_execz .LBB2_23
; %bb.22:
	s_trap 2
	s_waitcnt lgkmcnt(0)
	ds_read_b32 v8, v0
.LBB2_23:
	s_or_b64 exec, exec, s[6:7]
	v_pk_mov_b32 v[20:21], 0, 0
	s_waitcnt vmcnt(0)
	v_lshrrev_b64 v[6:7], 31, v[6:7]
	v_accvgpr_write_b32 a12, v20
	v_and_b32_e32 v1, 3, v6
	v_accvgpr_write_b32 a13, v21
                                        ; implicit-def: $agpr8_agpr9
                                        ; implicit-def: $vgpr30
                                        ; implicit-def: $vgpr32_vgpr33
                                        ; implicit-def: $vgpr36_vgpr37
                                        ; implicit-def: $vgpr50_vgpr51
                                        ; implicit-def: $vgpr34_vgpr35
	s_and_saveexec_b64 s[4:5], vcc
	s_cbranch_execz .LBB2_33
; %bb.24:
	s_trap 2
	ds_read_b64 v[6:7], v0
	s_waitcnt lgkmcnt(1)
	v_ashrrev_i32_e32 v9, 31, v8
	v_lshlrev_b64 v[16:17], 3, v[8:9]
	v_and_b32_e32 v5, 0xffff, v1
	s_movk_i32 s6, 0xa8
	s_waitcnt lgkmcnt(0)
	v_add_co_u32_e32 v6, vcc, v6, v16
	v_addc_co_u32_e32 v7, vcc, v7, v17, vcc
	flat_load_dwordx2 v[6:7], v[6:7]
                                        ; implicit-def: $agpr8_agpr9
	s_waitcnt vmcnt(0) lgkmcnt(0)
	v_mad_u64_u32 v[6:7], s[6:7], v5, s6, v[6:7]
	flat_load_dword v5, v[6:7] offset:640
	v_add_co_u32_e32 v20, vcc, 0x1f8, v6
	v_addc_co_u32_e32 v21, vcc, 0, v7, vcc
	s_waitcnt vmcnt(0) lgkmcnt(0)
	v_cmp_eq_u32_e32 vcc, 1, v5
	s_and_saveexec_b64 s[6:7], vcc
	s_cbranch_execz .LBB2_26
; %bb.25:
	flat_load_dwordx2 v[16:17], v[20:21] offset:144
	v_or_b32_e32 v62, 0x2000, v62
	s_waitcnt vmcnt(0) lgkmcnt(0)
	flat_load_dwordx2 v[6:7], v[16:17]
	s_trap 2
	v_accvgpr_write_b32 a8, v16
	v_accvgpr_write_b32 a9, v17
	s_waitcnt vmcnt(0) lgkmcnt(0)
	ds_write_b64 v0, v[6:7]
	flat_load_dwordx2 v[6:7], v[16:17] offset:8
	s_waitcnt vmcnt(0) lgkmcnt(0)
	ds_write_b64 v0, v[6:7]
	flat_load_dwordx2 v[6:7], v[16:17] offset:16
	s_waitcnt vmcnt(0) lgkmcnt(0)
	ds_write_b64 v0, v[6:7]
.LBB2_26:
	s_or_b64 exec, exec, s[6:7]
	flat_load_dwordx2 v[6:7], v[20:21] offset:104
	v_and_b32_e32 v5, 32, v62
                                        ; implicit-def: $vgpr34_vgpr35
	s_waitcnt vmcnt(0) lgkmcnt(0)
	v_add_co_u32_e32 v6, vcc, 3, v6
	v_addc_co_u32_e32 v33, vcc, 0, v7, vcc
	v_and_b32_e32 v32, -4, v6
	v_cmp_ne_u32_e32 vcc, 0, v5
	s_and_saveexec_b64 s[6:7], vcc
	s_cbranch_execz .LBB2_28
; %bb.27:
	flat_load_dwordx2 v[34:35], v[20:21] offset:56
	s_waitcnt vmcnt(0) lgkmcnt(0)
	flat_store_dwordx2 v[34:35], v[32:33]
.LBB2_28:
	s_or_b64 exec, exec, s[6:7]
	v_pk_mov_b32 v[6:7], 0, 0
	v_and_b32_e32 v5, 4, v62
	v_accvgpr_write_b32 a13, v7
	v_cmp_ne_u32_e32 vcc, 0, v5
	v_accvgpr_write_b32 a12, v6
                                        ; implicit-def: $vgpr30
                                        ; implicit-def: $vgpr36_vgpr37
                                        ; implicit-def: $vgpr50_vgpr51
	s_and_saveexec_b64 s[6:7], vcc
	s_cbranch_execz .LBB2_32
; %bb.29:
	v_and_b32_e32 v5, 0x800, v62
	v_cmp_eq_u32_e32 vcc, 0, v5
	s_and_saveexec_b64 s[10:11], vcc
	s_cbranch_execz .LBB2_31
; %bb.30:
	s_trap 2
	ds_write_b64 v0, v[20:21]
.LBB2_31:
	s_or_b64 exec, exec, s[10:11]
	flat_load_dwordx2 v[34:35], v[20:21] offset:48
	v_or_b32_e32 v9, 0x100, v62
	s_waitcnt vmcnt(0) lgkmcnt(0)
	flat_load_dwordx2 v[50:51], v[34:35] glc
	flat_load_dword v5, v[20:21] offset:72
	flat_load_dwordx2 v[6:7], v[20:21] offset:96
	flat_load_dwordx2 v[36:37], v[20:21] offset:16
	s_waitcnt vmcnt(0) lgkmcnt(0)
	v_ashrrev_i32_e32 v30, 1, v5
	v_accvgpr_write_b32 a13, v7
	v_cmp_eq_u64_e32 vcc, 0, v[6:7]
	v_accvgpr_write_b32 a12, v6
	v_cndmask_b32_e32 v62, v9, v62, vcc
.LBB2_32:
	s_or_b64 exec, exec, s[6:7]
.LBB2_33:
	s_or_b64 exec, exec, s[4:5]
	v_and_b32_e32 v5, 24, v62
	v_cmp_ne_u32_e32 vcc, 0, v5
                                        ; implicit-def: $vgpr58_vgpr59
	s_and_saveexec_b64 s[4:5], vcc
	s_cbranch_execz .LBB2_41
; %bb.34:
	s_trap 2
	ds_read_b64 v[6:7], v0
	s_waitcnt lgkmcnt(0)
	v_ashrrev_i32_e32 v9, 31, v8
	v_lshlrev_b64 v[8:9], 3, v[8:9]
	v_and_b32_e32 v1, 0xffff, v1
	s_movk_i32 s6, 0xa8
	v_add_co_u32_e32 v6, vcc, v6, v8
	v_addc_co_u32_e32 v7, vcc, v7, v9, vcc
	flat_load_dwordx2 v[6:7], v[6:7]
                                        ; implicit-def: $vgpr58_vgpr59
	s_waitcnt vmcnt(0) lgkmcnt(0)
	v_mad_u64_u32 v[20:21], s[6:7], v1, s6, v[6:7]
	flat_load_dwordx4 v[6:9], v[20:21] offset:96
	v_or_b32_e32 v1, 0x100, v62
	s_waitcnt vmcnt(0) lgkmcnt(0)
	v_cmp_eq_u64_e32 vcc, 0, v[6:7]
	v_cndmask_b32_e32 v62, v1, v62, vcc
	v_accvgpr_write_b32 a15, v9
	v_and_b32_e32 v1, 16, v62
	v_accvgpr_write_b32 a14, v8
	v_accvgpr_write_b32 a13, v7
	;; [unrolled: 1-line block ×3, first 2 shown]
	v_cmp_ne_u32_e32 vcc, 0, v1
	s_and_saveexec_b64 s[6:7], vcc
	s_cbranch_execz .LBB2_36
; %bb.35:
	flat_load_dwordx2 v[58:59], v[20:21] offset:120
	flat_load_dwordx2 v[34:35], v[20:21] offset:48
	flat_load_dwordx2 v[36:37], v[20:21] offset:16
.LBB2_36:
	s_or_b64 exec, exec, s[6:7]
	v_accvgpr_read_b32 v6, a12
	v_accvgpr_read_b32 v8, a14
	;; [unrolled: 1-line block ×3, first 2 shown]
	v_add_co_u32_e32 v1, vcc, 3, v8
	v_addc_co_u32_e32 v33, vcc, 0, v9, vcc
	v_and_b32_e32 v32, -4, v1
	v_and_b32_e32 v1, 8, v62
	v_cmp_ne_u32_e32 vcc, 0, v1
	v_accvgpr_read_b32 v7, a13
	s_and_saveexec_b64 s[6:7], vcc
	s_cbranch_execz .LBB2_40
; %bb.37:
	v_and_b32_e32 v1, 0x800, v62
	v_cmp_eq_u32_e32 vcc, 0, v1
	s_and_saveexec_b64 s[10:11], vcc
	s_cbranch_execz .LBB2_39
; %bb.38:
	s_trap 2
	ds_write_b64 v0, v[20:21]
.LBB2_39:
	s_or_b64 exec, exec, s[10:11]
	s_waitcnt vmcnt(0) lgkmcnt(0)
	flat_load_dwordx2 v[34:35], v[20:21] offset:56
	s_waitcnt vmcnt(0) lgkmcnt(0)
	flat_load_dwordx2 v[50:51], v[34:35] glc
	flat_load_dword v1, v[20:21] offset:72
	flat_load_dwordx2 v[36:37], v[20:21] offset:16
	s_waitcnt vmcnt(0) lgkmcnt(0)
	v_ashrrev_i32_e32 v30, 1, v1
.LBB2_40:
	s_or_b64 exec, exec, s[6:7]
.LBB2_41:
	s_or_b64 exec, exec, s[4:5]
	v_cmp_eq_u32_e64 s[4:5], 0, v56
	s_and_saveexec_b64 s[6:7], s[4:5]
	s_cbranch_execz .LBB2_43
; %bb.42:
	s_waitcnt lgkmcnt(0)
	flat_load_dwordx2 v[8:9], v[2:3] offset:32
	ds_write2_b64 v0, v[12:13], v[10:11] offset1:1
	s_trap 2
	s_waitcnt vmcnt(0) lgkmcnt(0)
	ds_write_b64 v0, v[8:9]
	ds_write_b64 v0, v[14:15]
.LBB2_43:
	s_or_b64 exec, exec, s[6:7]
	v_accvgpr_read_b32 v6, a6
	v_accvgpr_read_b32 v7, a7
	s_mov_b64 s[44:45], 0
	v_cmp_lt_i64_e32 vcc, 0, v[6:7]
	v_pk_mov_b32 v[48:49], 0, 0
	s_and_saveexec_b64 s[42:43], vcc
	s_cbranch_execz .LBB2_1546
; %bb.44:
	flat_load_dword v2, v[2:3] offset:4
	v_and_b32_e32 v10, 0x1fffff00, v4
	v_ashrrev_i32_e32 v3, 31, v30
	v_and_b32_e32 v1, 63, v31
	v_accvgpr_write_b32 a17, v3
	v_ashrrev_i32_e32 v3, 31, v56
	v_mad_i64_i32 v[24:25], s[16:17], v10, s72, 0
	s_ashr_i32 s19, s18, 31
	v_lshrrev_b32_e32 v54, 6, v18
	v_mov_b32_e32 v4, 0xfffffe00
	v_cmp_eq_u32_e64 s[16:17], 0, v1
	v_lshrrev_b32_e32 v1, 26, v3
	s_movk_i32 s21, 0x200
	v_mov_b32_e32 v5, 0xfffff800
	s_lshr_b32 s19, s19, 29
	v_lshl_add_u32 v3, v54, 9, v4
	v_add_u32_e32 v1, v56, v1
	v_mov_b32_e32 v52, 0
	v_lshlrev_b32_e32 v26, 10, v54
	v_lshl_add_u32 v4, v54, 11, v5
	s_add_i32 s24, s18, s19
	v_ashrrev_i32_e32 v5, 31, v3
	v_ashrrev_i32_e32 v57, 6, v1
	v_and_b32_e32 v1, 0xffffffc0, v1
	v_add_co_u32_e64 v55, s[18:19], s21, v3
	s_ashr_i32 s73, s72, 31
	v_accvgpr_write_b32 a1, v31
	s_movk_i32 s20, 0x400
	v_mov_b32_e32 v11, v52
	v_add_u32_e32 v44, 0xfffffc00, v26
	s_ashr_i32 s25, s24, 4
	v_addc_co_u32_e64 v31, s[18:19], 0, v5, s[18:19]
	v_sub_u32_e32 v5, v56, v1
	v_sub_u32_e32 v1, 0, v57
	v_accvgpr_write_b32 a31, v11
	v_lshlrev_b32_e32 v27, 7, v54
	v_ashrrev_i32_e32 v45, 31, v44
	s_add_u32 s74, s72, -1
	v_accvgpr_write_b32 a25, v1
	v_add_co_u32_e64 v1, s[18:19], s20, v44
	s_movk_i32 s22, 0x80
	v_accvgpr_write_b32 a30, v10
	v_add_u32_e32 v10, 0xffffff80, v27
	v_addc_co_u32_e64 v60, s[18:19], 0, v45, s[18:19]
	s_addc_u32 s75, s73, -1
	s_add_i32 s76, s72, s72
	s_not_b32 s27, s72
	s_waitcnt lgkmcnt(0)
	v_lshlrev_b32_e32 v8, 4, v56
	v_ashrrev_i32_e32 v3, 31, v10
	v_add_co_u32_e64 v61, s[18:19], s22, v10
	s_cmp_gt_i32 s72, 0
	v_ashrrev_i32_e32 v9, 31, v8
	v_accvgpr_write_b32 a23, v3
	v_addc_co_u32_e64 v28, s[18:19], 0, v3, s[18:19]
	v_lshlrev_b32_e32 v3, 11, v57
	s_cselect_b32 s27, s27, -1
	s_ashr_i32 s24, s24, 31
	s_movk_i32 s26, 0x800
	v_accvgpr_write_b32 a19, v9
	v_cmp_lt_i32_e64 s[20:21], v5, v0
	v_cmp_le_i32_e64 s[22:23], v5, v0
	v_lshl_add_u32 v0, v5, 4, v3
	s_lshr_b32 s24, s24, 28
	v_accvgpr_write_b32 a18, v8
	v_ashrrev_i32_e32 v8, 31, v4
	v_accvgpr_write_b32 a26, v0
	v_ashrrev_i32_e32 v3, 31, v0
	s_add_i32 s77, s27, s76
	s_add_i32 s25, s25, s24
	v_add_co_u32_e64 v29, s[26:27], s26, v4
	s_ashr_i32 s79, s25, 4
	v_addc_co_u32_e64 v46, s[26:27], 0, v8, s[26:27]
	s_waitcnt vmcnt(0)
	v_and_b32_e32 v0, 1, v2
	v_cmp_eq_u32_e64 s[24:25], 1, v0
	v_mov_b32_e32 v0, 0xffffff00
	v_lshl_add_u32 v0, v54, 8, v0
	s_movk_i32 s26, 0x100
	s_ashr_i32 s78, s77, 31
	v_ashrrev_i32_e32 v2, 31, v0
	v_add_co_u32_e64 v47, s[26:27], s26, v0
	s_cmp_gt_i32 s72, 2
	v_addc_co_u32_e64 v38, s[26:27], 0, v2, s[26:27]
	s_cselect_b64 s[50:51], -1, 0
	s_xor_b64 s[52:53], s[24:25], -1
	s_add_i32 s26, s72, 1
	s_cmp_le_i32 s72, s26
	s_cselect_b32 s27, s72, 0
	v_accvgpr_write_b32 a10, v20
	v_cmp_ge_i32_e32 vcc, v56, v18
	v_accvgpr_write_b32 a27, v3
	s_sub_i32 s80, s26, s27
	v_pk_mov_b32 v[2:3], 0, 0
	v_accvgpr_write_b32 a14, v58
	v_accvgpr_write_b32 a20, v24
	;; [unrolled: 1-line block ×3, first 2 shown]
	s_mov_b32 s47, 0
	v_cmp_eq_u32_e64 s[6:7], 64, v18
	v_cmp_ne_u32_e64 s[10:11], 64, v18
	v_accvgpr_write_b32 a2, v19
	v_cmp_ne_u32_sdwa s[48:49], v19, v18 src0_sel:WORD_0 src1_sel:DWORD
	v_accvgpr_write_b32 a0, v18
	v_cmp_eq_u64_e64 s[12:13], 0, v[58:59]
	v_cmp_ne_u64_e64 s[14:15], 0, v[58:59]
	v_accvgpr_write_b32 a16, v10
	v_cmp_gt_i32_e64 s[18:19], 1, v5
	v_accvgpr_write_b32 a24, v5
	s_ashr_i32 s81, s80, 31
	s_add_i32 s82, s72, -2
	s_xor_b64 s[54:55], vcc, -1
	s_movk_i32 s83, 0x270e
	v_mov_b32_e32 v43, 1
	s_movk_i32 s84, 0x108
	s_mov_b32 s85, 0x7f800000
	s_movk_i32 s86, 0x7fff
	s_mov_b32 s87, 0xffff0000
	v_pk_mov_b32 v[48:49], v[2:3], v[2:3] op_sel:[0,1]
	v_accvgpr_write_b32 a3, v56
	v_accvgpr_write_b32 a15, v59
	;; [unrolled: 1-line block ×4, first 2 shown]
	s_trap 2
	s_branch .LBB2_47
.LBB2_45:                               ;   in Loop: Header=BB2_47 Depth=1
	s_or_b64 exec, exec, s[30:31]
.LBB2_46:                               ;   in Loop: Header=BB2_47 Depth=1
	s_or_b64 exec, exec, s[28:29]
	v_accvgpr_read_b32 v2, a28
	v_accvgpr_read_b32 v3, a29
	v_add_co_u32_e32 v2, vcc, v2, v24
	v_accvgpr_read_b32 v6, a6
	v_addc_co_u32_e32 v3, vcc, v3, v25, vcc
	v_accvgpr_read_b32 v7, a7
	v_cmp_ge_i64_e32 vcc, v[2:3], v[6:7]
	s_or_b64 s[44:45], vcc, s[44:45]
	s_andn2_b64 exec, exec, s[44:45]
	s_cbranch_execz .LBB2_1545
.LBB2_47:                               ; =>This Loop Header: Depth=1
                                        ;     Child Loop BB2_57 Depth 2
                                        ;       Child Loop BB2_65 Depth 3
                                        ;       Child Loop BB2_89 Depth 3
	;; [unrolled: 1-line block ×9, first 2 shown]
                                        ;     Child Loop BB2_199 Depth 2
                                        ;       Child Loop BB2_205 Depth 3
                                        ;       Child Loop BB2_234 Depth 3
	;; [unrolled: 1-line block ×3, first 2 shown]
                                        ;     Child Loop BB2_271 Depth 2
                                        ;       Child Loop BB2_274 Depth 3
                                        ;         Child Loop BB2_282 Depth 4
                                        ;         Child Loop BB2_310 Depth 4
	;; [unrolled: 1-line block ×9, first 2 shown]
                                        ;       Child Loop BB2_528 Depth 3
                                        ;         Child Loop BB2_534 Depth 4
                                        ;         Child Loop BB2_574 Depth 4
                                        ;         Child Loop BB2_562 Depth 4
                                        ;     Child Loop BB2_603 Depth 2
                                        ;       Child Loop BB2_611 Depth 3
                                        ;       Child Loop BB2_639 Depth 3
                                        ;       Child Loop BB2_658 Depth 3
                                        ;       Child Loop BB2_869 Depth 3
                                        ;       Child Loop BB2_938 Depth 3
                                        ;       Child Loop BB2_978 Depth 3
                                        ;       Child Loop BB2_991 Depth 3
                                        ;       Child Loop BB2_694 Depth 3
                                        ;       Child Loop BB2_796 Depth 3
                                        ;         Child Loop BB2_829 Depth 4
                                        ;       Child Loop BB2_839 Depth 3
                                        ;       Child Loop BB2_851 Depth 3
                                        ;         Child Loop BB2_856 Depth 4
                                        ;       Child Loop BB2_686 Depth 3
                                        ;       Child Loop BB2_777 Depth 3
                                        ;     Child Loop BB2_1000 Depth 2
                                        ;       Child Loop BB2_1006 Depth 3
                                        ;       Child Loop BB2_1038 Depth 3
	;; [unrolled: 1-line block ×3, first 2 shown]
                                        ;     Child Loop BB2_1075 Depth 2
                                        ;       Child Loop BB2_1078 Depth 3
                                        ;         Child Loop BB2_1086 Depth 4
                                        ;         Child Loop BB2_1114 Depth 4
	;; [unrolled: 1-line block ×4, first 2 shown]
                                        ;           Child Loop BB2_1155 Depth 5
                                        ;         Child Loop BB2_1161 Depth 4
                                        ;           Child Loop BB2_1162 Depth 5
                                        ;         Child Loop BB2_1171 Depth 4
                                        ;         Child Loop BB2_1176 Depth 4
                                        ;           Child Loop BB2_1177 Depth 5
                                        ;         Child Loop BB2_1190 Depth 4
                                        ;         Child Loop BB2_1195 Depth 4
	;; [unrolled: 1-line block ×6, first 2 shown]
                                        ;       Child Loop BB2_1260 Depth 3
                                        ;         Child Loop BB2_1266 Depth 4
                                        ;         Child Loop BB2_1298 Depth 4
	;; [unrolled: 1-line block ×3, first 2 shown]
                                        ;     Child Loop BB2_1339 Depth 2
                                        ;       Child Loop BB2_1347 Depth 3
                                        ;       Child Loop BB2_1371 Depth 3
	;; [unrolled: 1-line block ×9, first 2 shown]
                                        ;     Child Loop BB2_1479 Depth 2
                                        ;       Child Loop BB2_1485 Depth 3
                                        ;       Child Loop BB2_1509 Depth 3
	;; [unrolled: 1-line block ×3, first 2 shown]
	v_sub_co_u32_e32 v4, vcc, v6, v2
	v_subb_co_u32_e32 v5, vcc, v7, v3, vcc
	v_accvgpr_write_b32 a29, v3
	v_accvgpr_write_b32 a33, v5
	;; [unrolled: 1-line block ×4, first 2 shown]
	v_cmp_lt_i64_e32 vcc, v[4:5], v[24:25]
	s_and_saveexec_b64 s[28:29], vcc
	s_cbranch_execz .LBB2_53
; %bb.48:                               ;   in Loop: Header=BB2_47 Depth=1
	v_accvgpr_read_b32 v2, a32
	v_mov_b32_e32 v0, s75
	v_accvgpr_read_b32 v3, a33
	v_add_co_u32_e32 v4, vcc, s74, v2
	v_addc_co_u32_e32 v5, vcc, v0, v3, vcc
	v_or_b32_e32 v53, s73, v5
	v_cmp_ne_u64_e32 vcc, 0, v[52:53]
                                        ; implicit-def: $vgpr2_vgpr3
	s_and_saveexec_b64 s[26:27], vcc
	s_xor_b64 s[30:31], exec, s[26:27]
	s_cbranch_execz .LBB2_50
; %bb.49:                               ;   in Loop: Header=BB2_47 Depth=1
	s_add_u32 s26, s72, s73
	s_mov_b32 s34, s73
	s_mov_b32 s35, s73
	s_addc_u32 s27, s73, s73
	s_xor_b64 s[36:37], s[26:27], s[34:35]
	v_cvt_f32_u32_e32 v0, s36
	v_cvt_f32_u32_e32 v2, s37
	s_sub_u32 s26, 0, s36
	s_subb_u32 s27, 0, s37
	v_mac_f32_e32 v0, 0x4f800000, v2
	v_rcp_f32_e32 v0, v0
	v_mul_f32_e32 v0, 0x5f7ffffc, v0
	v_mul_f32_e32 v2, 0x2f800000, v0
	v_trunc_f32_e32 v2, v2
	v_mac_f32_e32 v0, 0xcf800000, v2
	v_cvt_u32_f32_e32 v2, v2
	v_cvt_u32_f32_e32 v0, v0
	v_mul_lo_u32 v3, s26, v2
	v_mul_hi_u32 v9, s26, v0
	v_mul_lo_u32 v8, s27, v0
	v_add_u32_e32 v3, v9, v3
	v_mul_lo_u32 v10, s26, v0
	v_add_u32_e32 v3, v3, v8
	v_mul_lo_u32 v9, v0, v3
	v_mul_hi_u32 v11, v0, v10
	v_mul_hi_u32 v8, v0, v3
	v_add_co_u32_e32 v9, vcc, v11, v9
	v_addc_co_u32_e32 v8, vcc, 0, v8, vcc
	v_mul_hi_u32 v12, v2, v10
	v_mul_lo_u32 v10, v2, v10
	v_add_co_u32_e32 v9, vcc, v9, v10
	v_mul_hi_u32 v11, v2, v3
	v_addc_co_u32_e32 v8, vcc, v8, v12, vcc
	v_addc_co_u32_e32 v9, vcc, 0, v11, vcc
	v_mul_lo_u32 v3, v2, v3
	v_add_co_u32_e32 v3, vcc, v8, v3
	v_addc_co_u32_e32 v8, vcc, 0, v9, vcc
	v_add_co_u32_e32 v0, vcc, v0, v3
	v_addc_co_u32_e32 v2, vcc, v2, v8, vcc
	v_mul_lo_u32 v3, s26, v2
	v_mul_hi_u32 v8, s26, v0
	v_add_u32_e32 v3, v8, v3
	v_mul_lo_u32 v8, s27, v0
	v_add_u32_e32 v3, v3, v8
	v_mul_lo_u32 v9, s26, v0
	v_mul_hi_u32 v10, v2, v9
	v_mul_lo_u32 v11, v2, v9
	v_mul_lo_u32 v13, v0, v3
	v_mul_hi_u32 v9, v0, v9
	v_mul_hi_u32 v12, v0, v3
	v_add_co_u32_e32 v9, vcc, v9, v13
	v_addc_co_u32_e32 v12, vcc, 0, v12, vcc
	v_add_co_u32_e32 v9, vcc, v9, v11
	v_mul_hi_u32 v8, v2, v3
	v_addc_co_u32_e32 v9, vcc, v12, v10, vcc
	v_addc_co_u32_e32 v8, vcc, 0, v8, vcc
	v_mul_lo_u32 v3, v2, v3
	v_add_co_u32_e32 v3, vcc, v9, v3
	v_addc_co_u32_e32 v8, vcc, 0, v8, vcc
	v_add_co_u32_e32 v0, vcc, v0, v3
	v_addc_co_u32_e32 v8, vcc, v2, v8, vcc
	v_ashrrev_i32_e32 v9, 31, v5
	v_add_co_u32_e32 v2, vcc, v4, v9
	v_addc_co_u32_e32 v3, vcc, v5, v9, vcc
	v_xor_b32_e32 v11, v2, v9
	v_xor_b32_e32 v10, v3, v9
	v_mad_u64_u32 v[2:3], s[26:27], v11, v8, 0
	v_mul_hi_u32 v4, v11, v0
	v_add_co_u32_e32 v12, vcc, v4, v2
	v_addc_co_u32_e32 v13, vcc, 0, v3, vcc
	v_mad_u64_u32 v[4:5], s[26:27], v10, v0, 0
	v_add_co_u32_e32 v0, vcc, v12, v4
	v_mad_u64_u32 v[2:3], s[26:27], v10, v8, 0
	v_addc_co_u32_e32 v0, vcc, v13, v5, vcc
	v_addc_co_u32_e32 v3, vcc, 0, v3, vcc
	v_add_co_u32_e32 v0, vcc, v0, v2
	v_addc_co_u32_e32 v4, vcc, 0, v3, vcc
	v_mul_lo_u32 v5, s37, v0
	v_mul_lo_u32 v8, s36, v4
	v_mad_u64_u32 v[2:3], s[26:27], s36, v0, 0
	v_add3_u32 v3, v3, v8, v5
	v_sub_u32_e32 v5, v10, v3
	v_mov_b32_e32 v8, s37
	v_sub_co_u32_e32 v2, vcc, v11, v2
	v_subb_co_u32_e64 v5, s[26:27], v5, v8, vcc
	v_subrev_co_u32_e64 v8, s[26:27], s36, v2
	v_subbrev_co_u32_e64 v5, s[26:27], 0, v5, s[26:27]
	v_cmp_le_u32_e64 s[26:27], s37, v5
	v_cndmask_b32_e64 v11, 0, -1, s[26:27]
	v_cmp_le_u32_e64 s[26:27], s36, v8
	v_cndmask_b32_e64 v8, 0, -1, s[26:27]
	v_cmp_eq_u32_e64 s[26:27], s37, v5
	v_cndmask_b32_e64 v5, v11, v8, s[26:27]
	v_add_co_u32_e64 v8, s[26:27], 2, v0
	v_subb_co_u32_e32 v3, vcc, v10, v3, vcc
	v_addc_co_u32_e64 v11, s[26:27], 0, v4, s[26:27]
	v_cmp_le_u32_e32 vcc, s37, v3
	v_add_co_u32_e64 v12, s[26:27], 1, v0
	v_cndmask_b32_e64 v10, 0, -1, vcc
	v_cmp_le_u32_e32 vcc, s36, v2
	v_addc_co_u32_e64 v13, s[26:27], 0, v4, s[26:27]
	v_cndmask_b32_e64 v2, 0, -1, vcc
	v_cmp_eq_u32_e32 vcc, s37, v3
	v_cmp_ne_u32_e64 s[26:27], 0, v5
	v_cndmask_b32_e32 v2, v10, v2, vcc
	v_cndmask_b32_e64 v5, v13, v11, s[26:27]
	v_cmp_ne_u32_e32 vcc, 0, v2
	v_cndmask_b32_e64 v3, v12, v8, s[26:27]
	v_cndmask_b32_e32 v2, v4, v5, vcc
	v_cndmask_b32_e32 v0, v0, v3, vcc
	v_xor_b32_e32 v4, s34, v9
	v_xor_b32_e32 v3, s35, v9
	;; [unrolled: 1-line block ×4, first 2 shown]
	v_sub_co_u32_e32 v2, vcc, v0, v4
	v_subb_co_u32_e32 v3, vcc, v5, v3, vcc
                                        ; implicit-def: $vgpr4
.LBB2_50:                               ;   in Loop: Header=BB2_47 Depth=1
	s_andn2_saveexec_b64 s[26:27], s[30:31]
	s_cbranch_execz .LBB2_52
; %bb.51:                               ;   in Loop: Header=BB2_47 Depth=1
	v_cvt_f32_u32_e32 v0, s72
	s_sub_i32 vcc_lo, 0, s72
	v_rcp_iflag_f32_e32 v0, v0
	v_mul_f32_e32 v0, 0x4f7ffffe, v0
	v_cvt_u32_f32_e32 v0, v0
	v_mul_lo_u32 v2, vcc_lo, v0
	v_mul_hi_u32 v2, v0, v2
	v_add_u32_e32 v0, v0, v2
	v_mul_hi_u32 v0, v4, v0
	v_mul_lo_u32 v2, v0, s72
	v_sub_u32_e32 v2, v4, v2
	v_add_u32_e32 v3, 1, v0
	v_subrev_u32_e32 v4, s72, v2
	v_cmp_le_u32_e32 vcc, s72, v2
	v_cndmask_b32_e32 v2, v2, v4, vcc
	v_cndmask_b32_e32 v0, v0, v3, vcc
	v_add_u32_e32 v3, 1, v0
	v_cmp_le_u32_e32 vcc, s72, v2
	v_cndmask_b32_e32 v2, v0, v3, vcc
	v_mov_b32_e32 v3, v52
.LBB2_52:                               ;   in Loop: Header=BB2_47 Depth=1
	s_or_b64 exec, exec, s[26:27]
	v_add_co_u32_e32 v0, vcc, 7, v2
	v_addc_co_u32_e32 v3, vcc, 0, v3, vcc
	v_and_b32_e32 v2, -8, v0
	v_accvgpr_write_b32 a31, v3
	v_accvgpr_write_b32 a30, v2
.LBB2_53:                               ;   in Loop: Header=BB2_47 Depth=1
	s_or_b64 exec, exec, s[28:29]
	v_accvgpr_read_b32 v8, a30
	v_accvgpr_read_b32 v9, a31
	v_mul_lo_u32 v0, v9, s77
	v_mul_lo_u32 v2, v8, s78
	v_mad_u64_u32 v[4:5], s[26:27], v8, s77, 0
	v_add3_u32 v5, v5, v2, v0
	v_accvgpr_read_b32 v2, a4
	v_accvgpr_read_b32 v6, a28
	;; [unrolled: 1-line block ×4, first 2 shown]
	v_add_co_u32_e32 v2, vcc, v6, v2
	v_addc_co_u32_e32 v3, vcc, v7, v3, vcc
	v_accvgpr_write_b32 a35, v3
	v_accvgpr_write_b32 a34, v2
	v_accvgpr_read_b32 v2, a32
	v_accvgpr_read_b32 v3, a33
	v_sub_co_u32_e32 v2, vcc, v2, v4
	v_subb_co_u32_e32 v3, vcc, v3, v5, vcc
	v_cmp_lt_i64_e32 vcc, v[8:9], v[2:3]
	v_cndmask_b32_e32 v0, v2, v8, vcc
	v_max_i32_e32 v16, 0, v0
	v_add_u32_e32 v2, 31, v16
	v_lshrrev_b32_e32 v2, 1, v2
	v_and_b32_e32 v2, 0x3ffffff0, v2
	v_cmp_lt_i32_e32 vcc, 0, v0
	v_max_i32_e32 v2, s79, v2
	s_and_b64 s[26:27], s[54:55], vcc
	v_mov_b32_e32 v3, 0
	v_mov_b32_e32 v8, 0
	s_and_saveexec_b64 s[28:29], s[26:27]
	s_cbranch_execz .LBB2_195
; %bb.54:                               ;   in Loop: Header=BB2_47 Depth=1
	s_mov_b32 s46, 1
	s_mov_b64 s[34:35], -1
	s_mov_b64 s[30:31], 0
	v_mov_b32_e32 v8, 0
	v_lshlrev_b64 v[10:11], 1, v[4:5]
	s_branch .LBB2_57
.LBB2_55:                               ;   in Loop: Header=BB2_57 Depth=2
	s_or_b64 exec, exec, vcc
	v_add_co_u32_e32 v32, vcc, 2, v32
	v_addc_co_u32_e32 v33, vcc, 0, v33, vcc
	flat_store_dwordx2 v[34:35], v[32:33]
.LBB2_56:                               ;   in Loop: Header=BB2_57 Depth=2
	s_or_b64 exec, exec, s[26:27]
	v_add_u32_e32 v8, v2, v8
	v_cmp_ge_i32_e32 vcc, v8, v16
	s_xor_b64 s[26:27], s[34:35], -1
	s_or_b64 s[26:27], s[26:27], vcc
	s_and_b64 s[26:27], exec, s[26:27]
	s_or_b64 s[30:31], s[26:27], s[30:31]
	s_mov_b64 s[34:35], 0
	v_mov_b32_e32 v3, s46
	s_mov_b32 s46, 2
	s_andn2_b64 exec, exec, s[30:31]
	s_cbranch_execz .LBB2_194
.LBB2_57:                               ;   Parent Loop BB2_47 Depth=1
                                        ; =>  This Loop Header: Depth=2
                                        ;       Child Loop BB2_65 Depth 3
                                        ;       Child Loop BB2_89 Depth 3
	;; [unrolled: 1-line block ×9, first 2 shown]
	s_and_saveexec_b64 s[26:27], s[4:5]
	s_cbranch_execz .LBB2_59
; %bb.58:                               ;   in Loop: Header=BB2_57 Depth=2
	s_trap 2
	ds_read_b64 v[4:5], v0
	v_accvgpr_read_b32 v6, a34
	v_accvgpr_read_b32 v7, a35
	v_lshlrev_b64 v[12:13], 1, v[6:7]
	v_ashrrev_i32_e32 v9, 31, v8
	s_waitcnt lgkmcnt(0)
	v_add_co_u32_e32 v0, vcc, v4, v12
	v_addc_co_u32_e32 v3, vcc, v5, v13, vcc
	v_add_co_u32_e32 v0, vcc, v0, v10
	v_addc_co_u32_e32 v3, vcc, v3, v11, vcc
	v_lshlrev_b64 v[4:5], 1, v[8:9]
	v_add_co_u32_e32 v4, vcc, v0, v4
	v_addc_co_u32_e32 v5, vcc, v3, v5, vcc
	v_mov_b32_e32 v53, v52
	ds_write_b64 v0, v[4:5]
	ds_write_b64 v0, v[52:53]
.LBB2_59:                               ;   in Loop: Header=BB2_57 Depth=2
	s_or_b64 exec, exec, s[26:27]
	v_and_b32_e32 v0, 8, v62
	v_cmp_ne_u32_e32 vcc, 0, v0
	s_mov_b64 s[36:37], -1
	s_and_saveexec_b64 s[26:27], vcc
	s_cbranch_execz .LBB2_71
; %bb.60:                               ;   in Loop: Header=BB2_57 Depth=2
	v_add_co_u32_e32 v12, vcc, 8, v50
	v_addc_co_u32_e32 v13, vcc, 0, v51, vcc
	v_add_co_u32_e32 v4, vcc, 2, v32
	v_addc_co_u32_e32 v5, vcc, 0, v33, vcc
	v_cmp_lt_u64_e32 vcc, v[12:13], v[4:5]
	v_mov_b32_e32 v0, 1
	s_and_saveexec_b64 s[36:37], vcc
	s_cbranch_execz .LBB2_70
; %bb.61:                               ;   in Loop: Header=BB2_57 Depth=2
	s_mov_b64 s[38:39], 0
	v_mov_b32_e32 v3, 0
                                        ; implicit-def: $sgpr56_sgpr57
	s_branch .LBB2_65
.LBB2_62:                               ;   in Loop: Header=BB2_65 Depth=3
	s_or_b64 exec, exec, s[64:65]
	v_mov_b32_e32 v0, 0
	s_orn2_b64 s[62:63], s[62:63], exec
.LBB2_63:                               ;   in Loop: Header=BB2_65 Depth=3
	s_or_b64 exec, exec, s[60:61]
	s_andn2_b64 vcc, s[56:57], exec
	s_and_b64 s[56:57], s[62:63], exec
	s_or_b64 s[56:57], vcc, s[56:57]
	v_mov_b32_e32 v3, v0
.LBB2_64:                               ;   in Loop: Header=BB2_65 Depth=3
	s_or_b64 exec, exec, s[58:59]
	s_waitcnt vmcnt(0) lgkmcnt(0)
	v_add_co_u32_e32 v12, vcc, 8, v50
	v_addc_co_u32_e32 v13, vcc, 0, v51, vcc
	v_cmp_ge_u64_e32 vcc, v[12:13], v[4:5]
	s_xor_b64 s[58:59], s[56:57], -1
	s_or_b64 vcc, s[58:59], vcc
	s_and_b64 vcc, exec, vcc
	s_or_b64 s[38:39], vcc, s[38:39]
	s_andn2_b64 exec, exec, s[38:39]
	s_cbranch_execz .LBB2_69
.LBB2_65:                               ;   Parent Loop BB2_47 Depth=1
                                        ;     Parent Loop BB2_57 Depth=2
                                        ; =>    This Inner Loop Header: Depth=3
	s_sleep 1
	flat_load_dwordx2 v[50:51], v[34:35] glc
	v_and_b32_e32 v0, 64, v62
	v_cmp_eq_u32_e32 vcc, 0, v0
	s_andn2_b64 s[56:57], s[56:57], exec
	s_and_saveexec_b64 s[58:59], vcc
	s_cbranch_execz .LBB2_64
; %bb.66:                               ;   in Loop: Header=BB2_65 Depth=3
	v_add_u32_e32 v0, 1, v3
	v_cmp_lt_i32_e32 vcc, s83, v3
	s_mov_b64 s[62:63], -1
	s_and_saveexec_b64 s[60:61], vcc
	s_cbranch_execz .LBB2_63
; %bb.67:                               ;   in Loop: Header=BB2_65 Depth=3
	s_trap 2
	ds_read_b64 v[12:13], v0
	s_waitcnt vmcnt(0) lgkmcnt(0)
	flat_load_dword v0, v[12:13] glc
	s_waitcnt vmcnt(0) lgkmcnt(0)
	buffer_invl2
	buffer_wbinvl1_vol
	v_cmp_ne_u32_e32 vcc, 0, v0
	s_and_saveexec_b64 s[64:65], vcc
	s_cbranch_execz .LBB2_62
; %bb.68:                               ;   in Loop: Header=BB2_65 Depth=3
	v_or_b32_e32 v62, 64, v62
	s_xor_b64 s[62:63], exec, -1
	ds_write_b32 v0, v0
	s_trap 2
	s_branch .LBB2_62
.LBB2_69:                               ;   in Loop: Header=BB2_57 Depth=2
	s_or_b64 exec, exec, s[38:39]
	v_and_b32_e32 v0, 8, v62
.LBB2_70:                               ;   in Loop: Header=BB2_57 Depth=2
	s_or_b64 exec, exec, s[36:37]
	v_cmp_eq_u32_e32 vcc, 0, v0
	s_orn2_b64 s[36:37], vcc, exec
	;;#ASMSTART
	s_wakeup
	;;#ASMEND
.LBB2_71:                               ;   in Loop: Header=BB2_57 Depth=2
	s_or_b64 exec, exec, s[26:27]
	v_sub_u32_e32 v0, v16, v8
	s_xor_b64 s[26:27], s[36:37], -1
	v_min_i32_e32 v2, v2, v0
	s_and_saveexec_b64 s[36:37], s[26:27]
	s_cbranch_execz .LBB2_81
; %bb.72:                               ;   in Loop: Header=BB2_57 Depth=2
	v_and_b32_e32 v0, 0x100, v62
	v_cmp_ne_u32_e32 vcc, 0, v0
	v_and_b32_e32 v9, 7, v32
	s_mov_b64 s[26:27], -1
                                        ; implicit-def: $vgpr4_vgpr5
	s_and_saveexec_b64 s[38:39], vcc
	s_cbranch_execz .LBB2_76
; %bb.73:                               ;   in Loop: Header=BB2_57 Depth=2
	v_accvgpr_read_b32 v4, a12
	v_accvgpr_read_b32 v5, a13
	v_mad_u64_u32 v[12:13], s[26:27], v9, 24, v[4:5]
	flat_load_dword v0, v[12:13]
	v_ashrrev_i32_e32 v3, 31, v2
	v_lshlrev_b64 v[4:5], 1, v[2:3]
	flat_store_dwordx2 v[12:13], v[4:5] offset:8
                                        ; implicit-def: $vgpr4_vgpr5
	s_waitcnt vmcnt(0) lgkmcnt(0)
	v_cmp_ne_u32_e32 vcc, 1, v0
	v_cmp_eq_u32_e64 s[26:27], 1, v0
	s_and_saveexec_b64 s[56:57], s[26:27]
	s_cbranch_execz .LBB2_75
; %bb.74:                               ;   in Loop: Header=BB2_57 Depth=2
	flat_load_dword v4, v[12:13] offset:4 glc
	s_waitcnt vmcnt(0) lgkmcnt(0)
	v_ashrrev_i32_e32 v5, 31, v4
	v_lshrrev_b64 v[4:5], 1, v[4:5]
.LBB2_75:                               ;   in Loop: Header=BB2_57 Depth=2
	s_or_b64 exec, exec, s[56:57]
	s_orn2_b64 s[26:27], vcc, exec
.LBB2_76:                               ;   in Loop: Header=BB2_57 Depth=2
	s_or_b64 exec, exec, s[38:39]
	s_and_saveexec_b64 vcc, s[26:27]
; %bb.77:                               ;   in Loop: Header=BB2_57 Depth=2
	v_mad_i64_i32 v[4:5], s[26:27], v9, v30, 0
; %bb.78:                               ;   in Loop: Header=BB2_57 Depth=2
	s_or_b64 exec, exec, vcc
	v_lshlrev_b64 v[4:5], 1, v[4:5]
	v_add_co_u32_e32 v4, vcc, v36, v4
	v_addc_co_u32_e32 v5, vcc, v37, v5, vcc
	ds_write_b64 v0, v[4:5] offset:784
	v_and_b32_e32 v0, 0x2000, v62
	v_cmp_ne_u32_e32 vcc, 0, v0
	s_and_saveexec_b64 s[26:27], vcc
	s_cbranch_execz .LBB2_80
; %bb.79:                               ;   in Loop: Header=BB2_57 Depth=2
	ds_read_b64 v[4:5], v0 offset:584
	s_waitcnt lgkmcnt(0)
	v_add_co_u32_e32 v4, vcc, 1, v4
	v_addc_co_u32_e32 v5, vcc, 0, v5, vcc
	ds_write_b64 v0, v[4:5] offset:584
.LBB2_80:                               ;   in Loop: Header=BB2_57 Depth=2
	s_or_b64 exec, exec, s[26:27]
	v_add_co_u32_e32 v32, vcc, 2, v32
	v_addc_co_u32_e32 v33, vcc, 0, v33, vcc
.LBB2_81:                               ;   in Loop: Header=BB2_57 Depth=2
	s_or_b64 exec, exec, s[36:37]
	s_and_saveexec_b64 s[26:27], s[10:11]
	s_cbranch_execz .LBB2_100
; %bb.82:                               ;   in Loop: Header=BB2_57 Depth=2
	s_and_saveexec_b64 vcc, s[48:49]
	s_xor_b64 s[36:37], exec, vcc
	s_cbranch_execz .LBB2_97
; %bb.83:                               ;   in Loop: Header=BB2_57 Depth=2
	s_and_saveexec_b64 s[38:39], s[16:17]
	s_cbranch_execz .LBB2_96
; %bb.84:                               ;   in Loop: Header=BB2_57 Depth=2
	s_mov_b64 s[58:59], exec
	v_mbcnt_lo_u32_b32 v0, s58, 0
	v_mbcnt_hi_u32_b32 v0, s59, v0
	v_cmp_eq_u32_e32 vcc, 0, v0
	s_waitcnt vmcnt(0) lgkmcnt(0)
	buffer_wbinvl1_vol
	s_and_saveexec_b64 s[56:57], vcc
	s_cbranch_execz .LBB2_86
; %bb.85:                               ;   in Loop: Header=BB2_57 Depth=2
	s_bcnt1_i32_b64 vcc_lo, s[58:59]
	v_mov_b32_e32 v4, vcc_lo
	v_mov_b32_e32 v5, v52
	ds_add_u64 v0, v[4:5]
	s_trap 2
.LBB2_86:                               ;   in Loop: Header=BB2_57 Depth=2
	s_or_b64 exec, exec, s[56:57]
	s_trap 2
	ds_read_b64 v[4:5], v0
	v_add_co_u32_e32 v48, vcc, v48, v54
	v_addc_co_u32_e32 v49, vcc, 0, v49, vcc
	s_waitcnt lgkmcnt(0)
	v_cmp_lt_u64_e32 vcc, v[4:5], v[48:49]
	s_and_saveexec_b64 s[56:57], vcc
	s_cbranch_execz .LBB2_95
; %bb.87:                               ;   in Loop: Header=BB2_57 Depth=2
	s_mov_b32 s68, 0
	s_mov_b64 s[58:59], 0
                                        ; implicit-def: $sgpr60_sgpr61
                                        ; implicit-def: $sgpr62_sgpr63
	s_branch .LBB2_89
.LBB2_88:                               ;   in Loop: Header=BB2_89 Depth=3
	s_or_b64 exec, exec, s[66:67]
	s_and_b64 vcc, exec, vcc
	s_or_b64 s[58:59], vcc, s[58:59]
	s_andn2_b64 vcc, s[60:61], exec
	s_and_b64 s[60:61], s[62:63], exec
	s_or_b64 s[60:61], vcc, s[60:61]
	s_andn2_b64 exec, exec, s[58:59]
	s_cbranch_execz .LBB2_93
.LBB2_89:                               ;   Parent Loop BB2_47 Depth=1
                                        ;     Parent Loop BB2_57 Depth=2
                                        ; =>    This Inner Loop Header: Depth=3
	s_add_i32 s68, s68, 1
	s_cmpk_lg_i32 s68, 0x2710
	s_cselect_b64 s[64:65], -1, 0
	s_and_b64 vcc, exec, s[64:65]
                                        ; implicit-def: $sgpr66_sgpr67
	s_cbranch_vccnz .LBB2_91
; %bb.90:                               ;   in Loop: Header=BB2_89 Depth=3
	s_trap 2
	ds_read_b64 v[4:5], v0
	s_andn2_b64 s[64:65], s[64:65], exec
	s_mov_b32 s68, 0
	s_mov_b64 s[66:67], -1
	s_waitcnt lgkmcnt(0)
	flat_load_dword v0, v[4:5] glc
	s_waitcnt vmcnt(0) lgkmcnt(0)
	buffer_invl2
	buffer_wbinvl1_vol
	v_cmp_eq_u32_e32 vcc, 0, v0
	s_and_b64 vcc, vcc, exec
	s_or_b64 s[64:65], s[64:65], vcc
.LBB2_91:                               ;   in Loop: Header=BB2_89 Depth=3
	s_andn2_b64 s[62:63], s[62:63], exec
	s_and_b64 s[66:67], s[66:67], exec
	s_mov_b64 vcc, -1
	s_or_b64 s[62:63], s[62:63], s[66:67]
	s_and_saveexec_b64 s[66:67], s[64:65]
	s_cbranch_execz .LBB2_88
; %bb.92:                               ;   in Loop: Header=BB2_89 Depth=3
	s_sleep 1
	s_trap 2
	ds_read_b64 v[4:5], v0
	s_andn2_b64 s[62:63], s[62:63], exec
	s_waitcnt lgkmcnt(0)
	v_cmp_ge_u64_e32 vcc, v[4:5], v[48:49]
	s_orn2_b64 vcc, vcc, exec
	s_branch .LBB2_88
.LBB2_93:                               ;   in Loop: Header=BB2_57 Depth=2
	s_or_b64 exec, exec, s[58:59]
	s_and_saveexec_b64 vcc, s[60:61]
	s_xor_b64 vcc, exec, vcc
	s_cbranch_execz .LBB2_95
; %bb.94:                               ;   in Loop: Header=BB2_57 Depth=2
	ds_write_b32 v0, v43
	s_trap 2
.LBB2_95:                               ;   in Loop: Header=BB2_57 Depth=2
	s_or_b64 exec, exec, s[56:57]
	;;#ASMSTART
	s_wakeup
	;;#ASMEND
.LBB2_96:                               ;   in Loop: Header=BB2_57 Depth=2
	s_or_b64 exec, exec, s[38:39]
.LBB2_97:                               ;   in Loop: Header=BB2_57 Depth=2
	s_andn2_saveexec_b64 vcc, s[36:37]
	s_cbranch_execz .LBB2_99
; %bb.98:                               ;   in Loop: Header=BB2_57 Depth=2
	s_waitcnt vmcnt(0) lgkmcnt(0)
	buffer_wbinvl1_vol
	s_barrier
.LBB2_99:                               ;   in Loop: Header=BB2_57 Depth=2
	s_or_b64 exec, exec, vcc
.LBB2_100:                              ;   in Loop: Header=BB2_57 Depth=2
	s_or_b64 exec, exec, s[26:27]
	s_trap 2
	ds_read_b32 v3, v0
	v_and_b32_e32 v0, 0x4000, v62
	v_cmp_ne_u32_e32 vcc, 0, v0
	s_xor_b64 s[26:27], s[6:7], -1
	s_and_b64 vcc, s[26:27], vcc
	s_and_saveexec_b64 s[26:27], vcc
	s_cbranch_execz .LBB2_119
; %bb.101:                              ;   in Loop: Header=BB2_57 Depth=2
	s_and_saveexec_b64 vcc, s[48:49]
	s_xor_b64 s[36:37], exec, vcc
	s_cbranch_execz .LBB2_116
; %bb.102:                              ;   in Loop: Header=BB2_57 Depth=2
	s_and_saveexec_b64 s[38:39], s[16:17]
	s_cbranch_execz .LBB2_115
; %bb.103:                              ;   in Loop: Header=BB2_57 Depth=2
	s_mov_b64 s[58:59], exec
	v_mbcnt_lo_u32_b32 v0, s58, 0
	v_mbcnt_hi_u32_b32 v0, s59, v0
	v_cmp_eq_u32_e32 vcc, 0, v0
	s_waitcnt vmcnt(0) lgkmcnt(0)
	buffer_wbinvl1_vol
	s_and_saveexec_b64 s[56:57], vcc
	s_cbranch_execz .LBB2_105
; %bb.104:                              ;   in Loop: Header=BB2_57 Depth=2
	s_bcnt1_i32_b64 vcc_lo, s[58:59]
	v_mov_b32_e32 v4, vcc_lo
	v_mov_b32_e32 v5, v52
	ds_add_u64 v0, v[4:5]
	s_trap 2
.LBB2_105:                              ;   in Loop: Header=BB2_57 Depth=2
	s_or_b64 exec, exec, s[56:57]
	s_trap 2
	ds_read_b64 v[4:5], v0
	v_add_co_u32_e32 v48, vcc, v48, v54
	v_addc_co_u32_e32 v49, vcc, 0, v49, vcc
	s_waitcnt lgkmcnt(0)
	v_cmp_lt_u64_e32 vcc, v[4:5], v[48:49]
	s_and_saveexec_b64 s[56:57], vcc
	s_cbranch_execz .LBB2_114
; %bb.106:                              ;   in Loop: Header=BB2_57 Depth=2
	s_mov_b32 s68, 0
	s_mov_b64 s[58:59], 0
                                        ; implicit-def: $sgpr60_sgpr61
                                        ; implicit-def: $sgpr62_sgpr63
	s_branch .LBB2_108
.LBB2_107:                              ;   in Loop: Header=BB2_108 Depth=3
	s_or_b64 exec, exec, s[66:67]
	s_and_b64 vcc, exec, vcc
	s_or_b64 s[58:59], vcc, s[58:59]
	s_andn2_b64 vcc, s[60:61], exec
	s_and_b64 s[60:61], s[62:63], exec
	s_or_b64 s[60:61], vcc, s[60:61]
	s_andn2_b64 exec, exec, s[58:59]
	s_cbranch_execz .LBB2_112
.LBB2_108:                              ;   Parent Loop BB2_47 Depth=1
                                        ;     Parent Loop BB2_57 Depth=2
                                        ; =>    This Inner Loop Header: Depth=3
	s_add_i32 s68, s68, 1
	s_cmpk_lg_i32 s68, 0x2710
	s_cselect_b64 s[64:65], -1, 0
	s_and_b64 vcc, exec, s[64:65]
                                        ; implicit-def: $sgpr66_sgpr67
	s_cbranch_vccnz .LBB2_110
; %bb.109:                              ;   in Loop: Header=BB2_108 Depth=3
	s_trap 2
	ds_read_b64 v[4:5], v0
	s_andn2_b64 s[64:65], s[64:65], exec
	s_mov_b32 s68, 0
	s_mov_b64 s[66:67], -1
	s_waitcnt lgkmcnt(0)
	flat_load_dword v0, v[4:5] glc
	s_waitcnt vmcnt(0) lgkmcnt(0)
	buffer_invl2
	buffer_wbinvl1_vol
	v_cmp_eq_u32_e32 vcc, 0, v0
	s_and_b64 vcc, vcc, exec
	s_or_b64 s[64:65], s[64:65], vcc
.LBB2_110:                              ;   in Loop: Header=BB2_108 Depth=3
	s_andn2_b64 s[62:63], s[62:63], exec
	s_and_b64 s[66:67], s[66:67], exec
	s_mov_b64 vcc, -1
	s_or_b64 s[62:63], s[62:63], s[66:67]
	s_and_saveexec_b64 s[66:67], s[64:65]
	s_cbranch_execz .LBB2_107
; %bb.111:                              ;   in Loop: Header=BB2_108 Depth=3
	s_sleep 1
	s_trap 2
	ds_read_b64 v[4:5], v0
	s_andn2_b64 s[62:63], s[62:63], exec
	s_waitcnt lgkmcnt(0)
	v_cmp_ge_u64_e32 vcc, v[4:5], v[48:49]
	s_orn2_b64 vcc, vcc, exec
	s_branch .LBB2_107
.LBB2_112:                              ;   in Loop: Header=BB2_57 Depth=2
	s_or_b64 exec, exec, s[58:59]
	s_and_saveexec_b64 vcc, s[60:61]
	s_xor_b64 vcc, exec, vcc
	s_cbranch_execz .LBB2_114
; %bb.113:                              ;   in Loop: Header=BB2_57 Depth=2
	ds_write_b32 v0, v43
	s_trap 2
.LBB2_114:                              ;   in Loop: Header=BB2_57 Depth=2
	s_or_b64 exec, exec, s[56:57]
	;;#ASMSTART
	s_wakeup
	;;#ASMEND
.LBB2_115:                              ;   in Loop: Header=BB2_57 Depth=2
	s_or_b64 exec, exec, s[38:39]
.LBB2_116:                              ;   in Loop: Header=BB2_57 Depth=2
	s_andn2_saveexec_b64 vcc, s[36:37]
	s_cbranch_execz .LBB2_118
; %bb.117:                              ;   in Loop: Header=BB2_57 Depth=2
	s_waitcnt vmcnt(0) lgkmcnt(0)
	buffer_wbinvl1_vol
	s_barrier
.LBB2_118:                              ;   in Loop: Header=BB2_57 Depth=2
	s_or_b64 exec, exec, vcc
.LBB2_119:                              ;   in Loop: Header=BB2_57 Depth=2
	s_or_b64 exec, exec, s[26:27]
	s_trap 2
	ds_read_b64 v[4:5], v0
	v_mov_b32_e32 v9, 0
	s_waitcnt lgkmcnt(0)
	v_readfirstlane_b32 s26, v4
	v_readfirstlane_b32 s27, v5
	s_cmp_eq_u64 s[26:27], 0
	s_cselect_b64 s[26:27], -1, 0
	s_or_b64 s[26:27], s[26:27], s[26:27]
	s_and_b64 vcc, exec, s[26:27]
	s_cbranch_vccnz .LBB2_140
; %bb.120:                              ;   in Loop: Header=BB2_57 Depth=2
	s_mov_b64 s[26:27], -1
	s_and_saveexec_b64 s[36:37], s[18:19]
	s_cbranch_execz .LBB2_122
; %bb.121:                              ;   in Loop: Header=BB2_57 Depth=2
	ds_read_b32 v0, v0 offset:720
	s_waitcnt lgkmcnt(0)
	v_and_b32_e32 v0, 15, v0
	v_cmp_eq_u32_e32 vcc, 0, v0
	s_orn2_b64 s[26:27], vcc, exec
.LBB2_122:                              ;   in Loop: Header=BB2_57 Depth=2
	s_or_b64 exec, exec, s[36:37]
	s_and_saveexec_b64 s[36:37], s[20:21]
	s_cbranch_execz .LBB2_124
; %bb.123:                              ;   in Loop: Header=BB2_57 Depth=2
	ds_read_b32 v0, v0 offset:784
	s_waitcnt lgkmcnt(0)
	v_and_b32_e32 v0, 15, v0
	v_cmp_eq_u32_e32 vcc, 0, v0
	s_and_b64 vcc, s[26:27], vcc
	s_andn2_b64 s[26:27], s[26:27], exec
	s_and_b64 vcc, vcc, exec
	s_or_b64 s[26:27], s[26:27], vcc
.LBB2_124:                              ;   in Loop: Header=BB2_57 Depth=2
	s_or_b64 exec, exec, s[36:37]
	v_cmp_eq_u32_e32 vcc, 0, v3
	s_xor_b64 s[26:27], s[26:27], -1
	v_cndmask_b32_e32 v9, 0, v2, vcc
	v_cndmask_b32_e64 v0, 0, 1, s[26:27]
	v_mov_b32_e32 v13, 0
	v_lshlrev_b32_e32 v17, 1, v9
	s_mov_b64 s[38:39], -1
	;;#ASMSTART
	;;#ASMEND
	v_cmp_ne_u32_e32 vcc, 0, v0
	s_cbranch_vccz .LBB2_141
; %bb.125:                              ;   in Loop: Header=BB2_57 Depth=2
	v_mov_b32_e32 v18, v56
	v_mov_b32_e32 v3, v57
	s_and_saveexec_b64 s[26:27], s[38:39]
	s_cbranch_execz .LBB2_154
.LBB2_126:                              ;   in Loop: Header=BB2_57 Depth=2
	v_ashrrev_i32_e32 v0, 31, v17
	v_lshrrev_b32_e32 v0, 23, v0
	v_add_u32_e32 v0, v17, v0
	v_ashrrev_i32_e32 v21, 9, v0
	v_sub_u32_e32 v19, v21, v3
	v_ashrrev_i32_e32 v0, 31, v18
	v_cmp_lt_i32_e32 vcc, 0, v19
	v_lshrrev_b32_e32 v20, 26, v0
	s_and_saveexec_b64 s[36:37], vcc
	s_cbranch_execz .LBB2_130
; %bb.127:                              ;   in Loop: Header=BB2_57 Depth=2
	s_trap 2
	ds_read_b64 v[4:5], v0
	v_add_u32_e32 v0, v18, v20
	v_and_b32_e32 v0, 0x7fffffc0, v0
	v_sub_u32_e32 v0, v18, v0
	v_lshlrev_b32_e32 v0, 1, v0
	v_lshlrev_b32_e32 v3, 9, v3
	v_add3_u32 v12, v0, v13, v3
	v_ashrrev_i32_e32 v3, 31, v12
	s_mov_b64 s[38:39], 0
	s_waitcnt lgkmcnt(0)
	v_pk_mov_b32 v[14:15], v[4:5], v[4:5] op_sel:[0,1]
.LBB2_128:                              ;   Parent Loop BB2_47 Depth=1
                                        ;     Parent Loop BB2_57 Depth=2
                                        ; =>    This Inner Loop Header: Depth=3
	v_add_co_u32_e32 v22, vcc, v12, v14
	v_addc_co_u32_e32 v23, vcc, v3, v15, vcc
	flat_load_ushort v0, v[22:23] glc slc
	flat_load_ushort v24, v[22:23] offset:128 glc slc
	flat_load_ushort v25, v[22:23] offset:256 glc slc
	;; [unrolled: 1-line block ×3, first 2 shown]
	v_add_co_u32_e32 v22, vcc, v12, v4
	v_addc_co_u32_e32 v23, vcc, v3, v5, vcc
	v_add_co_u32_e32 v14, vcc, v14, v55
	v_addc_co_u32_e32 v15, vcc, v15, v31, vcc
	v_add_co_u32_e32 v4, vcc, v4, v55
	v_sub_u32_e32 v19, v19, v54
	v_addc_co_u32_e32 v5, vcc, v5, v31, vcc
	v_cmp_gt_i32_e32 vcc, 1, v19
	s_or_b64 s[38:39], vcc, s[38:39]
	s_waitcnt vmcnt(0) lgkmcnt(0)
	flat_store_short v[22:23], v0 glc slc
	flat_store_short v[22:23], v24 offset:128 glc slc
	flat_store_short v[22:23], v25 offset:256 glc slc
	;; [unrolled: 1-line block ×3, first 2 shown]
	s_andn2_b64 exec, exec, s[38:39]
	s_cbranch_execnz .LBB2_128
; %bb.129:                              ;   in Loop: Header=BB2_57 Depth=2
	s_or_b64 exec, exec, s[38:39]
.LBB2_130:                              ;   in Loop: Header=BB2_57 Depth=2
	s_or_b64 exec, exec, s[36:37]
	v_lshlrev_b32_e32 v0, 9, v21
	v_cmp_ne_u32_e32 vcc, v17, v0
	s_and_saveexec_b64 s[36:37], vcc
	s_cbranch_execz .LBB2_134
; %bb.131:                              ;   in Loop: Header=BB2_57 Depth=2
	v_add_u32_e32 v3, v18, v20
	v_and_b32_e32 v3, 0xffffffc0, v3
	v_sub_u32_e32 v3, v18, v3
	v_lshlrev_b32_e32 v4, 6, v19
	v_sub_u32_e32 v3, v3, v4
	v_ashrrev_i32_e32 v4, 31, v3
	v_lshrrev_b32_e32 v4, 26, v4
	v_add_u32_e32 v4, v3, v4
	v_and_b32_e32 v5, 0x7fffffc0, v4
	v_sub_u32_e32 v3, v3, v5
	v_lshlrev_b32_e32 v4, 1, v4
	v_and_b32_e32 v4, 0xffffff80, v4
	v_lshlrev_b32_e32 v3, 1, v3
	v_add3_u32 v0, v4, v3, v0
	v_sub_u32_e32 v14, v17, v0
	v_cmp_lt_i32_e32 vcc, 1, v14
	s_and_b64 exec, exec, vcc
	s_cbranch_execz .LBB2_134
; %bb.132:                              ;   in Loop: Header=BB2_57 Depth=2
	s_trap 2
	ds_read_b64 v[4:5], v0
	v_add_u32_e32 v12, v0, v13
	v_ashrrev_i32_e32 v3, 31, v12
	s_mov_b64 s[38:39], 0
.LBB2_133:                              ;   Parent Loop BB2_47 Depth=1
                                        ;     Parent Loop BB2_57 Depth=2
                                        ; =>    This Inner Loop Header: Depth=3
	s_waitcnt lgkmcnt(0)
	v_add_co_u32_e32 v18, vcc, v4, v12
	v_addc_co_u32_e32 v19, vcc, v5, v3, vcc
	flat_load_ushort v0, v[18:19] glc slc
	v_add_co_u32_e32 v12, vcc, v12, v61
	v_sub_u32_e32 v14, v14, v27
	v_addc_co_u32_e32 v3, vcc, v3, v28, vcc
	v_cmp_gt_i32_e32 vcc, 2, v14
	s_or_b64 s[38:39], vcc, s[38:39]
	s_waitcnt vmcnt(0) lgkmcnt(0)
	flat_store_short v[18:19], v0 glc slc
	s_andn2_b64 exec, exec, s[38:39]
	s_cbranch_execnz .LBB2_133
.LBB2_134:                              ;   in Loop: Header=BB2_57 Depth=2
	s_or_b64 exec, exec, s[36:37]
	s_or_b64 exec, exec, s[26:27]
	s_and_saveexec_b64 s[26:27], s[10:11]
	s_cbranch_execnz .LBB2_155
.LBB2_135:                              ;   in Loop: Header=BB2_57 Depth=2
	s_or_b64 exec, exec, s[26:27]
                                        ; implicit-def: $vgpr3
	s_and_saveexec_b64 s[26:27], s[24:25]
	s_xor_b64 s[36:37], exec, s[26:27]
	s_cbranch_execz .LBB2_173
.LBB2_136:                              ;   in Loop: Header=BB2_57 Depth=2
	v_and_b32_e32 v0, 16, v62
	v_cmp_lt_i32_e32 vcc, 0, v9
	v_cmp_ne_u32_e64 s[26:27], 0, v0
	v_and_b32_e32 v3, 16, v62
	s_and_b64 vcc, s[26:27], vcc
	s_and_saveexec_b64 s[26:27], vcc
	s_cbranch_execz .LBB2_138
; %bb.137:                              ;   in Loop: Header=BB2_57 Depth=2
	v_mov_b32_e32 v3, 1
	s_waitcnt vmcnt(0) lgkmcnt(0)
	buffer_wbinvl1_vol
.LBB2_138:                              ;   in Loop: Header=BB2_57 Depth=2
	s_or_b64 exec, exec, s[26:27]
	s_andn2_saveexec_b64 s[26:27], s[36:37]
	s_cbranch_execnz .LBB2_174
.LBB2_139:                              ;   in Loop: Header=BB2_57 Depth=2
	s_or_b64 exec, exec, s[26:27]
	v_cmp_ne_u32_e32 vcc, 0, v3
	s_and_saveexec_b64 s[26:27], vcc
	s_cbranch_execz .LBB2_56
	s_branch .LBB2_192
.LBB2_140:                              ;   in Loop: Header=BB2_57 Depth=2
	s_and_saveexec_b64 s[26:27], s[10:11]
	s_cbranch_execnz .LBB2_155
	s_branch .LBB2_135
.LBB2_141:                              ;   in Loop: Header=BB2_57 Depth=2
	v_ashrrev_i32_e32 v0, 31, v17
	v_lshrrev_b32_e32 v0, 22, v0
	v_add_u32_e32 v0, v17, v0
	v_and_b32_e32 v14, 0xfffffc00, v0
	v_accvgpr_read_b32 v4, a18
	v_sub_u32_e32 v20, v17, v14
	v_sub_u32_e32 v3, v17, v4
	v_ashrrev_i32_e32 v4, 10, v0
	v_cmp_lt_i32_e32 vcc, 15, v20
	v_accvgpr_read_b32 v0, a25
	v_addc_co_u32_e64 v19, s[26:27], v4, v0, vcc
	v_cmp_lt_i32_e64 s[26:27], 15, v3
	v_accvgpr_read_b32 v5, a19
	s_and_saveexec_b64 s[36:37], s[26:27]
	s_cbranch_execz .LBB2_145
; %bb.142:                              ;   in Loop: Header=BB2_57 Depth=2
	s_trap 2
	ds_read_b64 v[4:5], v0
	v_accvgpr_read_b32 v12, a18
	s_mov_b64 s[38:39], 0
	v_accvgpr_read_b32 v13, a19
.LBB2_143:                              ;   Parent Loop BB2_47 Depth=1
                                        ;     Parent Loop BB2_57 Depth=2
                                        ; =>    This Inner Loop Header: Depth=3
	s_waitcnt lgkmcnt(0)
	v_add_co_u32_e64 v40, s[26:27], v4, v12
	v_addc_co_u32_e64 v41, s[26:27], v5, v13, s[26:27]
	global_load_dwordx4 v[22:25], v[40:41], off glc slc
	v_add_co_u32_e64 v12, s[26:27], v12, v1
	v_sub_u32_e32 v3, v3, v26
	v_addc_co_u32_e64 v13, s[26:27], v13, v60, s[26:27]
	v_cmp_gt_i32_e64 s[26:27], 16, v3
	v_sub_u32_e32 v19, v19, v54
	s_or_b64 s[38:39], s[26:27], s[38:39]
	s_waitcnt vmcnt(0)
	global_store_dwordx4 v[40:41], v[22:25], off glc slc
	s_andn2_b64 exec, exec, s[38:39]
	s_cbranch_execnz .LBB2_143
; %bb.144:                              ;   in Loop: Header=BB2_57 Depth=2
	s_or_b64 exec, exec, s[38:39]
.LBB2_145:                              ;   in Loop: Header=BB2_57 Depth=2
	s_or_b64 exec, exec, s[36:37]
	v_and_b32_e32 v0, 14, v17
	v_cndmask_b32_e32 v15, v20, v0, vcc
	v_cmp_ne_u32_e64 s[26:27], 0, v15
	s_mov_b64 s[38:39], 0
	v_mov_b32_e32 v13, 0
                                        ; implicit-def: $vgpr17
                                        ; implicit-def: $vgpr18
                                        ; implicit-def: $vgpr3
	s_and_saveexec_b64 s[36:37], s[26:27]
	s_cbranch_execz .LBB2_153
; %bb.146:                              ;   in Loop: Header=BB2_57 Depth=2
	v_sub_u32_e32 v0, v20, v0
	v_cndmask_b32_e32 v0, 0, v0, vcc
	v_cmp_lt_i32_e32 vcc, 0, v19
	v_add_u32_e32 v14, v0, v14
	v_cndmask_b32_e32 v0, 0, v54, vcc
	v_sub_u32_e32 v0, v0, v19
	v_accvgpr_read_b32 v3, a24
	v_lshl_add_u32 v0, v0, 6, v3
	v_ashrrev_i32_e32 v3, 31, v0
	v_lshrrev_b32_e32 v3, 26, v3
	v_add_u32_e32 v3, v0, v3
	v_ashrrev_i32_e32 v4, 6, v3
	v_and_b32_e32 v3, 0xffffffc0, v3
	v_sub_u32_e32 v19, v0, v3
	v_ashrrev_i32_e32 v3, 31, v15
	v_lshrrev_b32_e32 v3, 22, v3
	v_add_u32_e32 v3, v15, v3
	v_and_b32_e32 v20, 0xfffffc00, v3
	v_lshlrev_b32_e32 v0, 4, v19
	v_sub_u32_e32 v22, v15, v20
	v_lshl_add_u32 v0, v4, 10, v0
	v_ashrrev_i32_e32 v5, 10, v3
	v_cmp_lt_i32_e32 vcc, 15, v22
	v_sub_u32_e32 v13, v15, v0
	v_addc_co_u32_e64 v3, s[26:27], 0, v5, vcc
	v_sub_u32_e32 v21, v3, v4
	v_cmp_lt_i32_e64 s[26:27], 15, v13
	s_and_saveexec_b64 s[38:39], s[26:27]
	s_cbranch_execz .LBB2_150
; %bb.147:                              ;   in Loop: Header=BB2_57 Depth=2
	s_trap 2
	ds_read_b64 v[4:5], v0
	v_add_u32_e32 v12, v0, v14
	v_ashrrev_i32_e32 v3, 31, v12
	s_mov_b64 s[56:57], 0
.LBB2_148:                              ;   Parent Loop BB2_47 Depth=1
                                        ;     Parent Loop BB2_57 Depth=2
                                        ; =>    This Inner Loop Header: Depth=3
	s_waitcnt lgkmcnt(0)
	v_add_co_u32_e64 v24, s[26:27], v4, v12
	v_addc_co_u32_e64 v25, s[26:27], v5, v3, s[26:27]
	global_load_dwordx4 v[40:43], v[24:25], off glc slc
	v_add_co_u32_e64 v12, s[26:27], v12, v1
	v_sub_u32_e32 v13, v13, v26
	v_addc_co_u32_e64 v3, s[26:27], v3, v60, s[26:27]
	v_cmp_gt_i32_e64 s[26:27], 16, v13
	v_sub_u32_e32 v21, v21, v54
	s_or_b64 s[56:57], s[26:27], s[56:57]
	s_waitcnt vmcnt(0)
	global_store_dwordx4 v[24:25], v[40:43], off glc slc
	s_andn2_b64 exec, exec, s[56:57]
	s_cbranch_execnz .LBB2_148
; %bb.149:                              ;   in Loop: Header=BB2_57 Depth=2
	s_or_b64 exec, exec, s[56:57]
	v_mov_b32_e32 v43, 1
.LBB2_150:                              ;   in Loop: Header=BB2_57 Depth=2
	s_or_b64 exec, exec, s[38:39]
	v_and_b32_e32 v0, 14, v15
	v_cndmask_b32_e32 v17, v22, v0, vcc
	v_cmp_ne_u32_e64 s[26:27], 0, v17
	s_mov_b64 s[38:39], 0
	v_mov_b32_e32 v13, 0
                                        ; implicit-def: $vgpr18
                                        ; implicit-def: $vgpr3
	s_and_saveexec_b64 s[56:57], s[26:27]
	s_cbranch_execz .LBB2_152
; %bb.151:                              ;   in Loop: Header=BB2_57 Depth=2
	v_sub_u32_e32 v0, v22, v0
	v_cndmask_b32_e32 v0, 0, v0, vcc
	v_cmp_lt_i32_e32 vcc, 0, v21
	v_add3_u32 v13, v20, v14, v0
	v_cndmask_b32_e32 v0, 0, v54, vcc
	v_sub_u32_e32 v0, v0, v21
	v_lshl_add_u32 v18, v0, 6, v19
	v_ashrrev_i32_e32 v0, 31, v18
	v_lshrrev_b32_e32 v0, 26, v0
	v_add_u32_e32 v0, v18, v0
	s_mov_b64 s[38:39], exec
	v_ashrrev_i32_e32 v3, 6, v0
.LBB2_152:                              ;   in Loop: Header=BB2_57 Depth=2
	s_or_b64 exec, exec, s[56:57]
	s_and_b64 s[38:39], s[38:39], exec
.LBB2_153:                              ;   in Loop: Header=BB2_57 Depth=2
	s_or_b64 exec, exec, s[36:37]
	s_and_saveexec_b64 s[26:27], s[38:39]
	s_cbranch_execnz .LBB2_126
.LBB2_154:                              ;   in Loop: Header=BB2_57 Depth=2
	s_or_b64 exec, exec, s[26:27]
	s_and_saveexec_b64 s[26:27], s[10:11]
	s_cbranch_execz .LBB2_135
.LBB2_155:                              ;   in Loop: Header=BB2_57 Depth=2
	s_and_saveexec_b64 vcc, s[48:49]
	s_xor_b64 s[36:37], exec, vcc
	s_cbranch_execz .LBB2_170
; %bb.156:                              ;   in Loop: Header=BB2_57 Depth=2
	s_and_saveexec_b64 s[38:39], s[16:17]
	s_cbranch_execz .LBB2_169
; %bb.157:                              ;   in Loop: Header=BB2_57 Depth=2
	s_mov_b64 s[58:59], exec
	v_mbcnt_lo_u32_b32 v0, s58, 0
	v_mbcnt_hi_u32_b32 v0, s59, v0
	v_cmp_eq_u32_e32 vcc, 0, v0
	s_waitcnt vmcnt(0) lgkmcnt(0)
	buffer_wbinvl1_vol
	s_and_saveexec_b64 s[56:57], vcc
	s_cbranch_execz .LBB2_159
; %bb.158:                              ;   in Loop: Header=BB2_57 Depth=2
	s_bcnt1_i32_b64 vcc_lo, s[58:59]
	v_mov_b32_e32 v4, vcc_lo
	v_mov_b32_e32 v5, v52
	ds_add_u64 v0, v[4:5]
	s_trap 2
.LBB2_159:                              ;   in Loop: Header=BB2_57 Depth=2
	s_or_b64 exec, exec, s[56:57]
	s_trap 2
	ds_read_b64 v[4:5], v0
	v_add_co_u32_e32 v48, vcc, v48, v54
	v_addc_co_u32_e32 v49, vcc, 0, v49, vcc
	s_waitcnt lgkmcnt(0)
	v_cmp_lt_u64_e32 vcc, v[4:5], v[48:49]
	s_and_saveexec_b64 s[56:57], vcc
	s_cbranch_execz .LBB2_168
; %bb.160:                              ;   in Loop: Header=BB2_57 Depth=2
	s_mov_b32 s68, 0
	s_mov_b64 s[58:59], 0
                                        ; implicit-def: $sgpr60_sgpr61
                                        ; implicit-def: $sgpr62_sgpr63
	s_branch .LBB2_162
.LBB2_161:                              ;   in Loop: Header=BB2_162 Depth=3
	s_or_b64 exec, exec, s[66:67]
	s_and_b64 vcc, exec, vcc
	s_or_b64 s[58:59], vcc, s[58:59]
	s_andn2_b64 vcc, s[60:61], exec
	s_and_b64 s[60:61], s[62:63], exec
	s_or_b64 s[60:61], vcc, s[60:61]
	s_andn2_b64 exec, exec, s[58:59]
	s_cbranch_execz .LBB2_166
.LBB2_162:                              ;   Parent Loop BB2_47 Depth=1
                                        ;     Parent Loop BB2_57 Depth=2
                                        ; =>    This Inner Loop Header: Depth=3
	s_add_i32 s68, s68, 1
	s_cmpk_lg_i32 s68, 0x2710
	s_cselect_b64 s[64:65], -1, 0
	s_and_b64 vcc, exec, s[64:65]
                                        ; implicit-def: $sgpr66_sgpr67
	s_cbranch_vccnz .LBB2_164
; %bb.163:                              ;   in Loop: Header=BB2_162 Depth=3
	s_trap 2
	ds_read_b64 v[4:5], v0
	s_andn2_b64 s[64:65], s[64:65], exec
	s_mov_b32 s68, 0
	s_mov_b64 s[66:67], -1
	s_waitcnt lgkmcnt(0)
	flat_load_dword v0, v[4:5] glc
	s_waitcnt vmcnt(0) lgkmcnt(0)
	buffer_invl2
	buffer_wbinvl1_vol
	v_cmp_eq_u32_e32 vcc, 0, v0
	s_and_b64 vcc, vcc, exec
	s_or_b64 s[64:65], s[64:65], vcc
.LBB2_164:                              ;   in Loop: Header=BB2_162 Depth=3
	s_andn2_b64 s[62:63], s[62:63], exec
	s_and_b64 s[66:67], s[66:67], exec
	s_mov_b64 vcc, -1
	s_or_b64 s[62:63], s[62:63], s[66:67]
	s_and_saveexec_b64 s[66:67], s[64:65]
	s_cbranch_execz .LBB2_161
; %bb.165:                              ;   in Loop: Header=BB2_162 Depth=3
	s_sleep 1
	s_trap 2
	ds_read_b64 v[4:5], v0
	s_andn2_b64 s[62:63], s[62:63], exec
	s_waitcnt lgkmcnt(0)
	v_cmp_ge_u64_e32 vcc, v[4:5], v[48:49]
	s_orn2_b64 vcc, vcc, exec
	s_branch .LBB2_161
.LBB2_166:                              ;   in Loop: Header=BB2_57 Depth=2
	s_or_b64 exec, exec, s[58:59]
	s_and_saveexec_b64 vcc, s[60:61]
	s_xor_b64 vcc, exec, vcc
	s_cbranch_execz .LBB2_168
; %bb.167:                              ;   in Loop: Header=BB2_57 Depth=2
	ds_write_b32 v0, v43
	s_trap 2
.LBB2_168:                              ;   in Loop: Header=BB2_57 Depth=2
	s_or_b64 exec, exec, s[56:57]
	;;#ASMSTART
	s_wakeup
	;;#ASMEND
.LBB2_169:                              ;   in Loop: Header=BB2_57 Depth=2
	s_or_b64 exec, exec, s[38:39]
.LBB2_170:                              ;   in Loop: Header=BB2_57 Depth=2
	s_andn2_saveexec_b64 vcc, s[36:37]
	s_cbranch_execz .LBB2_172
; %bb.171:                              ;   in Loop: Header=BB2_57 Depth=2
	s_waitcnt vmcnt(0) lgkmcnt(0)
	buffer_wbinvl1_vol
	s_barrier
.LBB2_172:                              ;   in Loop: Header=BB2_57 Depth=2
	s_or_b64 exec, exec, vcc
	s_or_b64 exec, exec, s[26:27]
                                        ; implicit-def: $vgpr3
	s_and_saveexec_b64 s[26:27], s[24:25]
	s_xor_b64 s[36:37], exec, s[26:27]
	s_cbranch_execnz .LBB2_136
.LBB2_173:                              ;   in Loop: Header=BB2_57 Depth=2
	s_andn2_saveexec_b64 s[26:27], s[36:37]
	s_cbranch_execz .LBB2_139
.LBB2_174:                              ;   in Loop: Header=BB2_57 Depth=2
	s_and_saveexec_b64 vcc, s[48:49]
	s_xor_b64 s[36:37], exec, vcc
	s_cbranch_execz .LBB2_189
; %bb.175:                              ;   in Loop: Header=BB2_57 Depth=2
	s_and_saveexec_b64 s[38:39], s[16:17]
	s_cbranch_execz .LBB2_188
; %bb.176:                              ;   in Loop: Header=BB2_57 Depth=2
	s_mov_b64 s[58:59], exec
	v_mbcnt_lo_u32_b32 v0, s58, 0
	v_mbcnt_hi_u32_b32 v0, s59, v0
	v_cmp_eq_u32_e32 vcc, 0, v0
	;;#ASMSTART
	s_waitcnt lgkmcnt(0) vmcnt(0)
	;;#ASMEND
	s_and_saveexec_b64 s[56:57], vcc
	s_cbranch_execz .LBB2_178
; %bb.177:                              ;   in Loop: Header=BB2_57 Depth=2
	s_bcnt1_i32_b64 vcc_lo, s[58:59]
	v_mov_b32_e32 v4, vcc_lo
	v_mov_b32_e32 v5, v52
	ds_add_u64 v0, v[4:5]
	s_trap 2
.LBB2_178:                              ;   in Loop: Header=BB2_57 Depth=2
	s_or_b64 exec, exec, s[56:57]
	s_trap 2
	ds_read_b64 v[4:5], v0
	v_add_co_u32_e32 v48, vcc, v48, v54
	v_addc_co_u32_e32 v49, vcc, 0, v49, vcc
	s_waitcnt lgkmcnt(0)
	v_cmp_lt_u64_e32 vcc, v[4:5], v[48:49]
	s_and_saveexec_b64 s[56:57], vcc
	s_cbranch_execz .LBB2_187
; %bb.179:                              ;   in Loop: Header=BB2_57 Depth=2
	s_mov_b32 s68, 0
	s_mov_b64 s[58:59], 0
                                        ; implicit-def: $sgpr60_sgpr61
                                        ; implicit-def: $sgpr62_sgpr63
	s_branch .LBB2_181
.LBB2_180:                              ;   in Loop: Header=BB2_181 Depth=3
	s_or_b64 exec, exec, s[66:67]
	s_and_b64 vcc, exec, vcc
	s_or_b64 s[58:59], vcc, s[58:59]
	s_andn2_b64 vcc, s[60:61], exec
	s_and_b64 s[60:61], s[62:63], exec
	s_or_b64 s[60:61], vcc, s[60:61]
	s_andn2_b64 exec, exec, s[58:59]
	s_cbranch_execz .LBB2_185
.LBB2_181:                              ;   Parent Loop BB2_47 Depth=1
                                        ;     Parent Loop BB2_57 Depth=2
                                        ; =>    This Inner Loop Header: Depth=3
	s_add_i32 s68, s68, 1
	s_cmpk_lg_i32 s68, 0x2710
	s_cselect_b64 s[64:65], -1, 0
	s_and_b64 vcc, exec, s[64:65]
                                        ; implicit-def: $sgpr66_sgpr67
	s_cbranch_vccnz .LBB2_183
; %bb.182:                              ;   in Loop: Header=BB2_181 Depth=3
	s_trap 2
	ds_read_b64 v[4:5], v0
	s_andn2_b64 s[64:65], s[64:65], exec
	s_mov_b32 s68, 0
	s_mov_b64 s[66:67], -1
	s_waitcnt vmcnt(0) lgkmcnt(0)
	flat_load_dword v0, v[4:5] glc
	s_waitcnt vmcnt(0) lgkmcnt(0)
	buffer_invl2
	buffer_wbinvl1_vol
	v_cmp_eq_u32_e32 vcc, 0, v0
	s_and_b64 vcc, vcc, exec
	s_or_b64 s[64:65], s[64:65], vcc
.LBB2_183:                              ;   in Loop: Header=BB2_181 Depth=3
	s_andn2_b64 s[62:63], s[62:63], exec
	s_and_b64 s[66:67], s[66:67], exec
	s_mov_b64 vcc, -1
	s_or_b64 s[62:63], s[62:63], s[66:67]
	s_and_saveexec_b64 s[66:67], s[64:65]
	s_cbranch_execz .LBB2_180
; %bb.184:                              ;   in Loop: Header=BB2_181 Depth=3
	s_sleep 1
	s_trap 2
	ds_read_b64 v[4:5], v0
	s_andn2_b64 s[62:63], s[62:63], exec
	s_waitcnt lgkmcnt(0)
	v_cmp_ge_u64_e32 vcc, v[4:5], v[48:49]
	s_orn2_b64 vcc, vcc, exec
	s_branch .LBB2_180
.LBB2_185:                              ;   in Loop: Header=BB2_57 Depth=2
	s_or_b64 exec, exec, s[58:59]
	s_and_saveexec_b64 vcc, s[60:61]
	s_xor_b64 vcc, exec, vcc
	s_cbranch_execz .LBB2_187
; %bb.186:                              ;   in Loop: Header=BB2_57 Depth=2
	ds_write_b32 v0, v43
	s_trap 2
.LBB2_187:                              ;   in Loop: Header=BB2_57 Depth=2
	s_or_b64 exec, exec, s[56:57]
	;;#ASMSTART
	s_wakeup
	;;#ASMEND
.LBB2_188:                              ;   in Loop: Header=BB2_57 Depth=2
	s_or_b64 exec, exec, s[38:39]
.LBB2_189:                              ;   in Loop: Header=BB2_57 Depth=2
	s_andn2_saveexec_b64 vcc, s[36:37]
	s_cbranch_execz .LBB2_191
; %bb.190:                              ;   in Loop: Header=BB2_57 Depth=2
	;;#ASMSTART
	s_waitcnt lgkmcnt(0) vmcnt(0)
	;;#ASMEND
	s_barrier
.LBB2_191:                              ;   in Loop: Header=BB2_57 Depth=2
	s_or_b64 exec, exec, vcc
	v_and_b32_e32 v3, 16, v62
	s_or_b64 exec, exec, s[26:27]
	v_cmp_ne_u32_e32 vcc, 0, v3
	s_and_saveexec_b64 s[26:27], vcc
	s_cbranch_execz .LBB2_56
.LBB2_192:                              ;   in Loop: Header=BB2_57 Depth=2
	s_and_saveexec_b64 vcc, s[14:15]
	s_cbranch_execz .LBB2_55
; %bb.193:                              ;   in Loop: Header=BB2_57 Depth=2
	flat_store_dword v[58:59], v43
	s_branch .LBB2_55
.LBB2_194:                              ;   in Loop: Header=BB2_47 Depth=1
	s_or_b64 exec, exec, s[30:31]
.LBB2_195:                              ;   in Loop: Header=BB2_47 Depth=1
	s_or_b64 exec, exec, s[28:29]
	v_cmp_gt_i32_e32 vcc, 2, v3
	s_and_saveexec_b64 s[28:29], vcc
	s_cbranch_execz .LBB2_267
; %bb.196:                              ;   in Loop: Header=BB2_47 Depth=1
	v_cmp_eq_u32_e64 s[26:27], 0, v3
	s_mov_b64 s[30:31], 0
	s_branch .LBB2_199
.LBB2_197:                              ;   in Loop: Header=BB2_199 Depth=2
	s_or_b64 exec, exec, vcc
	v_add_co_u32_e32 v32, vcc, 2, v32
	v_addc_co_u32_e32 v33, vcc, 0, v33, vcc
	flat_store_dwordx2 v[34:35], v[32:33]
.LBB2_198:                              ;   in Loop: Header=BB2_199 Depth=2
	s_or_b64 exec, exec, s[26:27]
	v_add_u32_e32 v8, v2, v8
	s_mov_b64 s[26:27], 0
	s_andn2_b64 exec, exec, s[30:31]
	s_cbranch_execz .LBB2_266
.LBB2_199:                              ;   Parent Loop BB2_47 Depth=1
                                        ; =>  This Loop Header: Depth=2
                                        ;       Child Loop BB2_205 Depth 3
                                        ;       Child Loop BB2_234 Depth 3
	;; [unrolled: 1-line block ×3, first 2 shown]
	v_and_b32_e32 v0, 8, v62
	s_mov_b64 s[36:37], -1
	v_cmp_ne_u32_e32 vcc, 0, v0
	s_and_saveexec_b64 s[34:35], vcc
	s_cbranch_execz .LBB2_211
; %bb.200:                              ;   in Loop: Header=BB2_199 Depth=2
	v_add_co_u32_e32 v10, vcc, 8, v50
	v_addc_co_u32_e32 v11, vcc, 0, v51, vcc
	v_add_co_u32_e32 v4, vcc, 2, v32
	v_addc_co_u32_e32 v5, vcc, 0, v33, vcc
	v_cmp_lt_u64_e32 vcc, v[10:11], v[4:5]
	v_mov_b32_e32 v0, 1
	s_and_saveexec_b64 s[36:37], vcc
	s_cbranch_execz .LBB2_210
; %bb.201:                              ;   in Loop: Header=BB2_199 Depth=2
	s_mov_b64 s[38:39], 0
	v_mov_b32_e32 v3, 0
                                        ; implicit-def: $sgpr56_sgpr57
	s_branch .LBB2_205
.LBB2_202:                              ;   in Loop: Header=BB2_205 Depth=3
	s_or_b64 exec, exec, s[64:65]
	v_mov_b32_e32 v0, 0
	s_orn2_b64 s[62:63], s[62:63], exec
.LBB2_203:                              ;   in Loop: Header=BB2_205 Depth=3
	s_or_b64 exec, exec, s[60:61]
	s_andn2_b64 vcc, s[56:57], exec
	s_and_b64 s[56:57], s[62:63], exec
	s_or_b64 s[56:57], vcc, s[56:57]
	v_mov_b32_e32 v3, v0
.LBB2_204:                              ;   in Loop: Header=BB2_205 Depth=3
	s_or_b64 exec, exec, s[58:59]
	s_waitcnt vmcnt(0) lgkmcnt(0)
	v_add_co_u32_e32 v10, vcc, 8, v50
	v_addc_co_u32_e32 v11, vcc, 0, v51, vcc
	v_cmp_ge_u64_e32 vcc, v[10:11], v[4:5]
	s_xor_b64 s[58:59], s[56:57], -1
	s_or_b64 vcc, s[58:59], vcc
	s_and_b64 vcc, exec, vcc
	s_or_b64 s[38:39], vcc, s[38:39]
	s_andn2_b64 exec, exec, s[38:39]
	s_cbranch_execz .LBB2_209
.LBB2_205:                              ;   Parent Loop BB2_47 Depth=1
                                        ;     Parent Loop BB2_199 Depth=2
                                        ; =>    This Inner Loop Header: Depth=3
	s_sleep 1
	flat_load_dwordx2 v[50:51], v[34:35] glc
	v_and_b32_e32 v0, 64, v62
	v_cmp_eq_u32_e32 vcc, 0, v0
	s_andn2_b64 s[56:57], s[56:57], exec
	s_and_saveexec_b64 s[58:59], vcc
	s_cbranch_execz .LBB2_204
; %bb.206:                              ;   in Loop: Header=BB2_205 Depth=3
	v_add_u32_e32 v0, 1, v3
	v_cmp_lt_i32_e32 vcc, s83, v3
	s_mov_b64 s[62:63], -1
	s_and_saveexec_b64 s[60:61], vcc
	s_cbranch_execz .LBB2_203
; %bb.207:                              ;   in Loop: Header=BB2_205 Depth=3
	s_trap 2
	ds_read_b64 v[10:11], v0
	s_waitcnt vmcnt(0) lgkmcnt(0)
	flat_load_dword v0, v[10:11] glc
	s_waitcnt vmcnt(0) lgkmcnt(0)
	buffer_invl2
	buffer_wbinvl1_vol
	v_cmp_ne_u32_e32 vcc, 0, v0
	s_and_saveexec_b64 s[64:65], vcc
	s_cbranch_execz .LBB2_202
; %bb.208:                              ;   in Loop: Header=BB2_205 Depth=3
	v_or_b32_e32 v62, 64, v62
	s_xor_b64 s[62:63], exec, -1
	ds_write_b32 v0, v0
	s_trap 2
	s_branch .LBB2_202
.LBB2_209:                              ;   in Loop: Header=BB2_199 Depth=2
	s_or_b64 exec, exec, s[38:39]
	v_and_b32_e32 v0, 8, v62
.LBB2_210:                              ;   in Loop: Header=BB2_199 Depth=2
	s_or_b64 exec, exec, s[36:37]
	v_cmp_eq_u32_e32 vcc, 0, v0
	s_orn2_b64 s[36:37], vcc, exec
	;;#ASMSTART
	s_wakeup
	;;#ASMEND
.LBB2_211:                              ;   in Loop: Header=BB2_199 Depth=2
	s_or_b64 exec, exec, s[34:35]
	s_xor_b64 s[26:27], s[26:27], -1
	s_and_b64 s[26:27], exec, s[26:27]
	s_or_b64 s[30:31], s[26:27], s[30:31]
	v_sub_u32_e32 v0, v16, v8
	s_xor_b64 s[26:27], s[36:37], -1
	v_min_i32_e32 v2, v2, v0
	s_and_saveexec_b64 s[34:35], s[26:27]
	s_cbranch_execz .LBB2_226
; %bb.212:                              ;   in Loop: Header=BB2_199 Depth=2
	v_and_b32_e32 v0, 0x100, v62
	v_cmp_ne_u32_e32 vcc, 0, v0
	v_and_b32_e32 v9, 7, v32
	s_mov_b64 s[26:27], -1
                                        ; implicit-def: $vgpr4_vgpr5
	s_and_saveexec_b64 s[36:37], vcc
	s_cbranch_execz .LBB2_216
; %bb.213:                              ;   in Loop: Header=BB2_199 Depth=2
	v_accvgpr_read_b32 v4, a12
	v_accvgpr_read_b32 v5, a13
	v_mad_u64_u32 v[10:11], s[26:27], v9, 24, v[4:5]
	flat_load_dword v0, v[10:11]
	v_ashrrev_i32_e32 v3, 31, v2
	v_lshlrev_b64 v[4:5], 1, v[2:3]
	flat_store_dwordx2 v[10:11], v[4:5] offset:8
                                        ; implicit-def: $vgpr4_vgpr5
	s_waitcnt vmcnt(0) lgkmcnt(0)
	v_cmp_ne_u32_e32 vcc, 1, v0
	v_cmp_eq_u32_e64 s[26:27], 1, v0
	s_and_saveexec_b64 s[38:39], s[26:27]
	s_cbranch_execz .LBB2_215
; %bb.214:                              ;   in Loop: Header=BB2_199 Depth=2
	flat_load_dword v4, v[10:11] offset:4 glc
	s_waitcnt vmcnt(0) lgkmcnt(0)
	v_ashrrev_i32_e32 v5, 31, v4
	v_lshrrev_b64 v[4:5], 1, v[4:5]
.LBB2_215:                              ;   in Loop: Header=BB2_199 Depth=2
	s_or_b64 exec, exec, s[38:39]
	s_orn2_b64 s[26:27], vcc, exec
.LBB2_216:                              ;   in Loop: Header=BB2_199 Depth=2
	s_or_b64 exec, exec, s[36:37]
	s_and_saveexec_b64 vcc, s[26:27]
; %bb.217:                              ;   in Loop: Header=BB2_199 Depth=2
	v_mad_i64_i32 v[4:5], s[26:27], v9, v30, 0
; %bb.218:                              ;   in Loop: Header=BB2_199 Depth=2
	s_or_b64 exec, exec, vcc
	v_lshlrev_b64 v[4:5], 1, v[4:5]
	v_add_co_u32_e32 v4, vcc, v36, v4
	v_addc_co_u32_e32 v5, vcc, v37, v5, vcc
	ds_write_b64 v0, v[4:5] offset:784
	v_and_b32_e32 v0, 0x2000, v62
	v_cmp_ne_u32_e32 vcc, 0, v0
	s_and_saveexec_b64 s[26:27], vcc
	s_cbranch_execz .LBB2_220
; %bb.219:                              ;   in Loop: Header=BB2_199 Depth=2
	ds_read_b64 v[4:5], v0 offset:584
	s_waitcnt lgkmcnt(0)
	v_add_co_u32_e32 v4, vcc, 1, v4
	v_addc_co_u32_e32 v5, vcc, 0, v5, vcc
	ds_write_b64 v0, v[4:5] offset:584
.LBB2_220:                              ;   in Loop: Header=BB2_199 Depth=2
	s_or_b64 exec, exec, s[26:27]
	v_add_co_u32_e32 v32, vcc, 2, v32
	v_addc_co_u32_e32 v33, vcc, 0, v33, vcc
	s_or_b64 exec, exec, s[34:35]
	s_and_saveexec_b64 s[26:27], s[10:11]
	s_cbranch_execnz .LBB2_227
.LBB2_221:                              ;   in Loop: Header=BB2_199 Depth=2
	s_or_b64 exec, exec, s[26:27]
                                        ; implicit-def: $vgpr3
	s_and_saveexec_b64 s[26:27], s[24:25]
	s_xor_b64 s[26:27], exec, s[26:27]
	s_cbranch_execz .LBB2_245
.LBB2_222:                              ;   in Loop: Header=BB2_199 Depth=2
	s_trap 2
	ds_read_b32 v0, v0
	v_cmp_lt_i32_e32 vcc, 0, v2
	v_and_b32_e32 v4, 16, v62
	v_and_b32_e32 v3, 16, v62
	s_waitcnt lgkmcnt(0)
	v_readfirstlane_b32 s34, v0
	s_cmp_eq_u32 s34, 0
	s_cselect_b64 s[34:35], -1, 0
	s_and_b64 s[34:35], vcc, s[34:35]
	v_cmp_ne_u32_e32 vcc, 0, v4
	s_and_b64 s[34:35], vcc, s[34:35]
	s_and_saveexec_b64 vcc, s[34:35]
	s_cbranch_execz .LBB2_224
; %bb.223:                              ;   in Loop: Header=BB2_199 Depth=2
	v_mov_b32_e32 v3, 1
	s_waitcnt vmcnt(0)
	buffer_wbinvl1_vol
.LBB2_224:                              ;   in Loop: Header=BB2_199 Depth=2
	s_or_b64 exec, exec, vcc
	s_andn2_saveexec_b64 s[26:27], s[26:27]
	s_cbranch_execnz .LBB2_246
.LBB2_225:                              ;   in Loop: Header=BB2_199 Depth=2
	s_or_b64 exec, exec, s[26:27]
	v_cmp_ne_u32_e32 vcc, 0, v3
	s_and_saveexec_b64 s[26:27], vcc
	s_cbranch_execz .LBB2_198
	s_branch .LBB2_264
.LBB2_226:                              ;   in Loop: Header=BB2_199 Depth=2
	s_or_b64 exec, exec, s[34:35]
	s_and_saveexec_b64 s[26:27], s[10:11]
	s_cbranch_execz .LBB2_221
.LBB2_227:                              ;   in Loop: Header=BB2_199 Depth=2
	s_and_saveexec_b64 vcc, s[48:49]
	s_xor_b64 s[34:35], exec, vcc
	s_cbranch_execz .LBB2_242
; %bb.228:                              ;   in Loop: Header=BB2_199 Depth=2
	s_and_saveexec_b64 s[36:37], s[16:17]
	s_cbranch_execz .LBB2_241
; %bb.229:                              ;   in Loop: Header=BB2_199 Depth=2
	s_mov_b64 s[56:57], exec
	v_mbcnt_lo_u32_b32 v0, s56, 0
	v_mbcnt_hi_u32_b32 v0, s57, v0
	v_cmp_eq_u32_e32 vcc, 0, v0
	s_waitcnt vmcnt(0) lgkmcnt(0)
	buffer_wbinvl1_vol
	s_and_saveexec_b64 s[38:39], vcc
	s_cbranch_execz .LBB2_231
; %bb.230:                              ;   in Loop: Header=BB2_199 Depth=2
	s_bcnt1_i32_b64 vcc_lo, s[56:57]
	v_mov_b32_e32 v4, vcc_lo
	v_mov_b32_e32 v5, v52
	ds_add_u64 v0, v[4:5]
	s_trap 2
.LBB2_231:                              ;   in Loop: Header=BB2_199 Depth=2
	s_or_b64 exec, exec, s[38:39]
	s_trap 2
	ds_read_b64 v[4:5], v0
	v_add_co_u32_e32 v48, vcc, v48, v54
	v_addc_co_u32_e32 v49, vcc, 0, v49, vcc
	s_waitcnt lgkmcnt(0)
	v_cmp_lt_u64_e32 vcc, v[4:5], v[48:49]
	s_and_saveexec_b64 s[38:39], vcc
	s_cbranch_execz .LBB2_240
; %bb.232:                              ;   in Loop: Header=BB2_199 Depth=2
	s_mov_b32 s46, 0
	s_mov_b64 s[56:57], 0
                                        ; implicit-def: $sgpr58_sgpr59
                                        ; implicit-def: $sgpr60_sgpr61
	s_branch .LBB2_234
.LBB2_233:                              ;   in Loop: Header=BB2_234 Depth=3
	s_or_b64 exec, exec, s[64:65]
	s_and_b64 vcc, exec, vcc
	s_or_b64 s[56:57], vcc, s[56:57]
	s_andn2_b64 vcc, s[58:59], exec
	s_and_b64 s[58:59], s[60:61], exec
	s_or_b64 s[58:59], vcc, s[58:59]
	s_andn2_b64 exec, exec, s[56:57]
	s_cbranch_execz .LBB2_238
.LBB2_234:                              ;   Parent Loop BB2_47 Depth=1
                                        ;     Parent Loop BB2_199 Depth=2
                                        ; =>    This Inner Loop Header: Depth=3
	s_add_i32 s46, s46, 1
	s_cmpk_lg_i32 s46, 0x2710
	s_cselect_b64 s[62:63], -1, 0
	s_and_b64 vcc, exec, s[62:63]
                                        ; implicit-def: $sgpr64_sgpr65
	s_cbranch_vccnz .LBB2_236
; %bb.235:                              ;   in Loop: Header=BB2_234 Depth=3
	s_trap 2
	ds_read_b64 v[4:5], v0
	s_andn2_b64 s[62:63], s[62:63], exec
	s_mov_b32 s46, 0
	s_mov_b64 s[64:65], -1
	s_waitcnt lgkmcnt(0)
	flat_load_dword v0, v[4:5] glc
	s_waitcnt vmcnt(0) lgkmcnt(0)
	buffer_invl2
	buffer_wbinvl1_vol
	v_cmp_eq_u32_e32 vcc, 0, v0
	s_and_b64 vcc, vcc, exec
	s_or_b64 s[62:63], s[62:63], vcc
.LBB2_236:                              ;   in Loop: Header=BB2_234 Depth=3
	s_andn2_b64 s[60:61], s[60:61], exec
	s_and_b64 s[64:65], s[64:65], exec
	s_mov_b64 vcc, -1
	s_or_b64 s[60:61], s[60:61], s[64:65]
	s_and_saveexec_b64 s[64:65], s[62:63]
	s_cbranch_execz .LBB2_233
; %bb.237:                              ;   in Loop: Header=BB2_234 Depth=3
	s_sleep 1
	s_trap 2
	ds_read_b64 v[4:5], v0
	s_andn2_b64 s[60:61], s[60:61], exec
	s_waitcnt lgkmcnt(0)
	v_cmp_ge_u64_e32 vcc, v[4:5], v[48:49]
	s_orn2_b64 vcc, vcc, exec
	s_branch .LBB2_233
.LBB2_238:                              ;   in Loop: Header=BB2_199 Depth=2
	s_or_b64 exec, exec, s[56:57]
	s_and_saveexec_b64 vcc, s[58:59]
	s_xor_b64 vcc, exec, vcc
	s_cbranch_execz .LBB2_240
; %bb.239:                              ;   in Loop: Header=BB2_199 Depth=2
	ds_write_b32 v0, v43
	s_trap 2
.LBB2_240:                              ;   in Loop: Header=BB2_199 Depth=2
	s_or_b64 exec, exec, s[38:39]
	;;#ASMSTART
	s_wakeup
	;;#ASMEND
.LBB2_241:                              ;   in Loop: Header=BB2_199 Depth=2
	s_or_b64 exec, exec, s[36:37]
.LBB2_242:                              ;   in Loop: Header=BB2_199 Depth=2
	s_andn2_saveexec_b64 vcc, s[34:35]
	s_cbranch_execz .LBB2_244
; %bb.243:                              ;   in Loop: Header=BB2_199 Depth=2
	s_waitcnt vmcnt(0) lgkmcnt(0)
	buffer_wbinvl1_vol
	s_barrier
.LBB2_244:                              ;   in Loop: Header=BB2_199 Depth=2
	s_or_b64 exec, exec, vcc
	s_or_b64 exec, exec, s[26:27]
                                        ; implicit-def: $vgpr3
	s_and_saveexec_b64 s[26:27], s[24:25]
	s_xor_b64 s[26:27], exec, s[26:27]
	s_cbranch_execnz .LBB2_222
.LBB2_245:                              ;   in Loop: Header=BB2_199 Depth=2
	s_andn2_saveexec_b64 s[26:27], s[26:27]
	s_cbranch_execz .LBB2_225
.LBB2_246:                              ;   in Loop: Header=BB2_199 Depth=2
	s_and_saveexec_b64 vcc, s[48:49]
	s_xor_b64 s[34:35], exec, vcc
	s_cbranch_execz .LBB2_261
; %bb.247:                              ;   in Loop: Header=BB2_199 Depth=2
	s_and_saveexec_b64 s[36:37], s[16:17]
	s_cbranch_execz .LBB2_260
; %bb.248:                              ;   in Loop: Header=BB2_199 Depth=2
	s_mov_b64 s[56:57], exec
	v_mbcnt_lo_u32_b32 v0, s56, 0
	v_mbcnt_hi_u32_b32 v0, s57, v0
	v_cmp_eq_u32_e32 vcc, 0, v0
	;;#ASMSTART
	s_waitcnt lgkmcnt(0) vmcnt(0)
	;;#ASMEND
	s_and_saveexec_b64 s[38:39], vcc
	s_cbranch_execz .LBB2_250
; %bb.249:                              ;   in Loop: Header=BB2_199 Depth=2
	s_bcnt1_i32_b64 vcc_lo, s[56:57]
	v_mov_b32_e32 v4, vcc_lo
	v_mov_b32_e32 v5, v52
	ds_add_u64 v0, v[4:5]
	s_trap 2
.LBB2_250:                              ;   in Loop: Header=BB2_199 Depth=2
	s_or_b64 exec, exec, s[38:39]
	s_trap 2
	ds_read_b64 v[4:5], v0
	v_add_co_u32_e32 v48, vcc, v48, v54
	v_addc_co_u32_e32 v49, vcc, 0, v49, vcc
	s_waitcnt lgkmcnt(0)
	v_cmp_lt_u64_e32 vcc, v[4:5], v[48:49]
	s_and_saveexec_b64 s[38:39], vcc
	s_cbranch_execz .LBB2_259
; %bb.251:                              ;   in Loop: Header=BB2_199 Depth=2
	s_mov_b32 s46, 0
	s_mov_b64 s[56:57], 0
                                        ; implicit-def: $sgpr58_sgpr59
                                        ; implicit-def: $sgpr60_sgpr61
	s_branch .LBB2_253
.LBB2_252:                              ;   in Loop: Header=BB2_253 Depth=3
	s_or_b64 exec, exec, s[64:65]
	s_and_b64 vcc, exec, vcc
	s_or_b64 s[56:57], vcc, s[56:57]
	s_andn2_b64 vcc, s[58:59], exec
	s_and_b64 s[58:59], s[60:61], exec
	s_or_b64 s[58:59], vcc, s[58:59]
	s_andn2_b64 exec, exec, s[56:57]
	s_cbranch_execz .LBB2_257
.LBB2_253:                              ;   Parent Loop BB2_47 Depth=1
                                        ;     Parent Loop BB2_199 Depth=2
                                        ; =>    This Inner Loop Header: Depth=3
	s_add_i32 s46, s46, 1
	s_cmpk_lg_i32 s46, 0x2710
	s_cselect_b64 s[62:63], -1, 0
	s_and_b64 vcc, exec, s[62:63]
                                        ; implicit-def: $sgpr64_sgpr65
	s_cbranch_vccnz .LBB2_255
; %bb.254:                              ;   in Loop: Header=BB2_253 Depth=3
	s_trap 2
	ds_read_b64 v[4:5], v0
	s_andn2_b64 s[62:63], s[62:63], exec
	s_mov_b32 s46, 0
	s_mov_b64 s[64:65], -1
	s_waitcnt vmcnt(0) lgkmcnt(0)
	flat_load_dword v0, v[4:5] glc
	s_waitcnt vmcnt(0) lgkmcnt(0)
	buffer_invl2
	buffer_wbinvl1_vol
	v_cmp_eq_u32_e32 vcc, 0, v0
	s_and_b64 vcc, vcc, exec
	s_or_b64 s[62:63], s[62:63], vcc
.LBB2_255:                              ;   in Loop: Header=BB2_253 Depth=3
	s_andn2_b64 s[60:61], s[60:61], exec
	s_and_b64 s[64:65], s[64:65], exec
	s_mov_b64 vcc, -1
	s_or_b64 s[60:61], s[60:61], s[64:65]
	s_and_saveexec_b64 s[64:65], s[62:63]
	s_cbranch_execz .LBB2_252
; %bb.256:                              ;   in Loop: Header=BB2_253 Depth=3
	s_sleep 1
	s_trap 2
	ds_read_b64 v[4:5], v0
	s_andn2_b64 s[60:61], s[60:61], exec
	s_waitcnt lgkmcnt(0)
	v_cmp_ge_u64_e32 vcc, v[4:5], v[48:49]
	s_orn2_b64 vcc, vcc, exec
	s_branch .LBB2_252
.LBB2_257:                              ;   in Loop: Header=BB2_199 Depth=2
	s_or_b64 exec, exec, s[56:57]
	s_and_saveexec_b64 vcc, s[58:59]
	s_xor_b64 vcc, exec, vcc
	s_cbranch_execz .LBB2_259
; %bb.258:                              ;   in Loop: Header=BB2_199 Depth=2
	ds_write_b32 v0, v43
	s_trap 2
.LBB2_259:                              ;   in Loop: Header=BB2_199 Depth=2
	s_or_b64 exec, exec, s[38:39]
	;;#ASMSTART
	s_wakeup
	;;#ASMEND
.LBB2_260:                              ;   in Loop: Header=BB2_199 Depth=2
	s_or_b64 exec, exec, s[36:37]
.LBB2_261:                              ;   in Loop: Header=BB2_199 Depth=2
	s_andn2_saveexec_b64 vcc, s[34:35]
	s_cbranch_execz .LBB2_263
; %bb.262:                              ;   in Loop: Header=BB2_199 Depth=2
	;;#ASMSTART
	s_waitcnt lgkmcnt(0) vmcnt(0)
	;;#ASMEND
	s_barrier
.LBB2_263:                              ;   in Loop: Header=BB2_199 Depth=2
	s_or_b64 exec, exec, vcc
	v_and_b32_e32 v3, 16, v62
	s_or_b64 exec, exec, s[26:27]
	v_cmp_ne_u32_e32 vcc, 0, v3
	s_and_saveexec_b64 s[26:27], vcc
	s_cbranch_execz .LBB2_198
.LBB2_264:                              ;   in Loop: Header=BB2_199 Depth=2
	s_and_saveexec_b64 vcc, s[14:15]
	s_cbranch_execz .LBB2_197
; %bb.265:                              ;   in Loop: Header=BB2_199 Depth=2
	flat_store_dword v[58:59], v43
	s_branch .LBB2_197
.LBB2_266:                              ;   in Loop: Header=BB2_47 Depth=1
	s_or_b64 exec, exec, s[30:31]
.LBB2_267:                              ;   in Loop: Header=BB2_47 Depth=1
	s_or_b64 exec, exec, s[28:29]
	v_cndmask_b32_e64 v0, 0, 1, s[50:51]
	v_cmp_ne_u32_e64 s[26:27], 1, v0
	s_andn2_b64 vcc, exec, s[50:51]
	s_cbranch_vccnz .LBB2_600
; %bb.268:                              ;   in Loop: Header=BB2_47 Depth=1
	s_mov_b32 s70, 2
	s_branch .LBB2_271
.LBB2_269:                              ;   in Loop: Header=BB2_271 Depth=2
	s_or_b64 exec, exec, s[34:35]
.LBB2_270:                              ;   in Loop: Header=BB2_271 Depth=2
	s_or_b64 exec, exec, s[30:31]
	s_add_i32 s70, s70, 1
	s_cmp_eq_u32 s70, s72
	s_cbranch_scc1 .LBB2_600
.LBB2_271:                              ;   Parent Loop BB2_47 Depth=1
                                        ; =>  This Loop Header: Depth=2
                                        ;       Child Loop BB2_274 Depth 3
                                        ;         Child Loop BB2_282 Depth 4
                                        ;         Child Loop BB2_310 Depth 4
	;; [unrolled: 1-line block ×9, first 2 shown]
                                        ;       Child Loop BB2_528 Depth 3
                                        ;         Child Loop BB2_534 Depth 4
                                        ;         Child Loop BB2_574 Depth 4
	;; [unrolled: 1-line block ×3, first 2 shown]
	s_sub_i32 s28, s76, s70
	s_cmp_le_i32 s72, s28
	s_cselect_b32 s29, s72, 0
	s_sub_i32 s28, s28, s29
	v_accvgpr_read_b32 v6, a30
	s_ashr_i32 s29, s28, 31
	v_accvgpr_read_b32 v7, a31
	v_mul_lo_u32 v0, v6, s29
	v_mul_lo_u32 v2, v7, s28
	v_mad_u64_u32 v[4:5], s[28:29], v6, s28, 0
	v_add3_u32 v5, v5, v0, v2
	v_accvgpr_read_b32 v2, a32
	v_accvgpr_read_b32 v3, a33
	v_sub_co_u32_e32 v2, vcc, v2, v4
	v_subb_co_u32_e32 v3, vcc, v3, v5, vcc
	v_cmp_lt_i64_e32 vcc, v[6:7], v[2:3]
	v_cndmask_b32_e32 v0, v2, v6, vcc
	v_max_i32_e32 v40, 0, v0
	v_add_u32_e32 v2, 31, v40
	v_lshrrev_b32_e32 v2, 1, v2
	v_and_b32_e32 v2, 0x3ffffff0, v2
	v_cmp_lt_i32_e32 vcc, 0, v0
	v_max_i32_e32 v2, s79, v2
	s_and_b64 s[28:29], s[54:55], vcc
	v_mov_b32_e32 v3, 0
	v_mov_b32_e32 v24, 0
	s_and_saveexec_b64 s[34:35], s[28:29]
	s_cbranch_execz .LBB2_525
; %bb.272:                              ;   in Loop: Header=BB2_271 Depth=2
	s_mov_b32 s71, 1
	s_mov_b64 s[38:39], -1
	s_mov_b64 s[36:37], 0
	v_mov_b32_e32 v24, 0
	v_lshlrev_b64 v[42:43], 1, v[4:5]
	s_branch .LBB2_274
.LBB2_273:                              ;   in Loop: Header=BB2_274 Depth=3
	s_or_b64 exec, exec, s[28:29]
	v_add_u32_e32 v24, v2, v24
	v_cmp_ge_i32_e32 vcc, v24, v40
	s_xor_b64 s[28:29], s[38:39], -1
	s_or_b64 s[28:29], s[28:29], vcc
	s_and_b64 s[28:29], exec, s[28:29]
	s_or_b64 s[36:37], s[28:29], s[36:37]
	s_mov_b64 s[38:39], 0
	v_mov_b32_e32 v3, s71
	s_mov_b32 s71, 2
	s_andn2_b64 exec, exec, s[36:37]
	s_cbranch_execz .LBB2_524
.LBB2_274:                              ;   Parent Loop BB2_47 Depth=1
                                        ;     Parent Loop BB2_271 Depth=2
                                        ; =>    This Loop Header: Depth=3
                                        ;         Child Loop BB2_282 Depth 4
                                        ;         Child Loop BB2_310 Depth 4
	;; [unrolled: 1-line block ×9, first 2 shown]
	s_and_saveexec_b64 s[28:29], s[4:5]
	s_cbranch_execz .LBB2_276
; %bb.275:                              ;   in Loop: Header=BB2_274 Depth=3
	s_trap 2
	ds_read_b64 v[4:5], v0
	v_accvgpr_read_b32 v6, a34
	v_accvgpr_read_b32 v7, a35
	v_lshlrev_b64 v[8:9], 1, v[6:7]
	v_ashrrev_i32_e32 v25, 31, v24
	s_waitcnt lgkmcnt(0)
	v_add_co_u32_e32 v0, vcc, v4, v8
	v_addc_co_u32_e32 v3, vcc, v5, v9, vcc
	v_add_co_u32_e32 v0, vcc, v0, v42
	v_addc_co_u32_e32 v3, vcc, v3, v43, vcc
	v_lshlrev_b64 v[4:5], 1, v[24:25]
	v_add_co_u32_e32 v4, vcc, v0, v4
	v_addc_co_u32_e32 v5, vcc, v3, v5, vcc
	v_mov_b32_e32 v53, v52
	ds_write_b64 v0, v[4:5]
	ds_write_b64 v0, v[52:53]
.LBB2_276:                              ;   in Loop: Header=BB2_274 Depth=3
	s_or_b64 exec, exec, s[28:29]
	v_and_b32_e32 v0, 12, v62
	v_cmp_ne_u32_e32 vcc, 0, v0
	s_mov_b64 s[30:31], -1
	s_and_saveexec_b64 s[28:29], vcc
	s_cbranch_execz .LBB2_288
; %bb.277:                              ;   in Loop: Header=BB2_274 Depth=3
	v_and_b32_e32 v4, 8, v62
	v_add_co_u32_e32 v10, vcc, v50, v4
	v_addc_co_u32_e32 v11, vcc, 0, v51, vcc
	v_add_co_u32_e32 v8, vcc, 2, v32
	v_addc_co_u32_e32 v9, vcc, 0, v33, vcc
	v_cmp_lt_u64_e32 vcc, v[10:11], v[8:9]
	v_mov_b32_e32 v0, 1
	s_and_saveexec_b64 s[30:31], vcc
	s_cbranch_execz .LBB2_287
; %bb.278:                              ;   in Loop: Header=BB2_274 Depth=3
	s_mov_b64 s[56:57], 0
	v_mov_b32_e32 v3, 0
                                        ; implicit-def: $sgpr58_sgpr59
	s_branch .LBB2_282
.LBB2_279:                              ;   in Loop: Header=BB2_282 Depth=4
	s_or_b64 exec, exec, s[66:67]
	v_mov_b32_e32 v0, 0
	s_orn2_b64 s[64:65], s[64:65], exec
.LBB2_280:                              ;   in Loop: Header=BB2_282 Depth=4
	s_or_b64 exec, exec, s[62:63]
	s_andn2_b64 vcc, s[58:59], exec
	s_and_b64 s[58:59], s[64:65], exec
	s_or_b64 s[58:59], vcc, s[58:59]
	v_mov_b32_e32 v3, v0
.LBB2_281:                              ;   in Loop: Header=BB2_282 Depth=4
	s_or_b64 exec, exec, s[60:61]
	s_waitcnt vmcnt(0) lgkmcnt(0)
	v_add_co_u32_e32 v10, vcc, v50, v4
	v_addc_co_u32_e32 v11, vcc, 0, v51, vcc
	v_cmp_ge_u64_e32 vcc, v[10:11], v[8:9]
	s_xor_b64 s[60:61], s[58:59], -1
	s_or_b64 vcc, s[60:61], vcc
	s_and_b64 vcc, exec, vcc
	s_or_b64 s[56:57], vcc, s[56:57]
	s_andn2_b64 exec, exec, s[56:57]
	s_cbranch_execz .LBB2_286
.LBB2_282:                              ;   Parent Loop BB2_47 Depth=1
                                        ;     Parent Loop BB2_271 Depth=2
                                        ;       Parent Loop BB2_274 Depth=3
                                        ; =>      This Inner Loop Header: Depth=4
	s_sleep 1
	flat_load_dwordx2 v[50:51], v[34:35] glc
	v_and_b32_e32 v0, 64, v62
	v_cmp_eq_u32_e32 vcc, 0, v0
	s_andn2_b64 s[58:59], s[58:59], exec
	s_and_saveexec_b64 s[60:61], vcc
	s_cbranch_execz .LBB2_281
; %bb.283:                              ;   in Loop: Header=BB2_282 Depth=4
	v_add_u32_e32 v0, 1, v3
	v_cmp_lt_i32_e32 vcc, s83, v3
	s_mov_b64 s[64:65], -1
	s_and_saveexec_b64 s[62:63], vcc
	s_cbranch_execz .LBB2_280
; %bb.284:                              ;   in Loop: Header=BB2_282 Depth=4
	s_trap 2
	ds_read_b64 v[10:11], v0
	s_waitcnt vmcnt(0) lgkmcnt(0)
	flat_load_dword v0, v[10:11] glc
	s_waitcnt vmcnt(0) lgkmcnt(0)
	buffer_invl2
	buffer_wbinvl1_vol
	v_cmp_ne_u32_e32 vcc, 0, v0
	s_and_saveexec_b64 s[66:67], vcc
	s_cbranch_execz .LBB2_279
; %bb.285:                              ;   in Loop: Header=BB2_282 Depth=4
	v_or_b32_e32 v62, 64, v62
	s_xor_b64 s[64:65], exec, -1
	ds_write_b32 v0, v0
	s_trap 2
	s_branch .LBB2_279
.LBB2_286:                              ;   in Loop: Header=BB2_274 Depth=3
	s_or_b64 exec, exec, s[56:57]
	v_and_b32_e32 v0, 12, v62
.LBB2_287:                              ;   in Loop: Header=BB2_274 Depth=3
	s_or_b64 exec, exec, s[30:31]
	v_cmp_eq_u32_e32 vcc, 0, v0
	s_orn2_b64 s[30:31], vcc, exec
	;;#ASMSTART
	s_wakeup
	;;#ASMEND
.LBB2_288:                              ;   in Loop: Header=BB2_274 Depth=3
	s_or_b64 exec, exec, s[28:29]
	v_sub_u32_e32 v0, v40, v24
	s_xor_b64 s[28:29], s[30:31], -1
	v_min_i32_e32 v2, v2, v0
	s_and_saveexec_b64 s[30:31], s[28:29]
	s_cbranch_execz .LBB2_302
; %bb.289:                              ;   in Loop: Header=BB2_274 Depth=3
	v_and_b32_e32 v0, 0x108, v62
	v_cmp_ne_u32_e32 vcc, s84, v0
	v_and_b32_e32 v4, 7, v32
	s_and_saveexec_b64 s[28:29], vcc
	s_xor_b64 s[28:29], exec, s[28:29]
                                        ; implicit-def: $vgpr8_vgpr9
; %bb.290:                              ;   in Loop: Header=BB2_274 Depth=3
	v_mov_b32_e32 v9, v52
; %bb.291:                              ;   in Loop: Header=BB2_274 Depth=3
	s_andn2_saveexec_b64 s[28:29], s[28:29]
	s_cbranch_execz .LBB2_293
; %bb.292:                              ;   in Loop: Header=BB2_274 Depth=3
	v_accvgpr_read_b32 v6, a12
	v_accvgpr_read_b32 v7, a13
	v_ashrrev_i32_e32 v3, 31, v2
	v_mov_b32_e32 v9, v52
	v_mad_u64_u32 v[10:11], vcc, v4, 24, v[6:7]
	v_lshlrev_b64 v[12:13], 1, v[2:3]
	flat_store_dwordx2 v[10:11], v[12:13] offset:8
.LBB2_293:                              ;   in Loop: Header=BB2_274 Depth=3
	s_or_b64 exec, exec, s[28:29]
	v_and_b32_e32 v0, 0x100, v62
	v_cmp_ne_u32_e32 vcc, 0, v0
	s_mov_b64 s[28:29], -1
                                        ; implicit-def: $vgpr10_vgpr11
	s_and_saveexec_b64 s[56:57], vcc
	s_cbranch_execz .LBB2_297
; %bb.294:                              ;   in Loop: Header=BB2_274 Depth=3
	v_accvgpr_read_b32 v6, a12
	v_accvgpr_read_b32 v7, a13
	v_mad_u64_u32 v[12:13], s[28:29], v4, 24, v[6:7]
	v_mov_b32_e32 v0, v13
	v_mad_u64_u32 v[10:11], s[28:29], v9, 24, v[0:1]
	v_mov_b32_e32 v13, v10
	flat_load_dword v0, v[12:13]
                                        ; implicit-def: $vgpr10_vgpr11
	s_waitcnt vmcnt(0) lgkmcnt(0)
	v_cmp_ne_u32_e32 vcc, 1, v0
	v_cmp_eq_u32_e64 s[28:29], 1, v0
	s_and_saveexec_b64 s[58:59], s[28:29]
	s_cbranch_execz .LBB2_296
; %bb.295:                              ;   in Loop: Header=BB2_274 Depth=3
	flat_load_dword v10, v[12:13] offset:4 glc
	s_waitcnt vmcnt(0) lgkmcnt(0)
	v_ashrrev_i32_e32 v11, 31, v10
	v_lshrrev_b64 v[10:11], 1, v[10:11]
.LBB2_296:                              ;   in Loop: Header=BB2_274 Depth=3
	s_or_b64 exec, exec, s[58:59]
	s_orn2_b64 s[28:29], vcc, exec
.LBB2_297:                              ;   in Loop: Header=BB2_274 Depth=3
	s_or_b64 exec, exec, s[56:57]
	s_and_saveexec_b64 vcc, s[28:29]
; %bb.298:                              ;   in Loop: Header=BB2_274 Depth=3
	v_accvgpr_read_b32 v3, a17
	v_mul_lo_u32 v0, v9, v30
	v_mul_lo_u32 v3, v4, v3
	v_mad_u64_u32 v[10:11], s[28:29], v4, v30, 0
	v_add3_u32 v11, v11, v3, v0
; %bb.299:                              ;   in Loop: Header=BB2_274 Depth=3
	s_or_b64 exec, exec, vcc
	v_lshlrev_b64 v[4:5], 1, v[10:11]
	v_add_co_u32_e32 v4, vcc, v36, v4
	v_addc_co_u32_e32 v5, vcc, v37, v5, vcc
	s_trap 2
	ds_write_b64 v0, v[4:5]
	v_and_b32_e32 v0, 0x2000, v62
	v_cmp_ne_u32_e32 vcc, 0, v0
	s_and_saveexec_b64 s[28:29], vcc
	s_cbranch_execz .LBB2_301
; %bb.300:                              ;   in Loop: Header=BB2_274 Depth=3
	ds_read_b64 v[4:5], v0 offset:584
	s_waitcnt lgkmcnt(0)
	v_add_co_u32_e32 v4, vcc, 1, v4
	v_addc_co_u32_e32 v5, vcc, 0, v5, vcc
	ds_write_b64 v0, v[4:5] offset:584
.LBB2_301:                              ;   in Loop: Header=BB2_274 Depth=3
	s_or_b64 exec, exec, s[28:29]
	v_add_co_u32_e32 v32, vcc, 2, v32
	v_addc_co_u32_e32 v33, vcc, 0, v33, vcc
.LBB2_302:                              ;   in Loop: Header=BB2_274 Depth=3
	s_or_b64 exec, exec, s[30:31]
	s_and_saveexec_b64 s[28:29], s[10:11]
	s_cbranch_execz .LBB2_321
; %bb.303:                              ;   in Loop: Header=BB2_274 Depth=3
	s_and_saveexec_b64 vcc, s[48:49]
	s_xor_b64 s[30:31], exec, vcc
	s_cbranch_execz .LBB2_318
; %bb.304:                              ;   in Loop: Header=BB2_274 Depth=3
	s_and_saveexec_b64 s[56:57], s[16:17]
	s_cbranch_execz .LBB2_317
; %bb.305:                              ;   in Loop: Header=BB2_274 Depth=3
	s_mov_b64 s[60:61], exec
	v_mbcnt_lo_u32_b32 v0, s60, 0
	v_mbcnt_hi_u32_b32 v0, s61, v0
	v_cmp_eq_u32_e32 vcc, 0, v0
	s_waitcnt vmcnt(0) lgkmcnt(0)
	buffer_wbinvl1_vol
	s_and_saveexec_b64 s[58:59], vcc
	s_cbranch_execz .LBB2_307
; %bb.306:                              ;   in Loop: Header=BB2_274 Depth=3
	s_bcnt1_i32_b64 vcc_lo, s[60:61]
	v_mov_b32_e32 v4, vcc_lo
	v_mov_b32_e32 v5, v52
	ds_add_u64 v0, v[4:5]
	s_trap 2
.LBB2_307:                              ;   in Loop: Header=BB2_274 Depth=3
	s_or_b64 exec, exec, s[58:59]
	s_trap 2
	ds_read_b64 v[4:5], v0
	v_add_co_u32_e32 v48, vcc, v48, v54
	v_addc_co_u32_e32 v49, vcc, 0, v49, vcc
	s_waitcnt lgkmcnt(0)
	v_cmp_lt_u64_e32 vcc, v[4:5], v[48:49]
	s_and_saveexec_b64 s[58:59], vcc
	s_cbranch_execz .LBB2_316
; %bb.308:                              ;   in Loop: Header=BB2_274 Depth=3
	s_mov_b32 s46, 0
	s_mov_b64 s[60:61], 0
                                        ; implicit-def: $sgpr62_sgpr63
                                        ; implicit-def: $sgpr64_sgpr65
	s_branch .LBB2_310
.LBB2_309:                              ;   in Loop: Header=BB2_310 Depth=4
	s_or_b64 exec, exec, s[68:69]
	s_and_b64 vcc, exec, vcc
	s_or_b64 s[60:61], vcc, s[60:61]
	s_andn2_b64 vcc, s[62:63], exec
	s_and_b64 s[62:63], s[64:65], exec
	s_or_b64 s[62:63], vcc, s[62:63]
	s_andn2_b64 exec, exec, s[60:61]
	s_cbranch_execz .LBB2_314
.LBB2_310:                              ;   Parent Loop BB2_47 Depth=1
                                        ;     Parent Loop BB2_271 Depth=2
                                        ;       Parent Loop BB2_274 Depth=3
                                        ; =>      This Inner Loop Header: Depth=4
	s_add_i32 s46, s46, 1
	s_cmpk_lg_i32 s46, 0x2710
	s_cselect_b64 s[66:67], -1, 0
	s_and_b64 vcc, exec, s[66:67]
                                        ; implicit-def: $sgpr68_sgpr69
	s_cbranch_vccnz .LBB2_312
; %bb.311:                              ;   in Loop: Header=BB2_310 Depth=4
	s_trap 2
	ds_read_b64 v[4:5], v0
	s_andn2_b64 s[66:67], s[66:67], exec
	s_mov_b32 s46, 0
	s_mov_b64 s[68:69], -1
	s_waitcnt lgkmcnt(0)
	flat_load_dword v0, v[4:5] glc
	s_waitcnt vmcnt(0) lgkmcnt(0)
	buffer_invl2
	buffer_wbinvl1_vol
	v_cmp_eq_u32_e32 vcc, 0, v0
	s_and_b64 vcc, vcc, exec
	s_or_b64 s[66:67], s[66:67], vcc
.LBB2_312:                              ;   in Loop: Header=BB2_310 Depth=4
	s_andn2_b64 s[64:65], s[64:65], exec
	s_and_b64 s[68:69], s[68:69], exec
	s_mov_b64 vcc, -1
	s_or_b64 s[64:65], s[64:65], s[68:69]
	s_and_saveexec_b64 s[68:69], s[66:67]
	s_cbranch_execz .LBB2_309
; %bb.313:                              ;   in Loop: Header=BB2_310 Depth=4
	s_sleep 1
	s_trap 2
	ds_read_b64 v[4:5], v0
	s_andn2_b64 s[64:65], s[64:65], exec
	s_waitcnt lgkmcnt(0)
	v_cmp_ge_u64_e32 vcc, v[4:5], v[48:49]
	s_orn2_b64 vcc, vcc, exec
	s_branch .LBB2_309
.LBB2_314:                              ;   in Loop: Header=BB2_274 Depth=3
	s_or_b64 exec, exec, s[60:61]
	s_and_saveexec_b64 vcc, s[62:63]
	s_xor_b64 vcc, exec, vcc
	s_cbranch_execz .LBB2_316
; %bb.315:                              ;   in Loop: Header=BB2_274 Depth=3
	v_mov_b32_e32 v0, 1
	ds_write_b32 v0, v0
	s_trap 2
.LBB2_316:                              ;   in Loop: Header=BB2_274 Depth=3
	s_or_b64 exec, exec, s[58:59]
	;;#ASMSTART
	s_wakeup
	;;#ASMEND
.LBB2_317:                              ;   in Loop: Header=BB2_274 Depth=3
	s_or_b64 exec, exec, s[56:57]
.LBB2_318:                              ;   in Loop: Header=BB2_274 Depth=3
	s_andn2_saveexec_b64 vcc, s[30:31]
	s_cbranch_execz .LBB2_320
; %bb.319:                              ;   in Loop: Header=BB2_274 Depth=3
	s_waitcnt vmcnt(0) lgkmcnt(0)
	buffer_wbinvl1_vol
	s_barrier
.LBB2_320:                              ;   in Loop: Header=BB2_274 Depth=3
	s_or_b64 exec, exec, vcc
.LBB2_321:                              ;   in Loop: Header=BB2_274 Depth=3
	s_or_b64 exec, exec, s[28:29]
	s_trap 2
	ds_read_b32 v4, v0
	v_and_b32_e32 v0, 0x4000, v62
	v_cmp_ne_u32_e32 vcc, 0, v0
	s_xor_b64 s[28:29], s[6:7], -1
	s_and_b64 vcc, s[28:29], vcc
	s_and_saveexec_b64 s[28:29], vcc
	s_cbranch_execz .LBB2_340
; %bb.322:                              ;   in Loop: Header=BB2_274 Depth=3
	s_and_saveexec_b64 vcc, s[48:49]
	s_xor_b64 s[30:31], exec, vcc
	s_cbranch_execz .LBB2_337
; %bb.323:                              ;   in Loop: Header=BB2_274 Depth=3
	s_and_saveexec_b64 s[56:57], s[16:17]
	s_cbranch_execz .LBB2_336
; %bb.324:                              ;   in Loop: Header=BB2_274 Depth=3
	s_mov_b64 s[60:61], exec
	v_mbcnt_lo_u32_b32 v0, s60, 0
	v_mbcnt_hi_u32_b32 v0, s61, v0
	v_cmp_eq_u32_e32 vcc, 0, v0
	s_waitcnt vmcnt(0) lgkmcnt(0)
	buffer_wbinvl1_vol
	s_and_saveexec_b64 s[58:59], vcc
	s_cbranch_execz .LBB2_326
; %bb.325:                              ;   in Loop: Header=BB2_274 Depth=3
	s_bcnt1_i32_b64 vcc_lo, s[60:61]
	v_mov_b32_e32 v8, vcc_lo
	v_mov_b32_e32 v9, v52
	ds_add_u64 v0, v[8:9]
	s_trap 2
.LBB2_326:                              ;   in Loop: Header=BB2_274 Depth=3
	s_or_b64 exec, exec, s[58:59]
	s_trap 2
	ds_read_b64 v[8:9], v0
	v_add_co_u32_e32 v48, vcc, v48, v54
	v_addc_co_u32_e32 v49, vcc, 0, v49, vcc
	s_waitcnt lgkmcnt(0)
	v_cmp_lt_u64_e32 vcc, v[8:9], v[48:49]
	s_and_saveexec_b64 s[58:59], vcc
	s_cbranch_execz .LBB2_335
; %bb.327:                              ;   in Loop: Header=BB2_274 Depth=3
	s_mov_b32 s46, 0
	s_mov_b64 s[60:61], 0
                                        ; implicit-def: $sgpr62_sgpr63
                                        ; implicit-def: $sgpr64_sgpr65
	s_branch .LBB2_329
.LBB2_328:                              ;   in Loop: Header=BB2_329 Depth=4
	s_or_b64 exec, exec, s[68:69]
	s_and_b64 vcc, exec, vcc
	s_or_b64 s[60:61], vcc, s[60:61]
	s_andn2_b64 vcc, s[62:63], exec
	s_and_b64 s[62:63], s[64:65], exec
	s_or_b64 s[62:63], vcc, s[62:63]
	s_andn2_b64 exec, exec, s[60:61]
	s_cbranch_execz .LBB2_333
.LBB2_329:                              ;   Parent Loop BB2_47 Depth=1
                                        ;     Parent Loop BB2_271 Depth=2
                                        ;       Parent Loop BB2_274 Depth=3
                                        ; =>      This Inner Loop Header: Depth=4
	s_add_i32 s46, s46, 1
	s_cmpk_lg_i32 s46, 0x2710
	s_cselect_b64 s[66:67], -1, 0
	s_and_b64 vcc, exec, s[66:67]
                                        ; implicit-def: $sgpr68_sgpr69
	s_cbranch_vccnz .LBB2_331
; %bb.330:                              ;   in Loop: Header=BB2_329 Depth=4
	s_trap 2
	ds_read_b64 v[8:9], v0
	s_andn2_b64 s[66:67], s[66:67], exec
	s_mov_b32 s46, 0
	s_mov_b64 s[68:69], -1
	s_waitcnt lgkmcnt(0)
	flat_load_dword v0, v[8:9] glc
	s_waitcnt vmcnt(0) lgkmcnt(0)
	buffer_invl2
	buffer_wbinvl1_vol
	v_cmp_eq_u32_e32 vcc, 0, v0
	s_and_b64 vcc, vcc, exec
	s_or_b64 s[66:67], s[66:67], vcc
.LBB2_331:                              ;   in Loop: Header=BB2_329 Depth=4
	s_andn2_b64 s[64:65], s[64:65], exec
	s_and_b64 s[68:69], s[68:69], exec
	s_mov_b64 vcc, -1
	s_or_b64 s[64:65], s[64:65], s[68:69]
	s_and_saveexec_b64 s[68:69], s[66:67]
	s_cbranch_execz .LBB2_328
; %bb.332:                              ;   in Loop: Header=BB2_329 Depth=4
	s_sleep 1
	s_trap 2
	ds_read_b64 v[8:9], v0
	s_andn2_b64 s[64:65], s[64:65], exec
	s_waitcnt lgkmcnt(0)
	v_cmp_ge_u64_e32 vcc, v[8:9], v[48:49]
	s_orn2_b64 vcc, vcc, exec
	s_branch .LBB2_328
.LBB2_333:                              ;   in Loop: Header=BB2_274 Depth=3
	s_or_b64 exec, exec, s[60:61]
	s_and_saveexec_b64 vcc, s[62:63]
	s_xor_b64 vcc, exec, vcc
	s_cbranch_execz .LBB2_335
; %bb.334:                              ;   in Loop: Header=BB2_274 Depth=3
	v_mov_b32_e32 v0, 1
	ds_write_b32 v0, v0
	s_trap 2
.LBB2_335:                              ;   in Loop: Header=BB2_274 Depth=3
	s_or_b64 exec, exec, s[58:59]
	;;#ASMSTART
	s_wakeup
	;;#ASMEND
.LBB2_336:                              ;   in Loop: Header=BB2_274 Depth=3
	s_or_b64 exec, exec, s[56:57]
.LBB2_337:                              ;   in Loop: Header=BB2_274 Depth=3
	s_andn2_saveexec_b64 vcc, s[30:31]
	s_cbranch_execz .LBB2_339
; %bb.338:                              ;   in Loop: Header=BB2_274 Depth=3
	s_waitcnt vmcnt(0) lgkmcnt(0)
	buffer_wbinvl1_vol
	s_barrier
.LBB2_339:                              ;   in Loop: Header=BB2_274 Depth=3
	s_or_b64 exec, exec, vcc
.LBB2_340:                              ;   in Loop: Header=BB2_274 Depth=3
	s_or_b64 exec, exec, s[28:29]
	s_trap 2
	ds_read_b64 v[8:9], v0
	v_mov_b32_e32 v3, 0
	s_waitcnt lgkmcnt(0)
	v_readfirstlane_b32 s28, v8
	v_readfirstlane_b32 s29, v9
	s_cmp_eq_u64 s[28:29], 0
	s_cselect_b64 s[28:29], -1, 0
	s_or_b64 s[28:29], s[28:29], s[28:29]
	s_and_b64 vcc, exec, s[28:29]
	s_cbranch_vccnz .LBB2_358
; %bb.341:                              ;   in Loop: Header=BB2_274 Depth=3
	s_trap 2
	ds_read_b64 v[8:9], v0
	s_mov_b64 s[30:31], -1
	s_waitcnt lgkmcnt(0)
	v_readfirstlane_b32 s64, v8
	s_and_saveexec_b64 s[28:29], s[22:23]
	s_cbranch_execz .LBB2_343
; %bb.342:                              ;   in Loop: Header=BB2_274 Depth=3
	ds_read_b32 v0, v0 offset:720
	s_waitcnt lgkmcnt(0)
	v_and_b32_e32 v0, 15, v0
	v_cmp_eq_u32_e32 vcc, 0, v0
	s_orn2_b64 s[30:31], vcc, exec
.LBB2_343:                              ;   in Loop: Header=BB2_274 Depth=3
	s_or_b64 exec, exec, s[28:29]
	s_and_saveexec_b64 s[28:29], s[20:21]
	s_cbranch_execz .LBB2_345
; %bb.344:                              ;   in Loop: Header=BB2_274 Depth=3
	ds_read_b32 v0, v0 offset:784
	s_waitcnt lgkmcnt(0)
	v_and_b32_e32 v0, 15, v0
	v_cmp_eq_u32_e32 vcc, 0, v0
	s_and_b64 vcc, s[30:31], vcc
	s_andn2_b64 s[30:31], s[30:31], exec
	s_and_b64 vcc, vcc, exec
	s_or_b64 s[30:31], s[30:31], vcc
.LBB2_345:                              ;   in Loop: Header=BB2_274 Depth=3
	s_or_b64 exec, exec, s[28:29]
	v_cmp_eq_u32_e32 vcc, 0, v4
	v_cndmask_b32_e32 v3, 0, v2, vcc
	s_xor_b64 vcc, s[30:31], -1
	v_cndmask_b32_e64 v0, 0, 1, vcc
	v_mov_b32_e32 v12, 0
	v_lshlrev_b32_e32 v25, 1, v3
	s_mov_b64 s[28:29], -1
	;;#ASMSTART
	;;#ASMEND
	v_cmp_ne_u32_e32 vcc, 0, v0
	s_cbranch_vccz .LBB2_363
; %bb.346:                              ;   in Loop: Header=BB2_274 Depth=3
	v_mov_b32_e32 v13, v56
	v_mov_b32_e32 v4, v57
	s_and_saveexec_b64 s[30:31], s[28:29]
	s_cbranch_execz .LBB2_482
.LBB2_347:                              ;   in Loop: Header=BB2_274 Depth=3
	v_ashrrev_i32_e32 v0, 31, v25
	v_add_u32_sdwa v0, v25, v0 dst_sel:DWORD dst_unused:UNUSED_PAD src0_sel:DWORD src1_sel:BYTE_3
	v_ashrrev_i32_e32 v16, 8, v0
	v_sub_u32_e32 v14, v16, v4
	v_ashrrev_i32_e32 v0, 31, v13
	v_cmp_lt_i32_e32 vcc, 0, v14
	v_lshrrev_b32_e32 v15, 26, v0
	s_and_saveexec_b64 s[56:57], vcc
	s_cbranch_execz .LBB2_431
; %bb.348:                              ;   in Loop: Header=BB2_274 Depth=3
	v_add_u32_e32 v0, v13, v15
	v_and_b32_e32 v0, 0x7fffffc0, v0
	v_sub_u32_e32 v0, v13, v0
	v_lshlrev_b32_e32 v0, 1, v0
	s_trap 2
	ds_read_b128 v[8:11], v0
	v_lshlrev_b32_e32 v4, 8, v4
	v_add3_u32 v0, v0, v12, v4
	ds_read_b64 v[18:19], v0
	v_ashrrev_i32_e32 v6, 31, v0
	s_waitcnt lgkmcnt(0)
	v_add_co_u32_e32 v4, vcc, v8, v0
	v_addc_co_u32_e32 v5, vcc, v9, v6, vcc
	v_add_co_u32_e32 v8, vcc, v10, v0
	v_addc_co_u32_e32 v9, vcc, v11, v6, vcc
	v_add_co_u32_e32 v10, vcc, v18, v0
	s_and_b32 s46, s64, 1
	v_addc_co_u32_e32 v11, vcc, v19, v6, vcc
	s_cmp_eq_u64 s[46:47], 0
	s_mov_b64 s[58:59], 0
	s_cselect_b64 vcc, -1, 0
	s_branch .LBB2_350
.LBB2_349:                              ;   in Loop: Header=BB2_350 Depth=4
	s_or_b64 exec, exec, s[60:61]
	v_add_co_u32_e64 v4, s[28:29], v4, v47
	v_addc_co_u32_e64 v5, s[28:29], v5, v38, s[28:29]
	v_add_co_u32_e64 v8, s[28:29], v8, v47
	v_addc_co_u32_e64 v9, s[28:29], v9, v38, s[28:29]
	v_sub_u32_e32 v14, v14, v54
	v_cmp_gt_i32_e64 s[28:29], 1, v14
	flat_store_short_d16_hi v[10:11], v17 glc slc
	flat_store_short_d16_hi v[10:11], v18 offset:128 glc slc
	s_or_b64 s[58:59], s[28:29], s[58:59]
	v_add_co_u32_e64 v10, s[28:29], v10, v47
	v_addc_co_u32_e64 v11, s[28:29], v11, v38, s[28:29]
	s_andn2_b64 exec, exec, s[58:59]
	s_cbranch_execz .LBB2_430
.LBB2_350:                              ;   Parent Loop BB2_47 Depth=1
                                        ;     Parent Loop BB2_271 Depth=2
                                        ;       Parent Loop BB2_274 Depth=3
                                        ; =>      This Inner Loop Header: Depth=4
	flat_load_ushort v0, v[4:5] glc slc
	flat_load_ushort v6, v[8:9] glc slc
	flat_load_ushort v18, v[4:5] offset:128 glc slc
	flat_load_ushort v19, v[8:9] offset:128 glc slc
                                        ; implicit-def: $vgpr17
	s_waitcnt vmcnt(0) lgkmcnt(0)
	v_lshlrev_b32_e32 v0, 16, v0
	v_lshlrev_b32_e32 v6, 16, v6
	v_max_f32_e32 v6, v6, v6
	v_max_f32_e32 v0, v0, v0
	v_min_f32_e32 v7, v0, v6
	v_max_f32_e32 v0, v0, v6
	v_cndmask_b32_e32 v0, v0, v7, vcc
	v_and_b32_e32 v6, 0x7f800000, v0
	v_cmp_ne_u32_e64 s[28:29], s85, v6
	s_and_saveexec_b64 s[60:61], s[28:29]
	s_xor_b64 s[28:29], exec, s[60:61]
; %bb.351:                              ;   in Loop: Header=BB2_350 Depth=4
	v_bfe_u32 v6, v0, 16, 1
	v_add3_u32 v17, v0, v6, s86
                                        ; implicit-def: $vgpr0
; %bb.352:                              ;   in Loop: Header=BB2_350 Depth=4
	s_andn2_saveexec_b64 s[60:61], s[28:29]
; %bb.353:                              ;   in Loop: Header=BB2_350 Depth=4
	v_or_b32_e32 v6, 0x10000, v0
	v_cmp_eq_u32_sdwa s[28:29], v0, v52 src0_sel:WORD_0 src1_sel:DWORD
	v_cndmask_b32_e64 v17, v6, v0, s[28:29]
; %bb.354:                              ;   in Loop: Header=BB2_350 Depth=4
	s_or_b64 exec, exec, s[60:61]
	v_lshlrev_b32_e32 v0, 16, v18
	v_lshlrev_b32_e32 v6, 16, v19
	v_max_f32_e32 v6, v6, v6
	v_max_f32_e32 v0, v0, v0
	v_min_f32_e32 v7, v0, v6
	v_max_f32_e32 v0, v0, v6
	v_cndmask_b32_e32 v0, v0, v7, vcc
	v_and_b32_e32 v6, 0x7f800000, v0
	v_cmp_ne_u32_e64 s[28:29], s85, v6
                                        ; implicit-def: $vgpr18
	s_and_saveexec_b64 s[60:61], s[28:29]
	s_xor_b64 s[28:29], exec, s[60:61]
; %bb.355:                              ;   in Loop: Header=BB2_350 Depth=4
	v_bfe_u32 v6, v0, 16, 1
	v_add3_u32 v18, v0, v6, s86
                                        ; implicit-def: $vgpr0
; %bb.356:                              ;   in Loop: Header=BB2_350 Depth=4
	s_andn2_saveexec_b64 s[60:61], s[28:29]
	s_cbranch_execz .LBB2_349
; %bb.357:                              ;   in Loop: Header=BB2_350 Depth=4
	v_or_b32_e32 v6, 0x10000, v0
	v_cmp_eq_u32_sdwa s[28:29], v0, v52 src0_sel:WORD_0 src1_sel:DWORD
	v_cndmask_b32_e64 v18, v6, v0, s[28:29]
	s_branch .LBB2_349
.LBB2_358:                              ;   in Loop: Header=BB2_274 Depth=3
	s_and_saveexec_b64 s[28:29], s[10:11]
	s_cbranch_execnz .LBB2_483
.LBB2_359:                              ;   in Loop: Header=BB2_274 Depth=3
	s_or_b64 exec, exec, s[28:29]
                                        ; implicit-def: $vgpr4
	s_and_saveexec_b64 s[28:29], s[24:25]
	s_xor_b64 s[30:31], exec, s[28:29]
	s_cbranch_execz .LBB2_501
.LBB2_360:                              ;   in Loop: Header=BB2_274 Depth=3
	v_and_b32_e32 v0, 16, v62
	v_cmp_lt_i32_e32 vcc, 0, v3
	v_cmp_ne_u32_e64 s[28:29], 0, v0
	v_and_b32_e32 v4, 16, v62
	s_and_b64 vcc, s[28:29], vcc
	s_and_saveexec_b64 s[28:29], vcc
	s_cbranch_execz .LBB2_362
; %bb.361:                              ;   in Loop: Header=BB2_274 Depth=3
	v_mov_b32_e32 v4, 1
	s_waitcnt vmcnt(0) lgkmcnt(0)
	buffer_wbinvl1_vol
.LBB2_362:                              ;   in Loop: Header=BB2_274 Depth=3
	s_or_b64 exec, exec, s[28:29]
	s_andn2_saveexec_b64 s[28:29], s[30:31]
	s_cbranch_execz .LBB2_520
	s_branch .LBB2_502
.LBB2_363:                              ;   in Loop: Header=BB2_274 Depth=3
	v_ashrrev_i32_e32 v0, 31, v25
	v_lshrrev_b32_e32 v0, 21, v0
	v_add_u32_e32 v0, v25, v0
	v_ashrrev_i32_e32 v41, 11, v0
	v_sub_u32_e32 v53, v41, v57
	v_cmp_lt_i32_e32 vcc, 0, v53
	s_and_saveexec_b64 s[30:31], vcc
	s_cbranch_execz .LBB2_441
; %bb.364:                              ;   in Loop: Header=BB2_274 Depth=3
	s_trap 2
	ds_read_b128 v[8:11], v0
	ds_read_b64 v[12:13], v0
	v_accvgpr_read_b32 v0, a26
	v_accvgpr_read_b32 v7, a27
	s_and_b32 s46, s64, 1
	s_waitcnt lgkmcnt(0)
	v_add_co_u32_e32 v4, vcc, v8, v0
	v_addc_co_u32_e32 v5, vcc, v9, v7, vcc
	v_add_co_u32_e32 v58, vcc, v10, v0
	v_addc_co_u32_e32 v59, vcc, v11, v7, vcc
	;; [unrolled: 2-line block ×3, first 2 shown]
	s_cmp_eq_u64 s[46:47], 0
	s_mov_b64 s[56:57], 0
	s_cselect_b64 vcc, -1, 0
	s_branch .LBB2_366
.LBB2_365:                              ;   in Loop: Header=BB2_366 Depth=4
	s_or_b64 exec, exec, s[58:59]
	v_lshrrev_b32_e32 v0, 16, v20
	v_and_or_b32 v17, v17, s87, v0
	v_lshrrev_b32_e32 v0, 16, v39
	v_and_or_b32 v16, v16, s87, v0
	;; [unrolled: 2-line block ×3, first 2 shown]
	v_lshrrev_b32_e32 v0, 16, v22
	v_add_co_u32_e64 v4, s[28:29], v4, v29
	v_and_or_b32 v19, v19, s87, v0
	v_lshrrev_b32_e32 v0, 16, v12
	v_addc_co_u32_e64 v5, s[28:29], v5, v46, s[28:29]
	v_and_or_b32 v9, v9, s87, v0
	v_lshrrev_b32_e32 v0, 16, v23
	v_add_co_u32_e64 v58, s[28:29], v58, v29
	v_and_or_b32 v8, v8, s87, v0
	v_lshrrev_b32_e32 v0, 16, v13
	v_addc_co_u32_e64 v59, s[28:29], v59, v46, s[28:29]
	v_sub_u32_e32 v53, v53, v54
	v_and_or_b32 v10, v10, s87, v0
	v_lshrrev_b32_e32 v0, 16, v14
	v_cmp_gt_i32_e64 s[28:29], 1, v53
	v_and_or_b32 v11, v11, s87, v0
	global_store_dwordx4 v[56:57], v[16:19], off glc slc
	global_store_dwordx4 v[56:57], v[8:11], off offset:1024 glc slc
	s_or_b64 s[56:57], s[28:29], s[56:57]
	v_add_co_u32_e64 v56, s[28:29], v56, v29
	v_addc_co_u32_e64 v57, s[28:29], v57, v46, s[28:29]
	s_andn2_b64 exec, exec, s[56:57]
	s_cbranch_execz .LBB2_440
.LBB2_366:                              ;   Parent Loop BB2_47 Depth=1
                                        ;     Parent Loop BB2_271 Depth=2
                                        ;       Parent Loop BB2_274 Depth=3
                                        ; =>      This Inner Loop Header: Depth=4
	global_load_dwordx4 v[16:19], v[4:5], off glc slc
	global_load_dwordx4 v[20:23], v[58:59], off glc slc
	global_load_dwordx4 v[8:11], v[4:5], off offset:1024 glc slc
	global_load_dwordx4 v[12:15], v[58:59], off offset:1024 glc slc
	s_waitcnt vmcnt(0)
	v_lshlrev_b32_e32 v0, 16, v16
	v_lshlrev_b32_e32 v39, 16, v20
	v_max_f32_e32 v39, v39, v39
	v_max_f32_e32 v0, v0, v0
	v_min_f32_e32 v6, v0, v39
	v_max_f32_e32 v0, v0, v39
	v_cndmask_b32_e32 v0, v0, v6, vcc
	v_and_b32_e32 v6, 0x7f800000, v0
	v_cmp_ne_u32_e64 s[28:29], s85, v6
                                        ; implicit-def: $vgpr39
	s_and_saveexec_b64 s[58:59], s[28:29]
	s_xor_b64 s[28:29], exec, s[58:59]
; %bb.367:                              ;   in Loop: Header=BB2_366 Depth=4
	v_bfe_u32 v6, v0, 16, 1
	v_add3_u32 v39, v0, v6, s86
                                        ; implicit-def: $vgpr0
; %bb.368:                              ;   in Loop: Header=BB2_366 Depth=4
	s_andn2_saveexec_b64 s[58:59], s[28:29]
; %bb.369:                              ;   in Loop: Header=BB2_366 Depth=4
	v_or_b32_e32 v6, 0x10000, v0
	v_cmp_eq_u32_sdwa s[28:29], v0, v52 src0_sel:WORD_0 src1_sel:DWORD
	v_cndmask_b32_e64 v39, v6, v0, s[28:29]
; %bb.370:                              ;   in Loop: Header=BB2_366 Depth=4
	s_or_b64 exec, exec, s[58:59]
	v_and_b32_e32 v0, 0xffff0000, v16
	v_and_b32_e32 v6, 0xffff0000, v20
	v_max_f32_e32 v6, v6, v6
	v_max_f32_e32 v0, v0, v0
	v_min_f32_e32 v7, v0, v6
	v_max_f32_e32 v0, v0, v6
	v_cndmask_b32_e32 v0, v0, v7, vcc
	v_and_b32_e32 v6, 0x7f800000, v0
	v_cmp_ne_u32_e64 s[28:29], s85, v6
                                        ; implicit-def: $vgpr16
	s_and_saveexec_b64 s[58:59], s[28:29]
	s_xor_b64 s[28:29], exec, s[58:59]
; %bb.371:                              ;   in Loop: Header=BB2_366 Depth=4
	v_bfe_u32 v6, v0, 16, 1
	v_add3_u32 v16, v0, v6, s86
                                        ; implicit-def: $vgpr0
; %bb.372:                              ;   in Loop: Header=BB2_366 Depth=4
	s_andn2_saveexec_b64 s[58:59], s[28:29]
; %bb.373:                              ;   in Loop: Header=BB2_366 Depth=4
	v_or_b32_e32 v6, 0x10000, v0
	v_cmp_eq_u32_sdwa s[28:29], v0, v52 src0_sel:WORD_0 src1_sel:DWORD
	v_cndmask_b32_e64 v16, v6, v0, s[28:29]
; %bb.374:                              ;   in Loop: Header=BB2_366 Depth=4
	s_or_b64 exec, exec, s[58:59]
	v_lshlrev_b32_e32 v0, 16, v17
	v_lshlrev_b32_e32 v6, 16, v21
	v_max_f32_e32 v6, v6, v6
	v_max_f32_e32 v0, v0, v0
	v_min_f32_e32 v7, v0, v6
	v_max_f32_e32 v0, v0, v6
	v_cndmask_b32_e32 v0, v0, v7, vcc
	v_and_b32_e32 v6, 0x7f800000, v0
	v_cmp_ne_u32_e64 s[28:29], s85, v6
                                        ; implicit-def: $vgpr20
	s_and_saveexec_b64 s[58:59], s[28:29]
	s_xor_b64 s[28:29], exec, s[58:59]
; %bb.375:                              ;   in Loop: Header=BB2_366 Depth=4
	v_bfe_u32 v6, v0, 16, 1
	v_add3_u32 v20, v0, v6, s86
                                        ; implicit-def: $vgpr0
; %bb.376:                              ;   in Loop: Header=BB2_366 Depth=4
	s_andn2_saveexec_b64 s[58:59], s[28:29]
; %bb.377:                              ;   in Loop: Header=BB2_366 Depth=4
	v_or_b32_e32 v6, 0x10000, v0
	v_cmp_eq_u32_sdwa s[28:29], v0, v52 src0_sel:WORD_0 src1_sel:DWORD
	v_cndmask_b32_e64 v20, v6, v0, s[28:29]
; %bb.378:                              ;   in Loop: Header=BB2_366 Depth=4
	s_or_b64 exec, exec, s[58:59]
	v_and_b32_e32 v0, 0xffff0000, v17
	v_and_b32_e32 v6, 0xffff0000, v21
	v_max_f32_e32 v6, v6, v6
	v_max_f32_e32 v0, v0, v0
	v_min_f32_e32 v7, v0, v6
	v_max_f32_e32 v0, v0, v6
	v_cndmask_b32_e32 v0, v0, v7, vcc
	v_and_b32_e32 v6, 0x7f800000, v0
	v_cmp_ne_u32_e64 s[28:29], s85, v6
                                        ; implicit-def: $vgpr17
	s_and_saveexec_b64 s[58:59], s[28:29]
	s_xor_b64 s[28:29], exec, s[58:59]
; %bb.379:                              ;   in Loop: Header=BB2_366 Depth=4
	v_bfe_u32 v6, v0, 16, 1
	v_add3_u32 v17, v0, v6, s86
                                        ; implicit-def: $vgpr0
; %bb.380:                              ;   in Loop: Header=BB2_366 Depth=4
	s_andn2_saveexec_b64 s[58:59], s[28:29]
; %bb.381:                              ;   in Loop: Header=BB2_366 Depth=4
	v_or_b32_e32 v6, 0x10000, v0
	v_cmp_eq_u32_sdwa s[28:29], v0, v52 src0_sel:WORD_0 src1_sel:DWORD
	v_cndmask_b32_e64 v17, v6, v0, s[28:29]
; %bb.382:                              ;   in Loop: Header=BB2_366 Depth=4
	s_or_b64 exec, exec, s[58:59]
	v_lshlrev_b32_e32 v0, 16, v18
	v_lshlrev_b32_e32 v6, 16, v22
	v_max_f32_e32 v6, v6, v6
	v_max_f32_e32 v0, v0, v0
	v_min_f32_e32 v7, v0, v6
	v_max_f32_e32 v0, v0, v6
	v_cndmask_b32_e32 v0, v0, v7, vcc
	v_and_b32_e32 v6, 0x7f800000, v0
	v_cmp_ne_u32_e64 s[28:29], s85, v6
                                        ; implicit-def: $vgpr21
	s_and_saveexec_b64 s[58:59], s[28:29]
	s_xor_b64 s[28:29], exec, s[58:59]
; %bb.383:                              ;   in Loop: Header=BB2_366 Depth=4
	v_bfe_u32 v6, v0, 16, 1
	v_add3_u32 v21, v0, v6, s86
                                        ; implicit-def: $vgpr0
; %bb.384:                              ;   in Loop: Header=BB2_366 Depth=4
	s_andn2_saveexec_b64 s[58:59], s[28:29]
; %bb.385:                              ;   in Loop: Header=BB2_366 Depth=4
	v_or_b32_e32 v6, 0x10000, v0
	v_cmp_eq_u32_sdwa s[28:29], v0, v52 src0_sel:WORD_0 src1_sel:DWORD
	v_cndmask_b32_e64 v21, v6, v0, s[28:29]
; %bb.386:                              ;   in Loop: Header=BB2_366 Depth=4
	s_or_b64 exec, exec, s[58:59]
	v_and_b32_e32 v0, 0xffff0000, v18
	v_and_b32_e32 v6, 0xffff0000, v22
	v_max_f32_e32 v6, v6, v6
	v_max_f32_e32 v0, v0, v0
	v_min_f32_e32 v7, v0, v6
	v_max_f32_e32 v0, v0, v6
	v_cndmask_b32_e32 v0, v0, v7, vcc
	v_and_b32_e32 v6, 0x7f800000, v0
	v_cmp_ne_u32_e64 s[28:29], s85, v6
                                        ; implicit-def: $vgpr18
	s_and_saveexec_b64 s[58:59], s[28:29]
	s_xor_b64 s[28:29], exec, s[58:59]
; %bb.387:                              ;   in Loop: Header=BB2_366 Depth=4
	v_bfe_u32 v6, v0, 16, 1
	v_add3_u32 v18, v0, v6, s86
                                        ; implicit-def: $vgpr0
; %bb.388:                              ;   in Loop: Header=BB2_366 Depth=4
	s_andn2_saveexec_b64 s[58:59], s[28:29]
; %bb.389:                              ;   in Loop: Header=BB2_366 Depth=4
	v_or_b32_e32 v6, 0x10000, v0
	v_cmp_eq_u32_sdwa s[28:29], v0, v52 src0_sel:WORD_0 src1_sel:DWORD
	v_cndmask_b32_e64 v18, v6, v0, s[28:29]
; %bb.390:                              ;   in Loop: Header=BB2_366 Depth=4
	s_or_b64 exec, exec, s[58:59]
	v_lshlrev_b32_e32 v0, 16, v19
	v_lshlrev_b32_e32 v6, 16, v23
	v_max_f32_e32 v6, v6, v6
	v_max_f32_e32 v0, v0, v0
	v_min_f32_e32 v7, v0, v6
	v_max_f32_e32 v0, v0, v6
	v_cndmask_b32_e32 v0, v0, v7, vcc
	v_and_b32_e32 v6, 0x7f800000, v0
	v_cmp_ne_u32_e64 s[28:29], s85, v6
                                        ; implicit-def: $vgpr22
	s_and_saveexec_b64 s[58:59], s[28:29]
	s_xor_b64 s[28:29], exec, s[58:59]
; %bb.391:                              ;   in Loop: Header=BB2_366 Depth=4
	v_bfe_u32 v6, v0, 16, 1
	v_add3_u32 v22, v0, v6, s86
                                        ; implicit-def: $vgpr0
; %bb.392:                              ;   in Loop: Header=BB2_366 Depth=4
	s_andn2_saveexec_b64 s[58:59], s[28:29]
; %bb.393:                              ;   in Loop: Header=BB2_366 Depth=4
	v_or_b32_e32 v6, 0x10000, v0
	v_cmp_eq_u32_sdwa s[28:29], v0, v52 src0_sel:WORD_0 src1_sel:DWORD
	v_cndmask_b32_e64 v22, v6, v0, s[28:29]
; %bb.394:                              ;   in Loop: Header=BB2_366 Depth=4
	s_or_b64 exec, exec, s[58:59]
	v_and_b32_e32 v0, 0xffff0000, v19
	v_and_b32_e32 v6, 0xffff0000, v23
	v_max_f32_e32 v6, v6, v6
	v_max_f32_e32 v0, v0, v0
	v_min_f32_e32 v7, v0, v6
	v_max_f32_e32 v0, v0, v6
	v_cndmask_b32_e32 v0, v0, v7, vcc
	v_and_b32_e32 v6, 0x7f800000, v0
	v_cmp_ne_u32_e64 s[28:29], s85, v6
                                        ; implicit-def: $vgpr19
	s_and_saveexec_b64 s[58:59], s[28:29]
	s_xor_b64 s[28:29], exec, s[58:59]
; %bb.395:                              ;   in Loop: Header=BB2_366 Depth=4
	v_bfe_u32 v6, v0, 16, 1
	v_add3_u32 v19, v0, v6, s86
                                        ; implicit-def: $vgpr0
; %bb.396:                              ;   in Loop: Header=BB2_366 Depth=4
	s_andn2_saveexec_b64 s[58:59], s[28:29]
; %bb.397:                              ;   in Loop: Header=BB2_366 Depth=4
	v_or_b32_e32 v6, 0x10000, v0
	v_cmp_eq_u32_sdwa s[28:29], v0, v52 src0_sel:WORD_0 src1_sel:DWORD
	v_cndmask_b32_e64 v19, v6, v0, s[28:29]
; %bb.398:                              ;   in Loop: Header=BB2_366 Depth=4
	s_or_b64 exec, exec, s[58:59]
	v_lshlrev_b32_e32 v0, 16, v8
	v_lshlrev_b32_e32 v6, 16, v12
	v_max_f32_e32 v6, v6, v6
	v_max_f32_e32 v0, v0, v0
	v_min_f32_e32 v7, v0, v6
	v_max_f32_e32 v0, v0, v6
	v_cndmask_b32_e32 v0, v0, v7, vcc
	v_and_b32_e32 v6, 0x7f800000, v0
	v_cmp_ne_u32_e64 s[28:29], s85, v6
                                        ; implicit-def: $vgpr23
	s_and_saveexec_b64 s[58:59], s[28:29]
	s_xor_b64 s[28:29], exec, s[58:59]
; %bb.399:                              ;   in Loop: Header=BB2_366 Depth=4
	v_bfe_u32 v6, v0, 16, 1
	v_add3_u32 v23, v0, v6, s86
                                        ; implicit-def: $vgpr0
; %bb.400:                              ;   in Loop: Header=BB2_366 Depth=4
	s_andn2_saveexec_b64 s[58:59], s[28:29]
; %bb.401:                              ;   in Loop: Header=BB2_366 Depth=4
	v_or_b32_e32 v6, 0x10000, v0
	v_cmp_eq_u32_sdwa s[28:29], v0, v52 src0_sel:WORD_0 src1_sel:DWORD
	v_cndmask_b32_e64 v23, v6, v0, s[28:29]
; %bb.402:                              ;   in Loop: Header=BB2_366 Depth=4
	s_or_b64 exec, exec, s[58:59]
	v_and_b32_e32 v0, 0xffff0000, v8
	v_and_b32_e32 v6, 0xffff0000, v12
	v_max_f32_e32 v6, v6, v6
	v_max_f32_e32 v0, v0, v0
	v_min_f32_e32 v7, v0, v6
	v_max_f32_e32 v0, v0, v6
	v_cndmask_b32_e32 v0, v0, v7, vcc
	v_and_b32_e32 v6, 0x7f800000, v0
	v_cmp_ne_u32_e64 s[28:29], s85, v6
                                        ; implicit-def: $vgpr8
	s_and_saveexec_b64 s[58:59], s[28:29]
	s_xor_b64 s[28:29], exec, s[58:59]
; %bb.403:                              ;   in Loop: Header=BB2_366 Depth=4
	v_bfe_u32 v6, v0, 16, 1
	v_add3_u32 v8, v0, v6, s86
                                        ; implicit-def: $vgpr0
; %bb.404:                              ;   in Loop: Header=BB2_366 Depth=4
	s_andn2_saveexec_b64 s[58:59], s[28:29]
; %bb.405:                              ;   in Loop: Header=BB2_366 Depth=4
	v_or_b32_e32 v6, 0x10000, v0
	v_cmp_eq_u32_sdwa s[28:29], v0, v52 src0_sel:WORD_0 src1_sel:DWORD
	v_cndmask_b32_e64 v8, v6, v0, s[28:29]
; %bb.406:                              ;   in Loop: Header=BB2_366 Depth=4
	s_or_b64 exec, exec, s[58:59]
	v_lshlrev_b32_e32 v0, 16, v9
	v_lshlrev_b32_e32 v6, 16, v13
	v_max_f32_e32 v6, v6, v6
	v_max_f32_e32 v0, v0, v0
	v_min_f32_e32 v7, v0, v6
	v_max_f32_e32 v0, v0, v6
	v_cndmask_b32_e32 v0, v0, v7, vcc
	v_and_b32_e32 v6, 0x7f800000, v0
	v_cmp_ne_u32_e64 s[28:29], s85, v6
                                        ; implicit-def: $vgpr12
	s_and_saveexec_b64 s[58:59], s[28:29]
	s_xor_b64 s[28:29], exec, s[58:59]
; %bb.407:                              ;   in Loop: Header=BB2_366 Depth=4
	v_bfe_u32 v6, v0, 16, 1
	v_add3_u32 v12, v0, v6, s86
                                        ; implicit-def: $vgpr0
; %bb.408:                              ;   in Loop: Header=BB2_366 Depth=4
	s_andn2_saveexec_b64 s[58:59], s[28:29]
; %bb.409:                              ;   in Loop: Header=BB2_366 Depth=4
	v_or_b32_e32 v6, 0x10000, v0
	v_cmp_eq_u32_sdwa s[28:29], v0, v52 src0_sel:WORD_0 src1_sel:DWORD
	v_cndmask_b32_e64 v12, v6, v0, s[28:29]
; %bb.410:                              ;   in Loop: Header=BB2_366 Depth=4
	s_or_b64 exec, exec, s[58:59]
	v_and_b32_e32 v0, 0xffff0000, v9
	v_and_b32_e32 v6, 0xffff0000, v13
	v_max_f32_e32 v6, v6, v6
	v_max_f32_e32 v0, v0, v0
	v_min_f32_e32 v7, v0, v6
	v_max_f32_e32 v0, v0, v6
	v_cndmask_b32_e32 v0, v0, v7, vcc
	v_and_b32_e32 v6, 0x7f800000, v0
	v_cmp_ne_u32_e64 s[28:29], s85, v6
                                        ; implicit-def: $vgpr9
	s_and_saveexec_b64 s[58:59], s[28:29]
	s_xor_b64 s[28:29], exec, s[58:59]
; %bb.411:                              ;   in Loop: Header=BB2_366 Depth=4
	v_bfe_u32 v6, v0, 16, 1
	v_add3_u32 v9, v0, v6, s86
                                        ; implicit-def: $vgpr0
; %bb.412:                              ;   in Loop: Header=BB2_366 Depth=4
	s_andn2_saveexec_b64 s[58:59], s[28:29]
; %bb.413:                              ;   in Loop: Header=BB2_366 Depth=4
	v_or_b32_e32 v6, 0x10000, v0
	v_cmp_eq_u32_sdwa s[28:29], v0, v52 src0_sel:WORD_0 src1_sel:DWORD
	v_cndmask_b32_e64 v9, v6, v0, s[28:29]
; %bb.414:                              ;   in Loop: Header=BB2_366 Depth=4
	s_or_b64 exec, exec, s[58:59]
	v_lshlrev_b32_e32 v0, 16, v10
	v_lshlrev_b32_e32 v6, 16, v14
	v_max_f32_e32 v6, v6, v6
	v_max_f32_e32 v0, v0, v0
	v_min_f32_e32 v7, v0, v6
	v_max_f32_e32 v0, v0, v6
	v_cndmask_b32_e32 v0, v0, v7, vcc
	v_and_b32_e32 v6, 0x7f800000, v0
	v_cmp_ne_u32_e64 s[28:29], s85, v6
                                        ; implicit-def: $vgpr13
	s_and_saveexec_b64 s[58:59], s[28:29]
	s_xor_b64 s[28:29], exec, s[58:59]
; %bb.415:                              ;   in Loop: Header=BB2_366 Depth=4
	v_bfe_u32 v6, v0, 16, 1
	v_add3_u32 v13, v0, v6, s86
                                        ; implicit-def: $vgpr0
; %bb.416:                              ;   in Loop: Header=BB2_366 Depth=4
	s_andn2_saveexec_b64 s[58:59], s[28:29]
; %bb.417:                              ;   in Loop: Header=BB2_366 Depth=4
	v_or_b32_e32 v6, 0x10000, v0
	v_cmp_eq_u32_sdwa s[28:29], v0, v52 src0_sel:WORD_0 src1_sel:DWORD
	v_cndmask_b32_e64 v13, v6, v0, s[28:29]
; %bb.418:                              ;   in Loop: Header=BB2_366 Depth=4
	s_or_b64 exec, exec, s[58:59]
	v_and_b32_e32 v0, 0xffff0000, v10
	v_and_b32_e32 v6, 0xffff0000, v14
	v_max_f32_e32 v6, v6, v6
	v_max_f32_e32 v0, v0, v0
	v_min_f32_e32 v7, v0, v6
	v_max_f32_e32 v0, v0, v6
	v_cndmask_b32_e32 v0, v0, v7, vcc
	v_and_b32_e32 v6, 0x7f800000, v0
	v_cmp_ne_u32_e64 s[28:29], s85, v6
                                        ; implicit-def: $vgpr10
	s_and_saveexec_b64 s[58:59], s[28:29]
	s_xor_b64 s[28:29], exec, s[58:59]
; %bb.419:                              ;   in Loop: Header=BB2_366 Depth=4
	v_bfe_u32 v6, v0, 16, 1
	v_add3_u32 v10, v0, v6, s86
                                        ; implicit-def: $vgpr0
; %bb.420:                              ;   in Loop: Header=BB2_366 Depth=4
	s_andn2_saveexec_b64 s[58:59], s[28:29]
; %bb.421:                              ;   in Loop: Header=BB2_366 Depth=4
	v_or_b32_e32 v6, 0x10000, v0
	v_cmp_eq_u32_sdwa s[28:29], v0, v52 src0_sel:WORD_0 src1_sel:DWORD
	v_cndmask_b32_e64 v10, v6, v0, s[28:29]
; %bb.422:                              ;   in Loop: Header=BB2_366 Depth=4
	s_or_b64 exec, exec, s[58:59]
	v_lshlrev_b32_e32 v0, 16, v11
	v_lshlrev_b32_e32 v6, 16, v15
	v_max_f32_e32 v6, v6, v6
	v_max_f32_e32 v0, v0, v0
	v_min_f32_e32 v7, v0, v6
	v_max_f32_e32 v0, v0, v6
	v_cndmask_b32_e32 v0, v0, v7, vcc
	v_and_b32_e32 v6, 0x7f800000, v0
	v_cmp_ne_u32_e64 s[28:29], s85, v6
                                        ; implicit-def: $vgpr14
	s_and_saveexec_b64 s[58:59], s[28:29]
	s_xor_b64 s[28:29], exec, s[58:59]
; %bb.423:                              ;   in Loop: Header=BB2_366 Depth=4
	v_bfe_u32 v6, v0, 16, 1
	v_add3_u32 v14, v0, v6, s86
                                        ; implicit-def: $vgpr0
; %bb.424:                              ;   in Loop: Header=BB2_366 Depth=4
	s_andn2_saveexec_b64 s[58:59], s[28:29]
; %bb.425:                              ;   in Loop: Header=BB2_366 Depth=4
	v_or_b32_e32 v6, 0x10000, v0
	v_cmp_eq_u32_sdwa s[28:29], v0, v52 src0_sel:WORD_0 src1_sel:DWORD
	v_cndmask_b32_e64 v14, v6, v0, s[28:29]
; %bb.426:                              ;   in Loop: Header=BB2_366 Depth=4
	s_or_b64 exec, exec, s[58:59]
	v_and_b32_e32 v0, 0xffff0000, v11
	v_and_b32_e32 v6, 0xffff0000, v15
	v_max_f32_e32 v6, v6, v6
	v_max_f32_e32 v0, v0, v0
	v_min_f32_e32 v7, v0, v6
	v_max_f32_e32 v0, v0, v6
	v_cndmask_b32_e32 v0, v0, v7, vcc
	v_and_b32_e32 v6, 0x7f800000, v0
	v_cmp_ne_u32_e64 s[28:29], s85, v6
                                        ; implicit-def: $vgpr11
	s_and_saveexec_b64 s[58:59], s[28:29]
	s_xor_b64 s[28:29], exec, s[58:59]
; %bb.427:                              ;   in Loop: Header=BB2_366 Depth=4
	v_bfe_u32 v6, v0, 16, 1
	v_add3_u32 v11, v0, v6, s86
                                        ; implicit-def: $vgpr0
; %bb.428:                              ;   in Loop: Header=BB2_366 Depth=4
	s_andn2_saveexec_b64 s[58:59], s[28:29]
	s_cbranch_execz .LBB2_365
; %bb.429:                              ;   in Loop: Header=BB2_366 Depth=4
	v_or_b32_e32 v6, 0x10000, v0
	v_cmp_eq_u32_sdwa s[28:29], v0, v52 src0_sel:WORD_0 src1_sel:DWORD
	v_cndmask_b32_e64 v11, v6, v0, s[28:29]
	s_branch .LBB2_365
.LBB2_430:                              ;   in Loop: Header=BB2_274 Depth=3
	s_or_b64 exec, exec, s[58:59]
.LBB2_431:                              ;   in Loop: Header=BB2_274 Depth=3
	s_or_b64 exec, exec, s[56:57]
	v_lshlrev_b32_e32 v0, 8, v16
	v_cmp_ne_u32_e32 vcc, v25, v0
	s_and_saveexec_b64 s[56:57], vcc
	s_cbranch_execz .LBB2_439
; %bb.432:                              ;   in Loop: Header=BB2_274 Depth=3
	v_add_u32_e32 v4, v13, v15
	v_and_b32_e32 v4, 0xffffffc0, v4
	v_sub_u32_e32 v4, v13, v4
	v_lshlrev_b32_e32 v5, 6, v14
	v_sub_u32_e32 v4, v4, v5
	v_ashrrev_i32_e32 v5, 31, v4
	v_lshrrev_b32_e32 v5, 26, v5
	v_add_u32_e32 v5, v4, v5
	v_and_b32_e32 v6, 0x7fffffc0, v5
	v_sub_u32_e32 v4, v4, v6
	v_lshlrev_b32_e32 v5, 1, v5
	v_and_b32_e32 v5, 0xffffff80, v5
	v_lshlrev_b32_e32 v4, 1, v4
	v_add3_u32 v0, v5, v4, v0
	v_sub_u32_e32 v13, v25, v0
	v_cmp_lt_i32_e32 vcc, 1, v13
	s_and_b64 exec, exec, vcc
	s_cbranch_execz .LBB2_439
; %bb.433:                              ;   in Loop: Header=BB2_274 Depth=3
	s_trap 2
	ds_read_b128 v[8:11], v0
	v_add_u32_e32 v0, v0, v12
	ds_read_b64 v[14:15], v0
	v_ashrrev_i32_e32 v6, 31, v0
	s_and_b32 s46, s64, 1
	s_waitcnt lgkmcnt(0)
	v_add_co_u32_e32 v4, vcc, v8, v0
	v_addc_co_u32_e32 v5, vcc, v9, v6, vcc
	v_add_co_u32_e32 v8, vcc, v10, v0
	v_addc_co_u32_e32 v9, vcc, v11, v6, vcc
	;; [unrolled: 2-line block ×3, first 2 shown]
	s_cmp_eq_u64 s[46:47], 0
	s_mov_b64 s[58:59], 0
	s_cselect_b64 vcc, -1, 0
	s_branch .LBB2_435
.LBB2_434:                              ;   in Loop: Header=BB2_435 Depth=4
	s_or_b64 exec, exec, s[60:61]
	v_add_co_u32_e64 v4, s[28:29], v4, v61
	v_addc_co_u32_e64 v5, s[28:29], v5, v28, s[28:29]
	v_add_co_u32_e64 v8, s[28:29], v8, v61
	v_addc_co_u32_e64 v9, s[28:29], v9, v28, s[28:29]
	v_sub_u32_e32 v13, v13, v27
	v_cmp_gt_i32_e64 s[28:29], 2, v13
	flat_store_short_d16_hi v[10:11], v12 glc slc
	s_or_b64 s[58:59], s[28:29], s[58:59]
	v_add_co_u32_e64 v10, s[28:29], v10, v61
	v_addc_co_u32_e64 v11, s[28:29], v11, v28, s[28:29]
	s_andn2_b64 exec, exec, s[58:59]
	s_cbranch_execz .LBB2_439
.LBB2_435:                              ;   Parent Loop BB2_47 Depth=1
                                        ;     Parent Loop BB2_271 Depth=2
                                        ;       Parent Loop BB2_274 Depth=3
                                        ; =>      This Inner Loop Header: Depth=4
	flat_load_ushort v0, v[4:5] glc slc
	flat_load_ushort v6, v[8:9] glc slc
                                        ; implicit-def: $vgpr12
	s_waitcnt vmcnt(0) lgkmcnt(0)
	v_lshlrev_b32_e32 v0, 16, v0
	v_lshlrev_b32_e32 v6, 16, v6
	v_max_f32_e32 v6, v6, v6
	v_max_f32_e32 v0, v0, v0
	v_min_f32_e32 v7, v0, v6
	v_max_f32_e32 v0, v0, v6
	v_cndmask_b32_e32 v0, v0, v7, vcc
	v_and_b32_e32 v6, 0x7f800000, v0
	v_cmp_ne_u32_e64 s[28:29], s85, v6
	s_and_saveexec_b64 s[60:61], s[28:29]
	s_xor_b64 s[28:29], exec, s[60:61]
; %bb.436:                              ;   in Loop: Header=BB2_435 Depth=4
	v_bfe_u32 v6, v0, 16, 1
	v_add3_u32 v12, v0, v6, s86
                                        ; implicit-def: $vgpr0
; %bb.437:                              ;   in Loop: Header=BB2_435 Depth=4
	s_andn2_saveexec_b64 s[60:61], s[28:29]
	s_cbranch_execz .LBB2_434
; %bb.438:                              ;   in Loop: Header=BB2_435 Depth=4
	v_or_b32_e32 v6, 0x10000, v0
	v_cmp_eq_u32_sdwa s[28:29], v0, v52 src0_sel:WORD_0 src1_sel:DWORD
	v_cndmask_b32_e64 v12, v6, v0, s[28:29]
	s_branch .LBB2_434
.LBB2_439:                              ;   in Loop: Header=BB2_274 Depth=3
	s_or_b64 exec, exec, s[56:57]
	s_or_b64 exec, exec, s[30:31]
	s_and_saveexec_b64 s[28:29], s[10:11]
	s_cbranch_execz .LBB2_359
	s_branch .LBB2_483
.LBB2_440:                              ;   in Loop: Header=BB2_274 Depth=3
	s_or_b64 exec, exec, s[56:57]
	v_accvgpr_read_b32 v59, a15
	v_accvgpr_read_b32 v56, a3
	;; [unrolled: 1-line block ×4, first 2 shown]
.LBB2_441:                              ;   in Loop: Header=BB2_274 Depth=3
	s_or_b64 exec, exec, s[30:31]
	v_lshlrev_b32_e32 v20, 11, v41
	v_cmp_ne_u32_e32 vcc, v25, v20
	s_mov_b64 s[28:29], 0
	v_mov_b32_e32 v12, 0
                                        ; implicit-def: $vgpr13
                                        ; implicit-def: $vgpr4
	s_and_saveexec_b64 s[56:57], vcc
	s_cbranch_execz .LBB2_481
; %bb.442:                              ;   in Loop: Header=BB2_274 Depth=3
	v_lshlrev_b32_e32 v0, 6, v53
	v_accvgpr_read_b32 v5, a24
	v_sub_u32_e32 v0, v5, v0
	v_ashrrev_i32_e32 v5, 31, v0
	v_lshrrev_b32_e32 v5, 26, v5
	v_add_u32_e32 v5, v0, v5
	v_sub_u32_e32 v4, v25, v20
	v_ashrrev_i32_e32 v6, 6, v5
	v_and_b32_e32 v5, 0xffffffc0, v5
	v_sub_u32_e32 v21, v0, v5
	v_ashrrev_i32_e32 v5, 31, v4
	v_lshrrev_b32_e32 v5, 22, v5
	v_add_u32_e32 v5, v4, v5
	v_and_b32_e32 v22, 0xfffffc00, v5
	v_lshlrev_b32_e32 v0, 4, v21
	v_sub_u32_e32 v39, v4, v22
	v_lshl_add_u32 v0, v6, 10, v0
	v_ashrrev_i32_e32 v7, 10, v5
	v_cmp_lt_i32_e32 vcc, 15, v39
	v_sub_u32_e32 v53, v4, v0
	v_addc_co_u32_e64 v4, s[28:29], 0, v7, vcc
	v_sub_u32_e32 v23, v4, v6
	v_cmp_lt_i32_e64 s[28:29], 15, v53
	s_and_saveexec_b64 s[58:59], s[28:29]
	s_cbranch_execz .LBB2_478
; %bb.443:                              ;   in Loop: Header=BB2_274 Depth=3
	s_trap 2
	ds_read_b128 v[8:11], v0
	v_add_u32_e32 v0, v0, v20
	ds_read_b64 v[12:13], v0
	v_ashrrev_i32_e32 v6, 31, v0
	s_and_b32 s46, s64, 1
	s_waitcnt lgkmcnt(0)
	v_add_co_u32_e64 v4, s[28:29], v8, v0
	v_addc_co_u32_e64 v5, s[28:29], v9, v6, s[28:29]
	v_add_co_u32_e64 v16, s[28:29], v10, v0
	v_addc_co_u32_e64 v17, s[28:29], v11, v6, s[28:29]
	;; [unrolled: 2-line block ×3, first 2 shown]
	s_cmp_eq_u64 s[46:47], 0
	s_mov_b64 s[60:61], 0
	s_cselect_b64 s[28:29], -1, 0
	s_branch .LBB2_445
.LBB2_444:                              ;   in Loop: Header=BB2_445 Depth=4
	s_or_b64 exec, exec, s[62:63]
	v_lshrrev_b32_e32 v0, 16, v12
	v_and_or_b32 v9, v9, s87, v0
	v_lshrrev_b32_e32 v0, 16, v41
	v_add_co_u32_e64 v4, s[30:31], v4, v1
	v_and_or_b32 v8, v8, s87, v0
	v_lshrrev_b32_e32 v0, 16, v13
	v_addc_co_u32_e64 v5, s[30:31], v5, v60, s[30:31]
	v_and_or_b32 v10, v10, s87, v0
	v_lshrrev_b32_e32 v0, 16, v14
	v_add_co_u32_e64 v16, s[30:31], v16, v1
	v_and_or_b32 v11, v11, s87, v0
	v_addc_co_u32_e64 v17, s[30:31], v17, v60, s[30:31]
	global_store_dwordx4 v[18:19], v[8:11], off glc slc
	v_add_co_u32_e64 v18, s[30:31], v18, v1
	v_addc_co_u32_e64 v19, s[30:31], v19, v60, s[30:31]
	v_sub_u32_e32 v53, v53, v26
	v_cmp_gt_i32_e64 s[30:31], 16, v53
	s_or_b64 s[60:61], s[30:31], s[60:61]
	v_sub_u32_e32 v23, v23, v54
	s_andn2_b64 exec, exec, s[60:61]
	s_cbranch_execz .LBB2_477
.LBB2_445:                              ;   Parent Loop BB2_47 Depth=1
                                        ;     Parent Loop BB2_271 Depth=2
                                        ;       Parent Loop BB2_274 Depth=3
                                        ; =>      This Inner Loop Header: Depth=4
	global_load_dwordx4 v[8:11], v[4:5], off glc slc
	global_load_dwordx4 v[12:15], v[16:17], off glc slc
                                        ; implicit-def: $vgpr41
	s_waitcnt vmcnt(0)
	v_lshlrev_b32_e32 v0, 16, v8
	v_lshlrev_b32_e32 v6, 16, v12
	v_max_f32_e32 v6, v6, v6
	v_max_f32_e32 v0, v0, v0
	v_min_f32_e32 v7, v0, v6
	v_max_f32_e32 v0, v0, v6
	v_cndmask_b32_e64 v0, v0, v7, s[28:29]
	v_and_b32_e32 v6, 0x7f800000, v0
	v_cmp_ne_u32_e64 s[30:31], s85, v6
	s_and_saveexec_b64 s[62:63], s[30:31]
	s_xor_b64 s[30:31], exec, s[62:63]
; %bb.446:                              ;   in Loop: Header=BB2_445 Depth=4
	v_bfe_u32 v6, v0, 16, 1
	v_add3_u32 v41, v0, v6, s86
                                        ; implicit-def: $vgpr0
; %bb.447:                              ;   in Loop: Header=BB2_445 Depth=4
	s_andn2_saveexec_b64 s[62:63], s[30:31]
; %bb.448:                              ;   in Loop: Header=BB2_445 Depth=4
	v_or_b32_e32 v6, 0x10000, v0
	v_cmp_eq_u32_sdwa s[30:31], v0, v52 src0_sel:WORD_0 src1_sel:DWORD
	v_cndmask_b32_e64 v41, v6, v0, s[30:31]
; %bb.449:                              ;   in Loop: Header=BB2_445 Depth=4
	s_or_b64 exec, exec, s[62:63]
	v_and_b32_e32 v0, 0xffff0000, v8
	v_and_b32_e32 v6, 0xffff0000, v12
	v_max_f32_e32 v6, v6, v6
	v_max_f32_e32 v0, v0, v0
	v_min_f32_e32 v7, v0, v6
	v_max_f32_e32 v0, v0, v6
	v_cndmask_b32_e64 v0, v0, v7, s[28:29]
	v_and_b32_e32 v6, 0x7f800000, v0
	v_cmp_ne_u32_e64 s[30:31], s85, v6
                                        ; implicit-def: $vgpr8
	s_and_saveexec_b64 s[62:63], s[30:31]
	s_xor_b64 s[30:31], exec, s[62:63]
; %bb.450:                              ;   in Loop: Header=BB2_445 Depth=4
	v_bfe_u32 v6, v0, 16, 1
	v_add3_u32 v8, v0, v6, s86
                                        ; implicit-def: $vgpr0
; %bb.451:                              ;   in Loop: Header=BB2_445 Depth=4
	s_andn2_saveexec_b64 s[62:63], s[30:31]
; %bb.452:                              ;   in Loop: Header=BB2_445 Depth=4
	v_or_b32_e32 v6, 0x10000, v0
	v_cmp_eq_u32_sdwa s[30:31], v0, v52 src0_sel:WORD_0 src1_sel:DWORD
	v_cndmask_b32_e64 v8, v6, v0, s[30:31]
; %bb.453:                              ;   in Loop: Header=BB2_445 Depth=4
	s_or_b64 exec, exec, s[62:63]
	v_lshlrev_b32_e32 v0, 16, v9
	v_lshlrev_b32_e32 v6, 16, v13
	v_max_f32_e32 v6, v6, v6
	v_max_f32_e32 v0, v0, v0
	v_min_f32_e32 v7, v0, v6
	v_max_f32_e32 v0, v0, v6
	v_cndmask_b32_e64 v0, v0, v7, s[28:29]
	v_and_b32_e32 v6, 0x7f800000, v0
	v_cmp_ne_u32_e64 s[30:31], s85, v6
                                        ; implicit-def: $vgpr12
	s_and_saveexec_b64 s[62:63], s[30:31]
	s_xor_b64 s[30:31], exec, s[62:63]
; %bb.454:                              ;   in Loop: Header=BB2_445 Depth=4
	v_bfe_u32 v6, v0, 16, 1
	v_add3_u32 v12, v0, v6, s86
                                        ; implicit-def: $vgpr0
; %bb.455:                              ;   in Loop: Header=BB2_445 Depth=4
	s_andn2_saveexec_b64 s[62:63], s[30:31]
; %bb.456:                              ;   in Loop: Header=BB2_445 Depth=4
	v_or_b32_e32 v6, 0x10000, v0
	v_cmp_eq_u32_sdwa s[30:31], v0, v52 src0_sel:WORD_0 src1_sel:DWORD
	v_cndmask_b32_e64 v12, v6, v0, s[30:31]
; %bb.457:                              ;   in Loop: Header=BB2_445 Depth=4
	s_or_b64 exec, exec, s[62:63]
	v_and_b32_e32 v0, 0xffff0000, v9
	v_and_b32_e32 v6, 0xffff0000, v13
	v_max_f32_e32 v6, v6, v6
	v_max_f32_e32 v0, v0, v0
	v_min_f32_e32 v7, v0, v6
	v_max_f32_e32 v0, v0, v6
	v_cndmask_b32_e64 v0, v0, v7, s[28:29]
	v_and_b32_e32 v6, 0x7f800000, v0
	v_cmp_ne_u32_e64 s[30:31], s85, v6
                                        ; implicit-def: $vgpr9
	s_and_saveexec_b64 s[62:63], s[30:31]
	s_xor_b64 s[30:31], exec, s[62:63]
; %bb.458:                              ;   in Loop: Header=BB2_445 Depth=4
	v_bfe_u32 v6, v0, 16, 1
	v_add3_u32 v9, v0, v6, s86
                                        ; implicit-def: $vgpr0
; %bb.459:                              ;   in Loop: Header=BB2_445 Depth=4
	s_andn2_saveexec_b64 s[62:63], s[30:31]
; %bb.460:                              ;   in Loop: Header=BB2_445 Depth=4
	v_or_b32_e32 v6, 0x10000, v0
	v_cmp_eq_u32_sdwa s[30:31], v0, v52 src0_sel:WORD_0 src1_sel:DWORD
	v_cndmask_b32_e64 v9, v6, v0, s[30:31]
; %bb.461:                              ;   in Loop: Header=BB2_445 Depth=4
	s_or_b64 exec, exec, s[62:63]
	v_lshlrev_b32_e32 v0, 16, v10
	v_lshlrev_b32_e32 v6, 16, v14
	v_max_f32_e32 v6, v6, v6
	v_max_f32_e32 v0, v0, v0
	v_min_f32_e32 v7, v0, v6
	v_max_f32_e32 v0, v0, v6
	v_cndmask_b32_e64 v0, v0, v7, s[28:29]
	v_and_b32_e32 v6, 0x7f800000, v0
	v_cmp_ne_u32_e64 s[30:31], s85, v6
                                        ; implicit-def: $vgpr13
	s_and_saveexec_b64 s[62:63], s[30:31]
	s_xor_b64 s[30:31], exec, s[62:63]
; %bb.462:                              ;   in Loop: Header=BB2_445 Depth=4
	v_bfe_u32 v6, v0, 16, 1
	v_add3_u32 v13, v0, v6, s86
                                        ; implicit-def: $vgpr0
; %bb.463:                              ;   in Loop: Header=BB2_445 Depth=4
	s_andn2_saveexec_b64 s[62:63], s[30:31]
; %bb.464:                              ;   in Loop: Header=BB2_445 Depth=4
	v_or_b32_e32 v6, 0x10000, v0
	v_cmp_eq_u32_sdwa s[30:31], v0, v52 src0_sel:WORD_0 src1_sel:DWORD
	v_cndmask_b32_e64 v13, v6, v0, s[30:31]
; %bb.465:                              ;   in Loop: Header=BB2_445 Depth=4
	s_or_b64 exec, exec, s[62:63]
	v_and_b32_e32 v0, 0xffff0000, v10
	v_and_b32_e32 v6, 0xffff0000, v14
	v_max_f32_e32 v6, v6, v6
	v_max_f32_e32 v0, v0, v0
	v_min_f32_e32 v7, v0, v6
	v_max_f32_e32 v0, v0, v6
	v_cndmask_b32_e64 v0, v0, v7, s[28:29]
	v_and_b32_e32 v6, 0x7f800000, v0
	v_cmp_ne_u32_e64 s[30:31], s85, v6
                                        ; implicit-def: $vgpr10
	s_and_saveexec_b64 s[62:63], s[30:31]
	s_xor_b64 s[30:31], exec, s[62:63]
; %bb.466:                              ;   in Loop: Header=BB2_445 Depth=4
	v_bfe_u32 v6, v0, 16, 1
	v_add3_u32 v10, v0, v6, s86
                                        ; implicit-def: $vgpr0
; %bb.467:                              ;   in Loop: Header=BB2_445 Depth=4
	s_andn2_saveexec_b64 s[62:63], s[30:31]
; %bb.468:                              ;   in Loop: Header=BB2_445 Depth=4
	v_or_b32_e32 v6, 0x10000, v0
	v_cmp_eq_u32_sdwa s[30:31], v0, v52 src0_sel:WORD_0 src1_sel:DWORD
	v_cndmask_b32_e64 v10, v6, v0, s[30:31]
; %bb.469:                              ;   in Loop: Header=BB2_445 Depth=4
	s_or_b64 exec, exec, s[62:63]
	v_lshlrev_b32_e32 v0, 16, v11
	v_lshlrev_b32_e32 v6, 16, v15
	v_max_f32_e32 v6, v6, v6
	v_max_f32_e32 v0, v0, v0
	v_min_f32_e32 v7, v0, v6
	v_max_f32_e32 v0, v0, v6
	v_cndmask_b32_e64 v0, v0, v7, s[28:29]
	v_and_b32_e32 v6, 0x7f800000, v0
	v_cmp_ne_u32_e64 s[30:31], s85, v6
                                        ; implicit-def: $vgpr14
	s_and_saveexec_b64 s[62:63], s[30:31]
	s_xor_b64 s[30:31], exec, s[62:63]
; %bb.470:                              ;   in Loop: Header=BB2_445 Depth=4
	v_bfe_u32 v6, v0, 16, 1
	v_add3_u32 v14, v0, v6, s86
                                        ; implicit-def: $vgpr0
; %bb.471:                              ;   in Loop: Header=BB2_445 Depth=4
	s_andn2_saveexec_b64 s[62:63], s[30:31]
; %bb.472:                              ;   in Loop: Header=BB2_445 Depth=4
	v_or_b32_e32 v6, 0x10000, v0
	v_cmp_eq_u32_sdwa s[30:31], v0, v52 src0_sel:WORD_0 src1_sel:DWORD
	v_cndmask_b32_e64 v14, v6, v0, s[30:31]
; %bb.473:                              ;   in Loop: Header=BB2_445 Depth=4
	s_or_b64 exec, exec, s[62:63]
	v_and_b32_e32 v0, 0xffff0000, v11
	v_and_b32_e32 v6, 0xffff0000, v15
	v_max_f32_e32 v6, v6, v6
	v_max_f32_e32 v0, v0, v0
	v_min_f32_e32 v7, v0, v6
	v_max_f32_e32 v0, v0, v6
	v_cndmask_b32_e64 v0, v0, v7, s[28:29]
	v_and_b32_e32 v6, 0x7f800000, v0
	v_cmp_ne_u32_e64 s[30:31], s85, v6
                                        ; implicit-def: $vgpr11
	s_and_saveexec_b64 s[62:63], s[30:31]
	s_xor_b64 s[30:31], exec, s[62:63]
; %bb.474:                              ;   in Loop: Header=BB2_445 Depth=4
	v_bfe_u32 v6, v0, 16, 1
	v_add3_u32 v11, v0, v6, s86
                                        ; implicit-def: $vgpr0
; %bb.475:                              ;   in Loop: Header=BB2_445 Depth=4
	s_andn2_saveexec_b64 s[62:63], s[30:31]
	s_cbranch_execz .LBB2_444
; %bb.476:                              ;   in Loop: Header=BB2_445 Depth=4
	v_or_b32_e32 v6, 0x10000, v0
	v_cmp_eq_u32_sdwa s[30:31], v0, v52 src0_sel:WORD_0 src1_sel:DWORD
	v_cndmask_b32_e64 v11, v6, v0, s[30:31]
	s_branch .LBB2_444
.LBB2_477:                              ;   in Loop: Header=BB2_274 Depth=3
	s_or_b64 exec, exec, s[60:61]
.LBB2_478:                              ;   in Loop: Header=BB2_274 Depth=3
	s_or_b64 exec, exec, s[58:59]
	v_and_b32_e32 v0, 14, v25
	v_cndmask_b32_e32 v25, v39, v0, vcc
	v_cmp_ne_u32_e64 s[28:29], 0, v25
	s_mov_b64 s[30:31], 0
	v_mov_b32_e32 v12, 0
                                        ; implicit-def: $vgpr13
                                        ; implicit-def: $vgpr4
	s_and_saveexec_b64 s[58:59], s[28:29]
	s_cbranch_execz .LBB2_480
; %bb.479:                              ;   in Loop: Header=BB2_274 Depth=3
	v_sub_u32_e32 v0, v39, v0
	v_cndmask_b32_e32 v0, 0, v0, vcc
	v_cmp_lt_i32_e32 vcc, 0, v23
	v_add3_u32 v12, v22, v20, v0
	v_cndmask_b32_e32 v0, 0, v54, vcc
	v_sub_u32_e32 v0, v0, v23
	v_lshl_add_u32 v13, v0, 6, v21
	v_ashrrev_i32_e32 v0, 31, v13
	v_lshrrev_b32_e32 v0, 26, v0
	v_add_u32_e32 v0, v13, v0
	s_mov_b64 s[30:31], exec
	v_ashrrev_i32_e32 v4, 6, v0
.LBB2_480:                              ;   in Loop: Header=BB2_274 Depth=3
	s_or_b64 exec, exec, s[58:59]
	s_and_b64 s[28:29], s[30:31], exec
.LBB2_481:                              ;   in Loop: Header=BB2_274 Depth=3
	s_or_b64 exec, exec, s[56:57]
	s_and_saveexec_b64 s[30:31], s[28:29]
	s_cbranch_execnz .LBB2_347
.LBB2_482:                              ;   in Loop: Header=BB2_274 Depth=3
	s_or_b64 exec, exec, s[30:31]
	s_and_saveexec_b64 s[28:29], s[10:11]
	s_cbranch_execz .LBB2_359
.LBB2_483:                              ;   in Loop: Header=BB2_274 Depth=3
	s_and_saveexec_b64 vcc, s[48:49]
	s_xor_b64 s[30:31], exec, vcc
	s_cbranch_execz .LBB2_498
; %bb.484:                              ;   in Loop: Header=BB2_274 Depth=3
	s_and_saveexec_b64 s[56:57], s[16:17]
	s_cbranch_execz .LBB2_497
; %bb.485:                              ;   in Loop: Header=BB2_274 Depth=3
	s_mov_b64 s[60:61], exec
	v_mbcnt_lo_u32_b32 v0, s60, 0
	v_mbcnt_hi_u32_b32 v0, s61, v0
	v_cmp_eq_u32_e32 vcc, 0, v0
	s_waitcnt vmcnt(0) lgkmcnt(0)
	buffer_wbinvl1_vol
	s_and_saveexec_b64 s[58:59], vcc
	s_cbranch_execz .LBB2_487
; %bb.486:                              ;   in Loop: Header=BB2_274 Depth=3
	s_bcnt1_i32_b64 vcc_lo, s[60:61]
	v_mov_b32_e32 v4, vcc_lo
	v_mov_b32_e32 v5, v52
	ds_add_u64 v0, v[4:5]
	s_trap 2
.LBB2_487:                              ;   in Loop: Header=BB2_274 Depth=3
	s_or_b64 exec, exec, s[58:59]
	s_trap 2
	ds_read_b64 v[4:5], v0
	v_add_co_u32_e32 v48, vcc, v48, v54
	v_addc_co_u32_e32 v49, vcc, 0, v49, vcc
	s_waitcnt lgkmcnt(0)
	v_cmp_lt_u64_e32 vcc, v[4:5], v[48:49]
	s_and_saveexec_b64 s[58:59], vcc
	s_cbranch_execz .LBB2_496
; %bb.488:                              ;   in Loop: Header=BB2_274 Depth=3
	s_mov_b32 s46, 0
	s_mov_b64 s[60:61], 0
                                        ; implicit-def: $sgpr62_sgpr63
                                        ; implicit-def: $sgpr64_sgpr65
	s_branch .LBB2_490
.LBB2_489:                              ;   in Loop: Header=BB2_490 Depth=4
	s_or_b64 exec, exec, s[68:69]
	s_and_b64 vcc, exec, vcc
	s_or_b64 s[60:61], vcc, s[60:61]
	s_andn2_b64 vcc, s[62:63], exec
	s_and_b64 s[62:63], s[64:65], exec
	s_or_b64 s[62:63], vcc, s[62:63]
	s_andn2_b64 exec, exec, s[60:61]
	s_cbranch_execz .LBB2_494
.LBB2_490:                              ;   Parent Loop BB2_47 Depth=1
                                        ;     Parent Loop BB2_271 Depth=2
                                        ;       Parent Loop BB2_274 Depth=3
                                        ; =>      This Inner Loop Header: Depth=4
	s_add_i32 s46, s46, 1
	s_cmpk_lg_i32 s46, 0x2710
	s_cselect_b64 s[66:67], -1, 0
	s_and_b64 vcc, exec, s[66:67]
                                        ; implicit-def: $sgpr68_sgpr69
	s_cbranch_vccnz .LBB2_492
; %bb.491:                              ;   in Loop: Header=BB2_490 Depth=4
	s_trap 2
	ds_read_b64 v[4:5], v0
	s_andn2_b64 s[66:67], s[66:67], exec
	s_mov_b32 s46, 0
	s_mov_b64 s[68:69], -1
	s_waitcnt lgkmcnt(0)
	flat_load_dword v0, v[4:5] glc
	s_waitcnt vmcnt(0) lgkmcnt(0)
	buffer_invl2
	buffer_wbinvl1_vol
	v_cmp_eq_u32_e32 vcc, 0, v0
	s_and_b64 vcc, vcc, exec
	s_or_b64 s[66:67], s[66:67], vcc
.LBB2_492:                              ;   in Loop: Header=BB2_490 Depth=4
	s_andn2_b64 s[64:65], s[64:65], exec
	s_and_b64 s[68:69], s[68:69], exec
	s_mov_b64 vcc, -1
	s_or_b64 s[64:65], s[64:65], s[68:69]
	s_and_saveexec_b64 s[68:69], s[66:67]
	s_cbranch_execz .LBB2_489
; %bb.493:                              ;   in Loop: Header=BB2_490 Depth=4
	s_sleep 1
	s_trap 2
	ds_read_b64 v[4:5], v0
	s_andn2_b64 s[64:65], s[64:65], exec
	s_waitcnt lgkmcnt(0)
	v_cmp_ge_u64_e32 vcc, v[4:5], v[48:49]
	s_orn2_b64 vcc, vcc, exec
	s_branch .LBB2_489
.LBB2_494:                              ;   in Loop: Header=BB2_274 Depth=3
	s_or_b64 exec, exec, s[60:61]
	s_and_saveexec_b64 vcc, s[62:63]
	s_xor_b64 vcc, exec, vcc
	s_cbranch_execz .LBB2_496
; %bb.495:                              ;   in Loop: Header=BB2_274 Depth=3
	v_mov_b32_e32 v0, 1
	ds_write_b32 v0, v0
	s_trap 2
.LBB2_496:                              ;   in Loop: Header=BB2_274 Depth=3
	s_or_b64 exec, exec, s[58:59]
	;;#ASMSTART
	s_wakeup
	;;#ASMEND
.LBB2_497:                              ;   in Loop: Header=BB2_274 Depth=3
	s_or_b64 exec, exec, s[56:57]
.LBB2_498:                              ;   in Loop: Header=BB2_274 Depth=3
	s_andn2_saveexec_b64 vcc, s[30:31]
	s_cbranch_execz .LBB2_500
; %bb.499:                              ;   in Loop: Header=BB2_274 Depth=3
	s_waitcnt vmcnt(0) lgkmcnt(0)
	buffer_wbinvl1_vol
	s_barrier
.LBB2_500:                              ;   in Loop: Header=BB2_274 Depth=3
	s_or_b64 exec, exec, vcc
	s_or_b64 exec, exec, s[28:29]
                                        ; implicit-def: $vgpr4
	s_and_saveexec_b64 s[28:29], s[24:25]
	s_xor_b64 s[30:31], exec, s[28:29]
	s_cbranch_execnz .LBB2_360
.LBB2_501:                              ;   in Loop: Header=BB2_274 Depth=3
	s_andn2_saveexec_b64 s[28:29], s[30:31]
	s_cbranch_execz .LBB2_520
.LBB2_502:                              ;   in Loop: Header=BB2_274 Depth=3
	s_and_saveexec_b64 vcc, s[48:49]
	s_xor_b64 s[30:31], exec, vcc
	s_cbranch_execz .LBB2_517
; %bb.503:                              ;   in Loop: Header=BB2_274 Depth=3
	s_and_saveexec_b64 s[56:57], s[16:17]
	s_cbranch_execz .LBB2_516
; %bb.504:                              ;   in Loop: Header=BB2_274 Depth=3
	s_mov_b64 s[60:61], exec
	v_mbcnt_lo_u32_b32 v0, s60, 0
	v_mbcnt_hi_u32_b32 v0, s61, v0
	v_cmp_eq_u32_e32 vcc, 0, v0
	;;#ASMSTART
	s_waitcnt lgkmcnt(0) vmcnt(0)
	;;#ASMEND
	s_and_saveexec_b64 s[58:59], vcc
	s_cbranch_execz .LBB2_506
; %bb.505:                              ;   in Loop: Header=BB2_274 Depth=3
	s_bcnt1_i32_b64 vcc_lo, s[60:61]
	v_mov_b32_e32 v4, vcc_lo
	v_mov_b32_e32 v5, v52
	ds_add_u64 v0, v[4:5]
	s_trap 2
.LBB2_506:                              ;   in Loop: Header=BB2_274 Depth=3
	s_or_b64 exec, exec, s[58:59]
	s_trap 2
	ds_read_b64 v[4:5], v0
	v_add_co_u32_e32 v48, vcc, v48, v54
	v_addc_co_u32_e32 v49, vcc, 0, v49, vcc
	s_waitcnt lgkmcnt(0)
	v_cmp_lt_u64_e32 vcc, v[4:5], v[48:49]
	s_and_saveexec_b64 s[58:59], vcc
	s_cbranch_execz .LBB2_515
; %bb.507:                              ;   in Loop: Header=BB2_274 Depth=3
	s_mov_b32 s46, 0
	s_mov_b64 s[60:61], 0
                                        ; implicit-def: $sgpr62_sgpr63
                                        ; implicit-def: $sgpr64_sgpr65
	s_branch .LBB2_509
.LBB2_508:                              ;   in Loop: Header=BB2_509 Depth=4
	s_or_b64 exec, exec, s[68:69]
	s_and_b64 vcc, exec, vcc
	s_or_b64 s[60:61], vcc, s[60:61]
	s_andn2_b64 vcc, s[62:63], exec
	s_and_b64 s[62:63], s[64:65], exec
	s_or_b64 s[62:63], vcc, s[62:63]
	s_andn2_b64 exec, exec, s[60:61]
	s_cbranch_execz .LBB2_513
.LBB2_509:                              ;   Parent Loop BB2_47 Depth=1
                                        ;     Parent Loop BB2_271 Depth=2
                                        ;       Parent Loop BB2_274 Depth=3
                                        ; =>      This Inner Loop Header: Depth=4
	s_add_i32 s46, s46, 1
	s_cmpk_lg_i32 s46, 0x2710
	s_cselect_b64 s[66:67], -1, 0
	s_and_b64 vcc, exec, s[66:67]
                                        ; implicit-def: $sgpr68_sgpr69
	s_cbranch_vccnz .LBB2_511
; %bb.510:                              ;   in Loop: Header=BB2_509 Depth=4
	s_trap 2
	ds_read_b64 v[4:5], v0
	s_andn2_b64 s[66:67], s[66:67], exec
	s_mov_b32 s46, 0
	s_mov_b64 s[68:69], -1
	s_waitcnt vmcnt(0) lgkmcnt(0)
	flat_load_dword v0, v[4:5] glc
	s_waitcnt vmcnt(0) lgkmcnt(0)
	buffer_invl2
	buffer_wbinvl1_vol
	v_cmp_eq_u32_e32 vcc, 0, v0
	s_and_b64 vcc, vcc, exec
	s_or_b64 s[66:67], s[66:67], vcc
.LBB2_511:                              ;   in Loop: Header=BB2_509 Depth=4
	s_andn2_b64 s[64:65], s[64:65], exec
	s_and_b64 s[68:69], s[68:69], exec
	s_mov_b64 vcc, -1
	s_or_b64 s[64:65], s[64:65], s[68:69]
	s_and_saveexec_b64 s[68:69], s[66:67]
	s_cbranch_execz .LBB2_508
; %bb.512:                              ;   in Loop: Header=BB2_509 Depth=4
	s_sleep 1
	s_trap 2
	ds_read_b64 v[4:5], v0
	s_andn2_b64 s[64:65], s[64:65], exec
	s_waitcnt lgkmcnt(0)
	v_cmp_ge_u64_e32 vcc, v[4:5], v[48:49]
	s_orn2_b64 vcc, vcc, exec
	s_branch .LBB2_508
.LBB2_513:                              ;   in Loop: Header=BB2_274 Depth=3
	s_or_b64 exec, exec, s[60:61]
	s_and_saveexec_b64 vcc, s[62:63]
	s_xor_b64 vcc, exec, vcc
	s_cbranch_execz .LBB2_515
; %bb.514:                              ;   in Loop: Header=BB2_274 Depth=3
	v_mov_b32_e32 v0, 1
	ds_write_b32 v0, v0
	s_trap 2
.LBB2_515:                              ;   in Loop: Header=BB2_274 Depth=3
	s_or_b64 exec, exec, s[58:59]
	;;#ASMSTART
	s_wakeup
	;;#ASMEND
.LBB2_516:                              ;   in Loop: Header=BB2_274 Depth=3
	s_or_b64 exec, exec, s[56:57]
.LBB2_517:                              ;   in Loop: Header=BB2_274 Depth=3
	s_andn2_saveexec_b64 vcc, s[30:31]
	s_cbranch_execz .LBB2_519
; %bb.518:                              ;   in Loop: Header=BB2_274 Depth=3
	;;#ASMSTART
	s_waitcnt lgkmcnt(0) vmcnt(0)
	;;#ASMEND
	s_barrier
.LBB2_519:                              ;   in Loop: Header=BB2_274 Depth=3
	s_or_b64 exec, exec, vcc
	v_and_b32_e32 v4, 16, v62
.LBB2_520:                              ;   in Loop: Header=BB2_274 Depth=3
	s_or_b64 exec, exec, s[28:29]
	v_cmp_ne_u32_e32 vcc, 0, v4
	s_xor_b64 s[28:29], s[12:13], -1
	s_and_b64 vcc, vcc, s[28:29]
	s_and_saveexec_b64 s[28:29], vcc
	s_cbranch_execz .LBB2_522
; %bb.521:                              ;   in Loop: Header=BB2_274 Depth=3
	v_mov_b32_e32 v0, 1
	flat_store_dword v[58:59], v0
.LBB2_522:                              ;   in Loop: Header=BB2_274 Depth=3
	s_or_b64 exec, exec, s[28:29]
	v_and_b32_e32 v0, 48, v62
	v_cmp_ne_u32_e32 vcc, 0, v0
	s_and_saveexec_b64 s[28:29], vcc
	s_cbranch_execz .LBB2_273
; %bb.523:                              ;   in Loop: Header=BB2_274 Depth=3
	v_add_co_u32_e32 v32, vcc, 2, v32
	v_addc_co_u32_e32 v33, vcc, 0, v33, vcc
	flat_store_dwordx2 v[34:35], v[32:33]
	s_branch .LBB2_273
.LBB2_524:                              ;   in Loop: Header=BB2_271 Depth=2
	s_or_b64 exec, exec, s[36:37]
	v_mov_b32_e32 v43, 1
.LBB2_525:                              ;   in Loop: Header=BB2_271 Depth=2
	s_or_b64 exec, exec, s[34:35]
	v_cmp_gt_i32_e32 vcc, 2, v3
	s_and_saveexec_b64 s[30:31], vcc
	s_cbranch_execz .LBB2_270
; %bb.526:                              ;   in Loop: Header=BB2_271 Depth=2
	v_cmp_eq_u32_e64 s[28:29], 0, v3
	s_mov_b64 s[34:35], 0
	s_branch .LBB2_528
.LBB2_527:                              ;   in Loop: Header=BB2_528 Depth=3
	s_or_b64 exec, exec, s[28:29]
	v_add_u32_e32 v24, v2, v24
	s_mov_b64 s[28:29], 0
	s_andn2_b64 exec, exec, s[34:35]
	s_cbranch_execz .LBB2_269
.LBB2_528:                              ;   Parent Loop BB2_47 Depth=1
                                        ;     Parent Loop BB2_271 Depth=2
                                        ; =>    This Loop Header: Depth=3
                                        ;         Child Loop BB2_534 Depth 4
                                        ;         Child Loop BB2_574 Depth 4
	;; [unrolled: 1-line block ×3, first 2 shown]
	v_and_b32_e32 v0, 12, v62
	s_mov_b64 s[38:39], -1
	v_cmp_ne_u32_e32 vcc, 0, v0
	s_and_saveexec_b64 s[36:37], vcc
	s_cbranch_execz .LBB2_540
; %bb.529:                              ;   in Loop: Header=BB2_528 Depth=3
	v_and_b32_e32 v4, 8, v62
	v_add_co_u32_e32 v10, vcc, v50, v4
	v_addc_co_u32_e32 v11, vcc, 0, v51, vcc
	v_add_co_u32_e32 v8, vcc, 2, v32
	v_addc_co_u32_e32 v9, vcc, 0, v33, vcc
	v_cmp_lt_u64_e32 vcc, v[10:11], v[8:9]
	v_mov_b32_e32 v0, 1
	s_and_saveexec_b64 s[38:39], vcc
	s_cbranch_execz .LBB2_539
; %bb.530:                              ;   in Loop: Header=BB2_528 Depth=3
	s_mov_b64 s[56:57], 0
	v_mov_b32_e32 v3, 0
                                        ; implicit-def: $sgpr58_sgpr59
	s_branch .LBB2_534
.LBB2_531:                              ;   in Loop: Header=BB2_534 Depth=4
	s_or_b64 exec, exec, s[66:67]
	v_mov_b32_e32 v0, 0
	s_orn2_b64 s[64:65], s[64:65], exec
.LBB2_532:                              ;   in Loop: Header=BB2_534 Depth=4
	s_or_b64 exec, exec, s[62:63]
	s_andn2_b64 vcc, s[58:59], exec
	s_and_b64 s[58:59], s[64:65], exec
	s_or_b64 s[58:59], vcc, s[58:59]
	v_mov_b32_e32 v3, v0
.LBB2_533:                              ;   in Loop: Header=BB2_534 Depth=4
	s_or_b64 exec, exec, s[60:61]
	s_waitcnt vmcnt(0) lgkmcnt(0)
	v_add_co_u32_e32 v10, vcc, v50, v4
	v_addc_co_u32_e32 v11, vcc, 0, v51, vcc
	v_cmp_ge_u64_e32 vcc, v[10:11], v[8:9]
	s_xor_b64 s[60:61], s[58:59], -1
	s_or_b64 vcc, s[60:61], vcc
	s_and_b64 vcc, exec, vcc
	s_or_b64 s[56:57], vcc, s[56:57]
	s_andn2_b64 exec, exec, s[56:57]
	s_cbranch_execz .LBB2_538
.LBB2_534:                              ;   Parent Loop BB2_47 Depth=1
                                        ;     Parent Loop BB2_271 Depth=2
                                        ;       Parent Loop BB2_528 Depth=3
                                        ; =>      This Inner Loop Header: Depth=4
	s_sleep 1
	flat_load_dwordx2 v[50:51], v[34:35] glc
	v_and_b32_e32 v0, 64, v62
	v_cmp_eq_u32_e32 vcc, 0, v0
	s_andn2_b64 s[58:59], s[58:59], exec
	s_and_saveexec_b64 s[60:61], vcc
	s_cbranch_execz .LBB2_533
; %bb.535:                              ;   in Loop: Header=BB2_534 Depth=4
	v_add_u32_e32 v0, 1, v3
	v_cmp_lt_i32_e32 vcc, s83, v3
	s_mov_b64 s[64:65], -1
	s_and_saveexec_b64 s[62:63], vcc
	s_cbranch_execz .LBB2_532
; %bb.536:                              ;   in Loop: Header=BB2_534 Depth=4
	s_trap 2
	ds_read_b64 v[10:11], v0
	s_waitcnt vmcnt(0) lgkmcnt(0)
	flat_load_dword v0, v[10:11] glc
	s_waitcnt vmcnt(0) lgkmcnt(0)
	buffer_invl2
	buffer_wbinvl1_vol
	v_cmp_ne_u32_e32 vcc, 0, v0
	s_and_saveexec_b64 s[66:67], vcc
	s_cbranch_execz .LBB2_531
; %bb.537:                              ;   in Loop: Header=BB2_534 Depth=4
	v_or_b32_e32 v62, 64, v62
	s_xor_b64 s[64:65], exec, -1
	ds_write_b32 v0, v0
	s_trap 2
	s_branch .LBB2_531
.LBB2_538:                              ;   in Loop: Header=BB2_528 Depth=3
	s_or_b64 exec, exec, s[56:57]
	v_and_b32_e32 v0, 12, v62
.LBB2_539:                              ;   in Loop: Header=BB2_528 Depth=3
	s_or_b64 exec, exec, s[38:39]
	v_cmp_eq_u32_e32 vcc, 0, v0
	s_orn2_b64 s[38:39], vcc, exec
	;;#ASMSTART
	s_wakeup
	;;#ASMEND
.LBB2_540:                              ;   in Loop: Header=BB2_528 Depth=3
	s_or_b64 exec, exec, s[36:37]
	s_xor_b64 s[28:29], s[28:29], -1
	s_and_b64 s[28:29], exec, s[28:29]
	s_or_b64 s[34:35], s[28:29], s[34:35]
	v_sub_u32_e32 v0, v40, v24
	s_xor_b64 s[28:29], s[38:39], -1
	v_min_i32_e32 v2, v2, v0
	s_and_saveexec_b64 s[36:37], s[28:29]
	s_cbranch_execz .LBB2_566
; %bb.541:                              ;   in Loop: Header=BB2_528 Depth=3
	v_and_b32_e32 v0, 0x108, v62
	v_cmp_ne_u32_e32 vcc, s84, v0
	v_and_b32_e32 v4, 7, v32
	s_and_saveexec_b64 s[28:29], vcc
	s_xor_b64 s[28:29], exec, s[28:29]
                                        ; implicit-def: $vgpr8_vgpr9
; %bb.542:                              ;   in Loop: Header=BB2_528 Depth=3
	v_mov_b32_e32 v9, v52
; %bb.543:                              ;   in Loop: Header=BB2_528 Depth=3
	s_andn2_saveexec_b64 s[28:29], s[28:29]
	s_cbranch_execz .LBB2_545
; %bb.544:                              ;   in Loop: Header=BB2_528 Depth=3
	v_accvgpr_read_b32 v6, a12
	v_accvgpr_read_b32 v7, a13
	v_ashrrev_i32_e32 v3, 31, v2
	v_mov_b32_e32 v9, v52
	v_mad_u64_u32 v[10:11], vcc, v4, 24, v[6:7]
	v_lshlrev_b64 v[12:13], 1, v[2:3]
	flat_store_dwordx2 v[10:11], v[12:13] offset:8
.LBB2_545:                              ;   in Loop: Header=BB2_528 Depth=3
	s_or_b64 exec, exec, s[28:29]
	v_and_b32_e32 v0, 0x100, v62
	v_cmp_ne_u32_e32 vcc, 0, v0
	s_mov_b64 s[28:29], -1
                                        ; implicit-def: $vgpr10_vgpr11
	s_and_saveexec_b64 s[38:39], vcc
	s_cbranch_execz .LBB2_549
; %bb.546:                              ;   in Loop: Header=BB2_528 Depth=3
	v_accvgpr_read_b32 v6, a12
	v_accvgpr_read_b32 v7, a13
	v_mad_u64_u32 v[12:13], s[28:29], v4, 24, v[6:7]
	v_mov_b32_e32 v0, v13
	v_mad_u64_u32 v[10:11], s[28:29], v9, 24, v[0:1]
	v_mov_b32_e32 v13, v10
	flat_load_dword v0, v[12:13]
                                        ; implicit-def: $vgpr10_vgpr11
	s_waitcnt vmcnt(0) lgkmcnt(0)
	v_cmp_ne_u32_e32 vcc, 1, v0
	v_cmp_eq_u32_e64 s[28:29], 1, v0
	s_and_saveexec_b64 s[56:57], s[28:29]
	s_cbranch_execz .LBB2_548
; %bb.547:                              ;   in Loop: Header=BB2_528 Depth=3
	flat_load_dword v10, v[12:13] offset:4 glc
	s_waitcnt vmcnt(0) lgkmcnt(0)
	v_ashrrev_i32_e32 v11, 31, v10
	v_lshrrev_b64 v[10:11], 1, v[10:11]
.LBB2_548:                              ;   in Loop: Header=BB2_528 Depth=3
	s_or_b64 exec, exec, s[56:57]
	s_orn2_b64 s[28:29], vcc, exec
.LBB2_549:                              ;   in Loop: Header=BB2_528 Depth=3
	s_or_b64 exec, exec, s[38:39]
	s_and_saveexec_b64 vcc, s[28:29]
; %bb.550:                              ;   in Loop: Header=BB2_528 Depth=3
	v_accvgpr_read_b32 v3, a17
	v_mul_lo_u32 v0, v9, v30
	v_mul_lo_u32 v3, v4, v3
	v_mad_u64_u32 v[10:11], s[28:29], v4, v30, 0
	v_add3_u32 v11, v11, v3, v0
; %bb.551:                              ;   in Loop: Header=BB2_528 Depth=3
	s_or_b64 exec, exec, vcc
	v_lshlrev_b64 v[4:5], 1, v[10:11]
	v_add_co_u32_e32 v4, vcc, v36, v4
	v_addc_co_u32_e32 v5, vcc, v37, v5, vcc
	s_trap 2
	ds_write_b64 v0, v[4:5]
	v_and_b32_e32 v0, 0x2000, v62
	v_cmp_ne_u32_e32 vcc, 0, v0
	s_and_saveexec_b64 s[28:29], vcc
	s_cbranch_execz .LBB2_553
; %bb.552:                              ;   in Loop: Header=BB2_528 Depth=3
	ds_read_b64 v[4:5], v0 offset:584
	s_waitcnt lgkmcnt(0)
	v_add_co_u32_e32 v4, vcc, 1, v4
	v_addc_co_u32_e32 v5, vcc, 0, v5, vcc
	ds_write_b64 v0, v[4:5] offset:584
.LBB2_553:                              ;   in Loop: Header=BB2_528 Depth=3
	s_or_b64 exec, exec, s[28:29]
	v_add_co_u32_e32 v32, vcc, 2, v32
	v_addc_co_u32_e32 v33, vcc, 0, v33, vcc
	s_or_b64 exec, exec, s[36:37]
	s_and_saveexec_b64 s[28:29], s[10:11]
	s_cbranch_execnz .LBB2_567
.LBB2_554:                              ;   in Loop: Header=BB2_528 Depth=3
	s_or_b64 exec, exec, s[28:29]
                                        ; implicit-def: $vgpr3
	s_and_saveexec_b64 s[28:29], s[52:53]
	s_xor_b64 s[28:29], exec, s[28:29]
	s_cbranch_execz .LBB2_592
.LBB2_555:                              ;   in Loop: Header=BB2_528 Depth=3
	s_and_saveexec_b64 vcc, s[48:49]
	s_xor_b64 s[36:37], exec, vcc
	s_cbranch_execz .LBB2_582
; %bb.556:                              ;   in Loop: Header=BB2_528 Depth=3
	s_and_saveexec_b64 s[38:39], s[16:17]
	s_cbranch_execz .LBB2_581
; %bb.557:                              ;   in Loop: Header=BB2_528 Depth=3
	s_mov_b64 s[58:59], exec
	v_mbcnt_lo_u32_b32 v0, s58, 0
	v_mbcnt_hi_u32_b32 v0, s59, v0
	v_cmp_eq_u32_e32 vcc, 0, v0
	;;#ASMSTART
	s_waitcnt lgkmcnt(0) vmcnt(0)
	;;#ASMEND
	s_and_saveexec_b64 s[56:57], vcc
	s_cbranch_execz .LBB2_559
; %bb.558:                              ;   in Loop: Header=BB2_528 Depth=3
	s_bcnt1_i32_b64 vcc_lo, s[58:59]
	v_mov_b32_e32 v4, vcc_lo
	v_mov_b32_e32 v5, v52
	ds_add_u64 v0, v[4:5]
	s_trap 2
.LBB2_559:                              ;   in Loop: Header=BB2_528 Depth=3
	s_or_b64 exec, exec, s[56:57]
	s_trap 2
	ds_read_b64 v[4:5], v0
	v_add_co_u32_e32 v48, vcc, v48, v54
	v_addc_co_u32_e32 v49, vcc, 0, v49, vcc
	s_waitcnt lgkmcnt(0)
	v_cmp_lt_u64_e32 vcc, v[4:5], v[48:49]
	s_and_saveexec_b64 s[56:57], vcc
	s_cbranch_execz .LBB2_580
; %bb.560:                              ;   in Loop: Header=BB2_528 Depth=3
	s_mov_b32 s46, 0
	s_mov_b64 s[58:59], 0
                                        ; implicit-def: $sgpr60_sgpr61
                                        ; implicit-def: $sgpr62_sgpr63
	s_branch .LBB2_562
.LBB2_561:                              ;   in Loop: Header=BB2_562 Depth=4
	s_or_b64 exec, exec, s[66:67]
	s_and_b64 vcc, exec, vcc
	s_or_b64 s[58:59], vcc, s[58:59]
	s_andn2_b64 vcc, s[60:61], exec
	s_and_b64 s[60:61], s[62:63], exec
	s_or_b64 s[60:61], vcc, s[60:61]
	s_andn2_b64 exec, exec, s[58:59]
	s_cbranch_execz .LBB2_578
.LBB2_562:                              ;   Parent Loop BB2_47 Depth=1
                                        ;     Parent Loop BB2_271 Depth=2
                                        ;       Parent Loop BB2_528 Depth=3
                                        ; =>      This Inner Loop Header: Depth=4
	s_add_i32 s46, s46, 1
	s_cmpk_lg_i32 s46, 0x2710
	s_cselect_b64 s[64:65], -1, 0
	s_and_b64 vcc, exec, s[64:65]
                                        ; implicit-def: $sgpr66_sgpr67
	s_cbranch_vccnz .LBB2_564
; %bb.563:                              ;   in Loop: Header=BB2_562 Depth=4
	s_trap 2
	ds_read_b64 v[4:5], v0
	s_andn2_b64 s[64:65], s[64:65], exec
	s_mov_b32 s46, 0
	s_mov_b64 s[66:67], -1
	s_waitcnt vmcnt(0) lgkmcnt(0)
	flat_load_dword v0, v[4:5] glc
	s_waitcnt vmcnt(0) lgkmcnt(0)
	buffer_invl2
	buffer_wbinvl1_vol
	v_cmp_eq_u32_e32 vcc, 0, v0
	s_and_b64 vcc, vcc, exec
	s_or_b64 s[64:65], s[64:65], vcc
.LBB2_564:                              ;   in Loop: Header=BB2_562 Depth=4
	s_andn2_b64 s[62:63], s[62:63], exec
	s_and_b64 s[66:67], s[66:67], exec
	s_mov_b64 vcc, -1
	s_or_b64 s[62:63], s[62:63], s[66:67]
	s_and_saveexec_b64 s[66:67], s[64:65]
	s_cbranch_execz .LBB2_561
; %bb.565:                              ;   in Loop: Header=BB2_562 Depth=4
	s_sleep 1
	s_trap 2
	ds_read_b64 v[4:5], v0
	s_andn2_b64 s[62:63], s[62:63], exec
	s_waitcnt lgkmcnt(0)
	v_cmp_ge_u64_e32 vcc, v[4:5], v[48:49]
	s_orn2_b64 vcc, vcc, exec
	s_branch .LBB2_561
.LBB2_566:                              ;   in Loop: Header=BB2_528 Depth=3
	s_or_b64 exec, exec, s[36:37]
	s_and_saveexec_b64 s[28:29], s[10:11]
	s_cbranch_execz .LBB2_554
.LBB2_567:                              ;   in Loop: Header=BB2_528 Depth=3
	s_and_saveexec_b64 vcc, s[48:49]
	s_xor_b64 s[36:37], exec, vcc
	s_cbranch_execz .LBB2_589
; %bb.568:                              ;   in Loop: Header=BB2_528 Depth=3
	s_and_saveexec_b64 s[38:39], s[16:17]
	s_cbranch_execz .LBB2_588
; %bb.569:                              ;   in Loop: Header=BB2_528 Depth=3
	s_mov_b64 s[58:59], exec
	v_mbcnt_lo_u32_b32 v0, s58, 0
	v_mbcnt_hi_u32_b32 v0, s59, v0
	v_cmp_eq_u32_e32 vcc, 0, v0
	s_waitcnt vmcnt(0) lgkmcnt(0)
	buffer_wbinvl1_vol
	s_and_saveexec_b64 s[56:57], vcc
	s_cbranch_execz .LBB2_571
; %bb.570:                              ;   in Loop: Header=BB2_528 Depth=3
	s_bcnt1_i32_b64 vcc_lo, s[58:59]
	v_mov_b32_e32 v4, vcc_lo
	v_mov_b32_e32 v5, v52
	ds_add_u64 v0, v[4:5]
	s_trap 2
.LBB2_571:                              ;   in Loop: Header=BB2_528 Depth=3
	s_or_b64 exec, exec, s[56:57]
	s_trap 2
	ds_read_b64 v[4:5], v0
	v_add_co_u32_e32 v48, vcc, v48, v54
	v_addc_co_u32_e32 v49, vcc, 0, v49, vcc
	s_waitcnt lgkmcnt(0)
	v_cmp_lt_u64_e32 vcc, v[4:5], v[48:49]
	s_and_saveexec_b64 s[56:57], vcc
	s_cbranch_execz .LBB2_587
; %bb.572:                              ;   in Loop: Header=BB2_528 Depth=3
	s_mov_b32 s46, 0
	s_mov_b64 s[58:59], 0
                                        ; implicit-def: $sgpr60_sgpr61
                                        ; implicit-def: $sgpr62_sgpr63
	s_branch .LBB2_574
.LBB2_573:                              ;   in Loop: Header=BB2_574 Depth=4
	s_or_b64 exec, exec, s[66:67]
	s_and_b64 vcc, exec, vcc
	s_or_b64 s[58:59], vcc, s[58:59]
	s_andn2_b64 vcc, s[60:61], exec
	s_and_b64 s[60:61], s[62:63], exec
	s_or_b64 s[60:61], vcc, s[60:61]
	s_andn2_b64 exec, exec, s[58:59]
	s_cbranch_execz .LBB2_585
.LBB2_574:                              ;   Parent Loop BB2_47 Depth=1
                                        ;     Parent Loop BB2_271 Depth=2
                                        ;       Parent Loop BB2_528 Depth=3
                                        ; =>      This Inner Loop Header: Depth=4
	s_add_i32 s46, s46, 1
	s_cmpk_lg_i32 s46, 0x2710
	s_cselect_b64 s[64:65], -1, 0
	s_and_b64 vcc, exec, s[64:65]
                                        ; implicit-def: $sgpr66_sgpr67
	s_cbranch_vccnz .LBB2_576
; %bb.575:                              ;   in Loop: Header=BB2_574 Depth=4
	s_trap 2
	ds_read_b64 v[4:5], v0
	s_andn2_b64 s[64:65], s[64:65], exec
	s_mov_b32 s46, 0
	s_mov_b64 s[66:67], -1
	s_waitcnt lgkmcnt(0)
	flat_load_dword v0, v[4:5] glc
	s_waitcnt vmcnt(0) lgkmcnt(0)
	buffer_invl2
	buffer_wbinvl1_vol
	v_cmp_eq_u32_e32 vcc, 0, v0
	s_and_b64 vcc, vcc, exec
	s_or_b64 s[64:65], s[64:65], vcc
.LBB2_576:                              ;   in Loop: Header=BB2_574 Depth=4
	s_andn2_b64 s[62:63], s[62:63], exec
	s_and_b64 s[66:67], s[66:67], exec
	s_mov_b64 vcc, -1
	s_or_b64 s[62:63], s[62:63], s[66:67]
	s_and_saveexec_b64 s[66:67], s[64:65]
	s_cbranch_execz .LBB2_573
; %bb.577:                              ;   in Loop: Header=BB2_574 Depth=4
	s_sleep 1
	s_trap 2
	ds_read_b64 v[4:5], v0
	s_andn2_b64 s[62:63], s[62:63], exec
	s_waitcnt lgkmcnt(0)
	v_cmp_ge_u64_e32 vcc, v[4:5], v[48:49]
	s_orn2_b64 vcc, vcc, exec
	s_branch .LBB2_573
.LBB2_578:                              ;   in Loop: Header=BB2_528 Depth=3
	s_or_b64 exec, exec, s[58:59]
	s_and_saveexec_b64 vcc, s[60:61]
	s_xor_b64 vcc, exec, vcc
	s_cbranch_execz .LBB2_580
; %bb.579:                              ;   in Loop: Header=BB2_528 Depth=3
	ds_write_b32 v0, v43
	s_trap 2
.LBB2_580:                              ;   in Loop: Header=BB2_528 Depth=3
	s_or_b64 exec, exec, s[56:57]
	;;#ASMSTART
	s_wakeup
	;;#ASMEND
.LBB2_581:                              ;   in Loop: Header=BB2_528 Depth=3
	s_or_b64 exec, exec, s[38:39]
.LBB2_582:                              ;   in Loop: Header=BB2_528 Depth=3
	s_andn2_saveexec_b64 vcc, s[36:37]
	s_cbranch_execz .LBB2_584
; %bb.583:                              ;   in Loop: Header=BB2_528 Depth=3
	;;#ASMSTART
	s_waitcnt lgkmcnt(0) vmcnt(0)
	;;#ASMEND
	s_barrier
.LBB2_584:                              ;   in Loop: Header=BB2_528 Depth=3
	s_or_b64 exec, exec, vcc
	v_and_b32_e32 v3, 16, v62
	s_andn2_saveexec_b64 s[28:29], s[28:29]
	s_cbranch_execz .LBB2_596
	s_branch .LBB2_593
.LBB2_585:                              ;   in Loop: Header=BB2_528 Depth=3
	s_or_b64 exec, exec, s[58:59]
	s_and_saveexec_b64 vcc, s[60:61]
	s_xor_b64 vcc, exec, vcc
	s_cbranch_execz .LBB2_587
; %bb.586:                              ;   in Loop: Header=BB2_528 Depth=3
	ds_write_b32 v0, v43
	s_trap 2
.LBB2_587:                              ;   in Loop: Header=BB2_528 Depth=3
	s_or_b64 exec, exec, s[56:57]
	;;#ASMSTART
	s_wakeup
	;;#ASMEND
.LBB2_588:                              ;   in Loop: Header=BB2_528 Depth=3
	s_or_b64 exec, exec, s[38:39]
.LBB2_589:                              ;   in Loop: Header=BB2_528 Depth=3
	s_andn2_saveexec_b64 vcc, s[36:37]
	s_cbranch_execz .LBB2_591
; %bb.590:                              ;   in Loop: Header=BB2_528 Depth=3
	s_waitcnt vmcnt(0) lgkmcnt(0)
	buffer_wbinvl1_vol
	s_barrier
.LBB2_591:                              ;   in Loop: Header=BB2_528 Depth=3
	s_or_b64 exec, exec, vcc
	s_or_b64 exec, exec, s[28:29]
                                        ; implicit-def: $vgpr3
	s_and_saveexec_b64 s[28:29], s[52:53]
	s_xor_b64 s[28:29], exec, s[28:29]
	s_cbranch_execnz .LBB2_555
.LBB2_592:                              ;   in Loop: Header=BB2_528 Depth=3
	s_andn2_saveexec_b64 s[28:29], s[28:29]
	s_cbranch_execz .LBB2_596
.LBB2_593:                              ;   in Loop: Header=BB2_528 Depth=3
	s_trap 2
	ds_read_b32 v0, v0
	v_cmp_lt_i32_e32 vcc, 0, v2
	v_and_b32_e32 v4, 16, v62
	v_and_b32_e32 v3, 16, v62
	s_waitcnt lgkmcnt(0)
	v_readfirstlane_b32 s36, v0
	s_cmp_eq_u32 s36, 0
	s_cselect_b64 s[36:37], -1, 0
	s_and_b64 s[36:37], vcc, s[36:37]
	v_cmp_ne_u32_e32 vcc, 0, v4
	s_and_b64 s[36:37], vcc, s[36:37]
	s_and_saveexec_b64 vcc, s[36:37]
	s_cbranch_execz .LBB2_595
; %bb.594:                              ;   in Loop: Header=BB2_528 Depth=3
	v_mov_b32_e32 v3, 1
	s_waitcnt vmcnt(0)
	buffer_wbinvl1_vol
.LBB2_595:                              ;   in Loop: Header=BB2_528 Depth=3
	s_or_b64 exec, exec, vcc
.LBB2_596:                              ;   in Loop: Header=BB2_528 Depth=3
	s_or_b64 exec, exec, s[28:29]
	v_cmp_ne_u32_e32 vcc, 0, v3
	s_xor_b64 s[28:29], s[12:13], -1
	s_and_b64 vcc, vcc, s[28:29]
	s_and_saveexec_b64 s[28:29], vcc
	s_cbranch_execz .LBB2_598
; %bb.597:                              ;   in Loop: Header=BB2_528 Depth=3
	flat_store_dword v[58:59], v43
.LBB2_598:                              ;   in Loop: Header=BB2_528 Depth=3
	s_or_b64 exec, exec, s[28:29]
	v_and_b32_e32 v0, 48, v62
	v_cmp_ne_u32_e32 vcc, 0, v0
	s_and_saveexec_b64 s[28:29], vcc
	s_cbranch_execz .LBB2_527
; %bb.599:                              ;   in Loop: Header=BB2_528 Depth=3
	v_add_co_u32_e32 v32, vcc, 2, v32
	v_addc_co_u32_e32 v33, vcc, 0, v33, vcc
	flat_store_dwordx2 v[34:35], v[32:33]
	s_branch .LBB2_527
.LBB2_600:                              ;   in Loop: Header=BB2_47 Depth=1
	v_accvgpr_read_b32 v6, a30
	v_accvgpr_read_b32 v7, a31
	v_mul_lo_u32 v0, v7, s72
	v_mul_lo_u32 v2, v6, s73
	v_mad_u64_u32 v[4:5], s[28:29], v6, s72, 0
	v_add3_u32 v5, v5, v2, v0
	v_accvgpr_read_b32 v2, a32
	v_accvgpr_read_b32 v3, a33
	v_sub_co_u32_e32 v2, vcc, v2, v4
	v_subb_co_u32_e32 v3, vcc, v3, v5, vcc
	v_cmp_lt_i64_e32 vcc, v[6:7], v[2:3]
	v_cndmask_b32_e32 v0, v2, v6, vcc
	v_max_i32_e32 v39, 0, v0
	v_add_u32_e32 v2, 31, v39
	v_lshrrev_b32_e32 v2, 1, v2
	v_and_b32_e32 v2, 0x3ffffff0, v2
	v_cmp_lt_i32_e32 vcc, 0, v0
	v_max_i32_e32 v2, s79, v2
	s_and_b64 s[28:29], s[54:55], vcc
	v_mov_b32_e32 v3, 0
	v_mov_b32_e32 v24, 0
	s_and_saveexec_b64 s[56:57], s[28:29]
	s_cbranch_execz .LBB2_997
; %bb.601:                              ;   in Loop: Header=BB2_47 Depth=1
	v_accvgpr_read_b32 v6, a34
	v_accvgpr_read_b32 v7, a35
	v_add_co_u32_e32 v4, vcc, v4, v6
	v_addc_co_u32_e32 v5, vcc, v5, v7, vcc
	v_lshlrev_b64 v[4:5], 1, v[4:5]
	v_accvgpr_write_b32 a39, v5
	s_mov_b32 s88, 1
	s_mov_b64 s[60:61], -1
	s_mov_b64 s[58:59], 0
	v_mov_b32_e32 v24, 0
	v_accvgpr_write_b32 a38, v4
	v_accvgpr_write_b32 a36, v39
	s_branch .LBB2_603
.LBB2_602:                              ;   in Loop: Header=BB2_603 Depth=2
	s_or_b64 exec, exec, s[28:29]
	v_add_u32_e32 v24, v2, v24
	v_cmp_ge_i32_e32 vcc, v24, v39
	s_xor_b64 s[28:29], s[60:61], -1
	s_or_b64 s[28:29], s[28:29], vcc
	s_and_b64 s[28:29], exec, s[28:29]
	s_or_b64 s[58:59], s[28:29], s[58:59]
	s_mov_b64 s[60:61], 0
	v_mov_b32_e32 v3, s88
	s_mov_b32 s88, 2
	s_andn2_b64 exec, exec, s[58:59]
	s_cbranch_execz .LBB2_996
.LBB2_603:                              ;   Parent Loop BB2_47 Depth=1
                                        ; =>  This Loop Header: Depth=2
                                        ;       Child Loop BB2_611 Depth 3
                                        ;       Child Loop BB2_639 Depth 3
	;; [unrolled: 1-line block ×9, first 2 shown]
                                        ;         Child Loop BB2_829 Depth 4
                                        ;       Child Loop BB2_839 Depth 3
                                        ;       Child Loop BB2_851 Depth 3
                                        ;         Child Loop BB2_856 Depth 4
                                        ;       Child Loop BB2_686 Depth 3
                                        ;       Child Loop BB2_777 Depth 3
	s_and_saveexec_b64 s[28:29], s[4:5]
	s_cbranch_execz .LBB2_605
; %bb.604:                              ;   in Loop: Header=BB2_603 Depth=2
	s_trap 2
	ds_read2_b64 v[8:11], v0 offset1:1
	ds_read_b64 v[4:5], v0
	v_accvgpr_read_b32 v6, a38
	v_accvgpr_read_b32 v7, a39
	v_ashrrev_i32_e32 v25, 31, v24
	s_waitcnt lgkmcnt(0)
	v_add_co_u32_e32 v0, vcc, v8, v6
	v_addc_co_u32_e32 v3, vcc, v9, v7, vcc
	v_lshlrev_b64 v[8:9], 1, v[24:25]
	v_add_co_u32_e32 v12, vcc, v0, v8
	v_addc_co_u32_e32 v13, vcc, v3, v9, vcc
	ds_write_b64 v0, v[12:13]
	v_add_co_u32_e32 v0, vcc, v10, v6
	v_addc_co_u32_e32 v3, vcc, v11, v7, vcc
	v_add_co_u32_e32 v10, vcc, v0, v8
	v_addc_co_u32_e32 v11, vcc, v3, v9, vcc
	ds_write_b64 v0, v[10:11]
	v_add_co_u32_e32 v0, vcc, v4, v6
	v_addc_co_u32_e32 v3, vcc, v5, v7, vcc
	v_add_co_u32_e32 v0, vcc, v0, v8
	v_addc_co_u32_e32 v3, vcc, v3, v9, vcc
	v_cmp_ne_u64_e32 vcc, 0, v[4:5]
	v_cndmask_b32_e32 v5, 0, v3, vcc
	v_cndmask_b32_e32 v4, 0, v0, vcc
	ds_write_b64 v0, v[4:5]
.LBB2_605:                              ;   in Loop: Header=BB2_603 Depth=2
	s_or_b64 exec, exec, s[28:29]
	v_and_b32_e32 v0, 12, v62
	v_cmp_ne_u32_e32 vcc, 0, v0
	s_mov_b64 s[30:31], -1
	s_and_saveexec_b64 s[28:29], vcc
	s_cbranch_execz .LBB2_617
; %bb.606:                              ;   in Loop: Header=BB2_603 Depth=2
	v_and_b32_e32 v4, 8, v62
	v_add_co_u32_e32 v10, vcc, v50, v4
	v_addc_co_u32_e32 v11, vcc, 0, v51, vcc
	v_add_co_u32_e32 v8, vcc, 2, v32
	v_addc_co_u32_e32 v9, vcc, 0, v33, vcc
	v_cmp_lt_u64_e32 vcc, v[10:11], v[8:9]
	v_mov_b32_e32 v0, 1
	s_and_saveexec_b64 s[30:31], vcc
	s_cbranch_execz .LBB2_616
; %bb.607:                              ;   in Loop: Header=BB2_603 Depth=2
	s_mov_b64 s[34:35], 0
	v_mov_b32_e32 v3, 0
                                        ; implicit-def: $sgpr36_sgpr37
	s_branch .LBB2_611
.LBB2_608:                              ;   in Loop: Header=BB2_611 Depth=3
	s_or_b64 exec, exec, s[66:67]
	v_mov_b32_e32 v0, 0
	s_orn2_b64 s[64:65], s[64:65], exec
.LBB2_609:                              ;   in Loop: Header=BB2_611 Depth=3
	s_or_b64 exec, exec, s[62:63]
	s_andn2_b64 vcc, s[36:37], exec
	s_and_b64 s[36:37], s[64:65], exec
	s_or_b64 s[36:37], vcc, s[36:37]
	v_mov_b32_e32 v3, v0
.LBB2_610:                              ;   in Loop: Header=BB2_611 Depth=3
	s_or_b64 exec, exec, s[38:39]
	s_waitcnt vmcnt(0) lgkmcnt(0)
	v_add_co_u32_e32 v10, vcc, v50, v4
	v_addc_co_u32_e32 v11, vcc, 0, v51, vcc
	v_cmp_ge_u64_e32 vcc, v[10:11], v[8:9]
	s_xor_b64 s[38:39], s[36:37], -1
	s_or_b64 vcc, s[38:39], vcc
	s_and_b64 vcc, exec, vcc
	s_or_b64 s[34:35], vcc, s[34:35]
	s_andn2_b64 exec, exec, s[34:35]
	s_cbranch_execz .LBB2_615
.LBB2_611:                              ;   Parent Loop BB2_47 Depth=1
                                        ;     Parent Loop BB2_603 Depth=2
                                        ; =>    This Inner Loop Header: Depth=3
	s_sleep 1
	flat_load_dwordx2 v[50:51], v[34:35] glc
	v_and_b32_e32 v0, 64, v62
	v_cmp_eq_u32_e32 vcc, 0, v0
	s_andn2_b64 s[36:37], s[36:37], exec
	s_and_saveexec_b64 s[38:39], vcc
	s_cbranch_execz .LBB2_610
; %bb.612:                              ;   in Loop: Header=BB2_611 Depth=3
	v_add_u32_e32 v0, 1, v3
	v_cmp_lt_i32_e32 vcc, s83, v3
	s_mov_b64 s[64:65], -1
	s_and_saveexec_b64 s[62:63], vcc
	s_cbranch_execz .LBB2_609
; %bb.613:                              ;   in Loop: Header=BB2_611 Depth=3
	s_trap 2
	ds_read_b64 v[10:11], v0
	s_waitcnt vmcnt(0) lgkmcnt(0)
	flat_load_dword v0, v[10:11] glc
	s_waitcnt vmcnt(0) lgkmcnt(0)
	buffer_invl2
	buffer_wbinvl1_vol
	v_cmp_ne_u32_e32 vcc, 0, v0
	s_and_saveexec_b64 s[66:67], vcc
	s_cbranch_execz .LBB2_608
; %bb.614:                              ;   in Loop: Header=BB2_611 Depth=3
	v_or_b32_e32 v62, 64, v62
	s_xor_b64 s[64:65], exec, -1
	ds_write_b32 v0, v0
	s_trap 2
	s_branch .LBB2_608
.LBB2_615:                              ;   in Loop: Header=BB2_603 Depth=2
	s_or_b64 exec, exec, s[34:35]
	v_and_b32_e32 v0, 12, v62
.LBB2_616:                              ;   in Loop: Header=BB2_603 Depth=2
	s_or_b64 exec, exec, s[30:31]
	v_cmp_eq_u32_e32 vcc, 0, v0
	s_orn2_b64 s[30:31], vcc, exec
	;;#ASMSTART
	s_wakeup
	;;#ASMEND
.LBB2_617:                              ;   in Loop: Header=BB2_603 Depth=2
	s_or_b64 exec, exec, s[28:29]
	v_sub_u32_e32 v0, v39, v24
	s_xor_b64 s[28:29], s[30:31], -1
	v_min_i32_e32 v2, v2, v0
	s_and_saveexec_b64 s[30:31], s[28:29]
	s_cbranch_execz .LBB2_631
; %bb.618:                              ;   in Loop: Header=BB2_603 Depth=2
	v_and_b32_e32 v0, 0x108, v62
	v_cmp_ne_u32_e32 vcc, s84, v0
	v_and_b32_e32 v4, 7, v32
	s_and_saveexec_b64 s[28:29], vcc
	s_xor_b64 s[28:29], exec, s[28:29]
                                        ; implicit-def: $vgpr8_vgpr9
; %bb.619:                              ;   in Loop: Header=BB2_603 Depth=2
	v_mov_b32_e32 v9, v52
; %bb.620:                              ;   in Loop: Header=BB2_603 Depth=2
	s_andn2_saveexec_b64 s[28:29], s[28:29]
	s_cbranch_execz .LBB2_622
; %bb.621:                              ;   in Loop: Header=BB2_603 Depth=2
	v_accvgpr_read_b32 v6, a12
	v_accvgpr_read_b32 v7, a13
	v_ashrrev_i32_e32 v3, 31, v2
	v_mov_b32_e32 v9, v52
	v_mad_u64_u32 v[10:11], vcc, v4, 24, v[6:7]
	v_lshlrev_b64 v[12:13], 1, v[2:3]
	flat_store_dwordx2 v[10:11], v[12:13] offset:8
.LBB2_622:                              ;   in Loop: Header=BB2_603 Depth=2
	s_or_b64 exec, exec, s[28:29]
	v_and_b32_e32 v0, 0x100, v62
	v_cmp_ne_u32_e32 vcc, 0, v0
	s_mov_b64 s[28:29], -1
                                        ; implicit-def: $vgpr10_vgpr11
	s_and_saveexec_b64 s[34:35], vcc
	s_cbranch_execz .LBB2_626
; %bb.623:                              ;   in Loop: Header=BB2_603 Depth=2
	v_accvgpr_read_b32 v6, a12
	v_accvgpr_read_b32 v7, a13
	v_mad_u64_u32 v[12:13], s[28:29], v4, 24, v[6:7]
	v_mov_b32_e32 v0, v13
	v_mad_u64_u32 v[10:11], s[28:29], v9, 24, v[0:1]
	v_mov_b32_e32 v13, v10
	flat_load_dword v0, v[12:13]
                                        ; implicit-def: $vgpr10_vgpr11
	s_waitcnt vmcnt(0) lgkmcnt(0)
	v_cmp_ne_u32_e32 vcc, 1, v0
	v_cmp_eq_u32_e64 s[28:29], 1, v0
	s_and_saveexec_b64 s[36:37], s[28:29]
	s_cbranch_execz .LBB2_625
; %bb.624:                              ;   in Loop: Header=BB2_603 Depth=2
	flat_load_dword v10, v[12:13] offset:4 glc
	s_waitcnt vmcnt(0) lgkmcnt(0)
	v_ashrrev_i32_e32 v11, 31, v10
	v_lshrrev_b64 v[10:11], 1, v[10:11]
.LBB2_625:                              ;   in Loop: Header=BB2_603 Depth=2
	s_or_b64 exec, exec, s[36:37]
	s_orn2_b64 s[28:29], vcc, exec
.LBB2_626:                              ;   in Loop: Header=BB2_603 Depth=2
	s_or_b64 exec, exec, s[34:35]
	s_and_saveexec_b64 vcc, s[28:29]
; %bb.627:                              ;   in Loop: Header=BB2_603 Depth=2
	v_accvgpr_read_b32 v3, a17
	v_mul_lo_u32 v0, v9, v30
	v_mul_lo_u32 v3, v4, v3
	v_mad_u64_u32 v[10:11], s[28:29], v4, v30, 0
	v_add3_u32 v11, v11, v3, v0
; %bb.628:                              ;   in Loop: Header=BB2_603 Depth=2
	s_or_b64 exec, exec, vcc
	v_lshlrev_b64 v[4:5], 1, v[10:11]
	v_add_co_u32_e32 v4, vcc, v36, v4
	v_addc_co_u32_e32 v5, vcc, v37, v5, vcc
	s_trap 2
	ds_write_b64 v0, v[4:5]
	v_and_b32_e32 v0, 0x2000, v62
	v_cmp_ne_u32_e32 vcc, 0, v0
	s_and_saveexec_b64 s[28:29], vcc
	s_cbranch_execz .LBB2_630
; %bb.629:                              ;   in Loop: Header=BB2_603 Depth=2
	ds_read_b64 v[4:5], v0 offset:584
	s_waitcnt lgkmcnt(0)
	v_add_co_u32_e32 v4, vcc, 1, v4
	v_addc_co_u32_e32 v5, vcc, 0, v5, vcc
	ds_write_b64 v0, v[4:5] offset:584
.LBB2_630:                              ;   in Loop: Header=BB2_603 Depth=2
	s_or_b64 exec, exec, s[28:29]
	v_add_co_u32_e32 v32, vcc, 2, v32
	v_addc_co_u32_e32 v33, vcc, 0, v33, vcc
.LBB2_631:                              ;   in Loop: Header=BB2_603 Depth=2
	s_or_b64 exec, exec, s[30:31]
	s_and_saveexec_b64 s[28:29], s[10:11]
	s_cbranch_execz .LBB2_650
; %bb.632:                              ;   in Loop: Header=BB2_603 Depth=2
	s_and_saveexec_b64 vcc, s[48:49]
	s_xor_b64 s[30:31], exec, vcc
	s_cbranch_execz .LBB2_647
; %bb.633:                              ;   in Loop: Header=BB2_603 Depth=2
	s_and_saveexec_b64 s[34:35], s[16:17]
	s_cbranch_execz .LBB2_646
; %bb.634:                              ;   in Loop: Header=BB2_603 Depth=2
	s_mov_b64 s[38:39], exec
	v_mbcnt_lo_u32_b32 v0, s38, 0
	v_mbcnt_hi_u32_b32 v0, s39, v0
	v_cmp_eq_u32_e32 vcc, 0, v0
	s_waitcnt vmcnt(0) lgkmcnt(0)
	buffer_wbinvl1_vol
	s_and_saveexec_b64 s[36:37], vcc
	s_cbranch_execz .LBB2_636
; %bb.635:                              ;   in Loop: Header=BB2_603 Depth=2
	s_bcnt1_i32_b64 vcc_lo, s[38:39]
	v_mov_b32_e32 v4, vcc_lo
	v_mov_b32_e32 v5, v52
	ds_add_u64 v0, v[4:5]
	s_trap 2
.LBB2_636:                              ;   in Loop: Header=BB2_603 Depth=2
	s_or_b64 exec, exec, s[36:37]
	s_trap 2
	ds_read_b64 v[4:5], v0
	v_add_co_u32_e32 v48, vcc, v48, v54
	v_addc_co_u32_e32 v49, vcc, 0, v49, vcc
	s_waitcnt lgkmcnt(0)
	v_cmp_lt_u64_e32 vcc, v[4:5], v[48:49]
	s_and_saveexec_b64 s[36:37], vcc
	s_cbranch_execz .LBB2_645
; %bb.637:                              ;   in Loop: Header=BB2_603 Depth=2
	s_mov_b32 s46, 0
	s_mov_b64 s[38:39], 0
                                        ; implicit-def: $sgpr62_sgpr63
                                        ; implicit-def: $sgpr64_sgpr65
	s_branch .LBB2_639
.LBB2_638:                              ;   in Loop: Header=BB2_639 Depth=3
	s_or_b64 exec, exec, s[68:69]
	s_and_b64 vcc, exec, vcc
	s_or_b64 s[38:39], vcc, s[38:39]
	s_andn2_b64 vcc, s[62:63], exec
	s_and_b64 s[62:63], s[64:65], exec
	s_or_b64 s[62:63], vcc, s[62:63]
	s_andn2_b64 exec, exec, s[38:39]
	s_cbranch_execz .LBB2_643
.LBB2_639:                              ;   Parent Loop BB2_47 Depth=1
                                        ;     Parent Loop BB2_603 Depth=2
                                        ; =>    This Inner Loop Header: Depth=3
	s_add_i32 s46, s46, 1
	s_cmpk_lg_i32 s46, 0x2710
	s_cselect_b64 s[66:67], -1, 0
	s_and_b64 vcc, exec, s[66:67]
                                        ; implicit-def: $sgpr68_sgpr69
	s_cbranch_vccnz .LBB2_641
; %bb.640:                              ;   in Loop: Header=BB2_639 Depth=3
	s_trap 2
	ds_read_b64 v[4:5], v0
	s_andn2_b64 s[66:67], s[66:67], exec
	s_mov_b32 s46, 0
	s_mov_b64 s[68:69], -1
	s_waitcnt lgkmcnt(0)
	flat_load_dword v0, v[4:5] glc
	s_waitcnt vmcnt(0) lgkmcnt(0)
	buffer_invl2
	buffer_wbinvl1_vol
	v_cmp_eq_u32_e32 vcc, 0, v0
	s_and_b64 vcc, vcc, exec
	s_or_b64 s[66:67], s[66:67], vcc
.LBB2_641:                              ;   in Loop: Header=BB2_639 Depth=3
	s_andn2_b64 s[64:65], s[64:65], exec
	s_and_b64 s[68:69], s[68:69], exec
	s_mov_b64 vcc, -1
	s_or_b64 s[64:65], s[64:65], s[68:69]
	s_and_saveexec_b64 s[68:69], s[66:67]
	s_cbranch_execz .LBB2_638
; %bb.642:                              ;   in Loop: Header=BB2_639 Depth=3
	s_sleep 1
	s_trap 2
	ds_read_b64 v[4:5], v0
	s_andn2_b64 s[64:65], s[64:65], exec
	s_waitcnt lgkmcnt(0)
	v_cmp_ge_u64_e32 vcc, v[4:5], v[48:49]
	s_orn2_b64 vcc, vcc, exec
	s_branch .LBB2_638
.LBB2_643:                              ;   in Loop: Header=BB2_603 Depth=2
	s_or_b64 exec, exec, s[38:39]
	s_and_saveexec_b64 vcc, s[62:63]
	s_xor_b64 vcc, exec, vcc
	s_cbranch_execz .LBB2_645
; %bb.644:                              ;   in Loop: Header=BB2_603 Depth=2
	ds_write_b32 v0, v43
	s_trap 2
.LBB2_645:                              ;   in Loop: Header=BB2_603 Depth=2
	s_or_b64 exec, exec, s[36:37]
	;;#ASMSTART
	s_wakeup
	;;#ASMEND
.LBB2_646:                              ;   in Loop: Header=BB2_603 Depth=2
	s_or_b64 exec, exec, s[34:35]
.LBB2_647:                              ;   in Loop: Header=BB2_603 Depth=2
	s_andn2_saveexec_b64 vcc, s[30:31]
	s_cbranch_execz .LBB2_649
; %bb.648:                              ;   in Loop: Header=BB2_603 Depth=2
	s_waitcnt vmcnt(0) lgkmcnt(0)
	buffer_wbinvl1_vol
	s_barrier
.LBB2_649:                              ;   in Loop: Header=BB2_603 Depth=2
	s_or_b64 exec, exec, vcc
.LBB2_650:                              ;   in Loop: Header=BB2_603 Depth=2
	s_or_b64 exec, exec, s[28:29]
	s_trap 2
	ds_read_b32 v4, v0
	v_and_b32_e32 v0, 0x4000, v62
	v_cmp_ne_u32_e32 vcc, 0, v0
	s_xor_b64 s[28:29], s[6:7], -1
	s_and_b64 vcc, s[28:29], vcc
	s_and_saveexec_b64 s[28:29], vcc
	s_cbranch_execz .LBB2_669
; %bb.651:                              ;   in Loop: Header=BB2_603 Depth=2
	s_and_saveexec_b64 vcc, s[48:49]
	s_xor_b64 s[30:31], exec, vcc
	s_cbranch_execz .LBB2_666
; %bb.652:                              ;   in Loop: Header=BB2_603 Depth=2
	s_and_saveexec_b64 s[34:35], s[16:17]
	s_cbranch_execz .LBB2_665
; %bb.653:                              ;   in Loop: Header=BB2_603 Depth=2
	s_mov_b64 s[38:39], exec
	v_mbcnt_lo_u32_b32 v0, s38, 0
	v_mbcnt_hi_u32_b32 v0, s39, v0
	v_cmp_eq_u32_e32 vcc, 0, v0
	s_waitcnt vmcnt(0) lgkmcnt(0)
	buffer_wbinvl1_vol
	s_and_saveexec_b64 s[36:37], vcc
	s_cbranch_execz .LBB2_655
; %bb.654:                              ;   in Loop: Header=BB2_603 Depth=2
	s_bcnt1_i32_b64 vcc_lo, s[38:39]
	v_mov_b32_e32 v8, vcc_lo
	v_mov_b32_e32 v9, v52
	ds_add_u64 v0, v[8:9]
	s_trap 2
.LBB2_655:                              ;   in Loop: Header=BB2_603 Depth=2
	s_or_b64 exec, exec, s[36:37]
	s_trap 2
	ds_read_b64 v[8:9], v0
	v_add_co_u32_e32 v48, vcc, v48, v54
	v_addc_co_u32_e32 v49, vcc, 0, v49, vcc
	s_waitcnt lgkmcnt(0)
	v_cmp_lt_u64_e32 vcc, v[8:9], v[48:49]
	s_and_saveexec_b64 s[36:37], vcc
	s_cbranch_execz .LBB2_664
; %bb.656:                              ;   in Loop: Header=BB2_603 Depth=2
	s_mov_b32 s46, 0
	s_mov_b64 s[38:39], 0
                                        ; implicit-def: $sgpr62_sgpr63
                                        ; implicit-def: $sgpr64_sgpr65
	s_branch .LBB2_658
.LBB2_657:                              ;   in Loop: Header=BB2_658 Depth=3
	s_or_b64 exec, exec, s[68:69]
	s_and_b64 vcc, exec, vcc
	s_or_b64 s[38:39], vcc, s[38:39]
	s_andn2_b64 vcc, s[62:63], exec
	s_and_b64 s[62:63], s[64:65], exec
	s_or_b64 s[62:63], vcc, s[62:63]
	s_andn2_b64 exec, exec, s[38:39]
	s_cbranch_execz .LBB2_662
.LBB2_658:                              ;   Parent Loop BB2_47 Depth=1
                                        ;     Parent Loop BB2_603 Depth=2
                                        ; =>    This Inner Loop Header: Depth=3
	s_add_i32 s46, s46, 1
	s_cmpk_lg_i32 s46, 0x2710
	s_cselect_b64 s[66:67], -1, 0
	s_and_b64 vcc, exec, s[66:67]
                                        ; implicit-def: $sgpr68_sgpr69
	s_cbranch_vccnz .LBB2_660
; %bb.659:                              ;   in Loop: Header=BB2_658 Depth=3
	s_trap 2
	ds_read_b64 v[8:9], v0
	s_andn2_b64 s[66:67], s[66:67], exec
	s_mov_b32 s46, 0
	s_mov_b64 s[68:69], -1
	s_waitcnt lgkmcnt(0)
	flat_load_dword v0, v[8:9] glc
	s_waitcnt vmcnt(0) lgkmcnt(0)
	buffer_invl2
	buffer_wbinvl1_vol
	v_cmp_eq_u32_e32 vcc, 0, v0
	s_and_b64 vcc, vcc, exec
	s_or_b64 s[66:67], s[66:67], vcc
.LBB2_660:                              ;   in Loop: Header=BB2_658 Depth=3
	s_andn2_b64 s[64:65], s[64:65], exec
	s_and_b64 s[68:69], s[68:69], exec
	s_mov_b64 vcc, -1
	s_or_b64 s[64:65], s[64:65], s[68:69]
	s_and_saveexec_b64 s[68:69], s[66:67]
	s_cbranch_execz .LBB2_657
; %bb.661:                              ;   in Loop: Header=BB2_658 Depth=3
	s_sleep 1
	s_trap 2
	ds_read_b64 v[8:9], v0
	s_andn2_b64 s[64:65], s[64:65], exec
	s_waitcnt lgkmcnt(0)
	v_cmp_ge_u64_e32 vcc, v[8:9], v[48:49]
	s_orn2_b64 vcc, vcc, exec
	s_branch .LBB2_657
.LBB2_662:                              ;   in Loop: Header=BB2_603 Depth=2
	s_or_b64 exec, exec, s[38:39]
	s_and_saveexec_b64 vcc, s[62:63]
	s_xor_b64 vcc, exec, vcc
	s_cbranch_execz .LBB2_664
; %bb.663:                              ;   in Loop: Header=BB2_603 Depth=2
	ds_write_b32 v0, v43
	s_trap 2
.LBB2_664:                              ;   in Loop: Header=BB2_603 Depth=2
	s_or_b64 exec, exec, s[36:37]
	;;#ASMSTART
	s_wakeup
	;;#ASMEND
.LBB2_665:                              ;   in Loop: Header=BB2_603 Depth=2
	s_or_b64 exec, exec, s[34:35]
.LBB2_666:                              ;   in Loop: Header=BB2_603 Depth=2
	s_andn2_saveexec_b64 vcc, s[30:31]
	s_cbranch_execz .LBB2_668
; %bb.667:                              ;   in Loop: Header=BB2_603 Depth=2
	s_waitcnt vmcnt(0) lgkmcnt(0)
	buffer_wbinvl1_vol
	s_barrier
.LBB2_668:                              ;   in Loop: Header=BB2_603 Depth=2
	s_or_b64 exec, exec, vcc
.LBB2_669:                              ;   in Loop: Header=BB2_603 Depth=2
	s_or_b64 exec, exec, s[28:29]
	s_trap 2
	ds_read_b64 v[8:9], v0
	v_mov_b32_e32 v3, 0
	s_waitcnt lgkmcnt(0)
	v_readfirstlane_b32 s28, v8
	v_readfirstlane_b32 s29, v9
	s_cmp_eq_u64 s[28:29], 0
	s_cselect_b64 s[28:29], -1, 0
	s_or_b64 s[28:29], s[28:29], s[28:29]
	s_and_b64 vcc, exec, s[28:29]
	s_cbranch_vccnz .LBB2_678
; %bb.670:                              ;   in Loop: Header=BB2_603 Depth=2
	s_trap 2
	ds_read_b64 v[8:9], v0
	v_cmp_eq_u32_e32 vcc, 0, v4
	v_cndmask_b32_e32 v3, 0, v2, vcc
	v_lshlrev_b32_e32 v25, 1, v3
	s_waitcnt lgkmcnt(0)
	v_cmp_ne_u64_e32 vcc, 0, v[8:9]
	v_readfirstlane_b32 s89, v8
	s_cbranch_vccz .LBB2_690
; %bb.671:                              ;   in Loop: Header=BB2_603 Depth=2
	s_mov_b64 s[30:31], -1
	s_and_saveexec_b64 s[28:29], s[22:23]
	s_cbranch_execz .LBB2_673
; %bb.672:                              ;   in Loop: Header=BB2_603 Depth=2
	ds_read_b32 v0, v0 offset:720
	s_waitcnt lgkmcnt(0)
	v_and_b32_e32 v0, 15, v0
	v_cmp_eq_u32_e32 vcc, 0, v0
	s_orn2_b64 s[30:31], vcc, exec
.LBB2_673:                              ;   in Loop: Header=BB2_603 Depth=2
	s_or_b64 exec, exec, s[28:29]
	s_and_saveexec_b64 s[28:29], s[22:23]
	s_cbranch_execz .LBB2_675
; %bb.674:                              ;   in Loop: Header=BB2_603 Depth=2
	ds_read_b32 v0, v0 offset:784
	s_waitcnt lgkmcnt(0)
	v_and_b32_e32 v0, 15, v0
	v_cmp_eq_u32_e32 vcc, 0, v0
	s_and_b64 vcc, s[30:31], vcc
	s_andn2_b64 s[30:31], s[30:31], exec
	s_and_b64 vcc, vcc, exec
	s_or_b64 s[30:31], s[30:31], vcc
.LBB2_675:                              ;   in Loop: Header=BB2_603 Depth=2
	s_or_b64 exec, exec, s[28:29]
	s_xor_b64 vcc, s[30:31], -1
	v_cndmask_b32_e64 v0, 0, 1, vcc
	s_mov_b64 s[28:29], -1
	;;#ASMSTART
	;;#ASMEND
	v_cmp_ne_u32_e32 vcc, 0, v0
	v_mov_b32_e32 v14, 0
	v_mov_b32_e32 v15, v25
	;; [unrolled: 1-line block ×4, first 2 shown]
	s_cbranch_vccz .LBB2_691
; %bb.676:                              ;   in Loop: Header=BB2_603 Depth=2
	s_and_saveexec_b64 s[38:39], s[28:29]
	s_cbranch_execnz .LBB2_836
.LBB2_677:                              ;   in Loop: Header=BB2_603 Depth=2
	s_or_b64 exec, exec, s[38:39]
.LBB2_678:                              ;   in Loop: Header=BB2_603 Depth=2
	s_and_saveexec_b64 s[28:29], s[10:11]
	s_cbranch_execz .LBB2_765
.LBB2_679:                              ;   in Loop: Header=BB2_603 Depth=2
	s_and_saveexec_b64 vcc, s[48:49]
	s_xor_b64 s[30:31], exec, vcc
	s_cbranch_execz .LBB2_762
; %bb.680:                              ;   in Loop: Header=BB2_603 Depth=2
	s_and_saveexec_b64 s[34:35], s[16:17]
	s_cbranch_execz .LBB2_761
; %bb.681:                              ;   in Loop: Header=BB2_603 Depth=2
	s_mov_b64 s[38:39], exec
	v_mbcnt_lo_u32_b32 v0, s38, 0
	v_mbcnt_hi_u32_b32 v0, s39, v0
	v_cmp_eq_u32_e32 vcc, 0, v0
	s_waitcnt vmcnt(0) lgkmcnt(0)
	buffer_wbinvl1_vol
	s_and_saveexec_b64 s[36:37], vcc
	s_cbranch_execz .LBB2_683
; %bb.682:                              ;   in Loop: Header=BB2_603 Depth=2
	s_bcnt1_i32_b64 vcc_lo, s[38:39]
	v_mov_b32_e32 v4, vcc_lo
	v_mov_b32_e32 v5, v52
	ds_add_u64 v0, v[4:5]
	s_trap 2
.LBB2_683:                              ;   in Loop: Header=BB2_603 Depth=2
	s_or_b64 exec, exec, s[36:37]
	s_trap 2
	ds_read_b64 v[4:5], v0
	v_add_co_u32_e32 v48, vcc, v48, v54
	v_addc_co_u32_e32 v49, vcc, 0, v49, vcc
	s_waitcnt lgkmcnt(0)
	v_cmp_lt_u64_e32 vcc, v[4:5], v[48:49]
	s_and_saveexec_b64 s[36:37], vcc
	s_cbranch_execz .LBB2_760
; %bb.684:                              ;   in Loop: Header=BB2_603 Depth=2
	s_mov_b32 s46, 0
	s_mov_b64 s[38:39], 0
                                        ; implicit-def: $sgpr62_sgpr63
                                        ; implicit-def: $sgpr64_sgpr65
	s_branch .LBB2_686
.LBB2_685:                              ;   in Loop: Header=BB2_686 Depth=3
	s_or_b64 exec, exec, s[68:69]
	s_and_b64 vcc, exec, vcc
	s_or_b64 s[38:39], vcc, s[38:39]
	s_andn2_b64 vcc, s[62:63], exec
	s_and_b64 s[62:63], s[64:65], exec
	s_or_b64 s[62:63], vcc, s[62:63]
	s_andn2_b64 exec, exec, s[38:39]
	s_cbranch_execz .LBB2_758
.LBB2_686:                              ;   Parent Loop BB2_47 Depth=1
                                        ;     Parent Loop BB2_603 Depth=2
                                        ; =>    This Inner Loop Header: Depth=3
	s_add_i32 s46, s46, 1
	s_cmpk_lg_i32 s46, 0x2710
	s_cselect_b64 s[66:67], -1, 0
	s_and_b64 vcc, exec, s[66:67]
                                        ; implicit-def: $sgpr68_sgpr69
	s_cbranch_vccnz .LBB2_688
; %bb.687:                              ;   in Loop: Header=BB2_686 Depth=3
	s_trap 2
	ds_read_b64 v[4:5], v0
	s_andn2_b64 s[66:67], s[66:67], exec
	s_mov_b32 s46, 0
	s_mov_b64 s[68:69], -1
	s_waitcnt lgkmcnt(0)
	flat_load_dword v0, v[4:5] glc
	s_waitcnt vmcnt(0) lgkmcnt(0)
	buffer_invl2
	buffer_wbinvl1_vol
	v_cmp_eq_u32_e32 vcc, 0, v0
	s_and_b64 vcc, vcc, exec
	s_or_b64 s[66:67], s[66:67], vcc
.LBB2_688:                              ;   in Loop: Header=BB2_686 Depth=3
	s_andn2_b64 s[64:65], s[64:65], exec
	s_and_b64 s[68:69], s[68:69], exec
	s_mov_b64 vcc, -1
	s_or_b64 s[64:65], s[64:65], s[68:69]
	s_and_saveexec_b64 s[68:69], s[66:67]
	s_cbranch_execz .LBB2_685
; %bb.689:                              ;   in Loop: Header=BB2_686 Depth=3
	s_sleep 1
	s_trap 2
	ds_read_b64 v[4:5], v0
	s_andn2_b64 s[64:65], s[64:65], exec
	s_waitcnt lgkmcnt(0)
	v_cmp_ge_u64_e32 vcc, v[4:5], v[48:49]
	s_orn2_b64 vcc, vcc, exec
	s_branch .LBB2_685
.LBB2_690:                              ;   in Loop: Header=BB2_603 Depth=2
	s_cbranch_execnz .LBB2_859
	s_branch .LBB2_678
.LBB2_691:                              ;   in Loop: Header=BB2_603 Depth=2
	v_ashrrev_i32_e32 v0, 31, v25
	v_lshrrev_b32_e32 v0, 21, v0
	v_add_u32_e32 v0, v25, v0
	v_ashrrev_i32_e32 v6, 11, v0
	v_sub_u32_e32 v53, v6, v57
	v_cmp_lt_i32_e32 vcc, 0, v53
	s_and_saveexec_b64 s[30:31], vcc
	s_cbranch_execz .LBB2_793
; %bb.692:                              ;   in Loop: Header=BB2_603 Depth=2
	s_trap 2
	ds_read_b128 v[8:11], v0
	v_accvgpr_read_b32 v0, a26
	v_accvgpr_read_b32 v7, a27
	s_and_b32 s46, s89, 1
	s_cmp_eq_u64 s[46:47], 0
	s_waitcnt lgkmcnt(0)
	v_add_co_u32_e32 v4, vcc, v8, v0
	v_addc_co_u32_e32 v5, vcc, v9, v7, vcc
	v_add_co_u32_e32 v40, vcc, v10, v0
	v_addc_co_u32_e32 v41, vcc, v11, v7, vcc
	s_mov_b64 s[34:35], 0
	s_cselect_b64 vcc, -1, 0
	v_pk_mov_b32 v[56:57], v[4:5], v[4:5] op_sel:[0,1]
	v_pk_mov_b32 v[58:59], v[40:41], v[40:41] op_sel:[0,1]
	s_branch .LBB2_694
.LBB2_693:                              ;   in Loop: Header=BB2_694 Depth=3
	s_or_b64 exec, exec, s[36:37]
	v_lshrrev_b32_e32 v0, 16, v20
	v_and_or_b32 v17, v17, s87, v0
	v_lshrrev_b32_e32 v0, 16, v42
	v_and_or_b32 v16, v16, s87, v0
	;; [unrolled: 2-line block ×4, first 2 shown]
	v_lshrrev_b32_e32 v0, 16, v12
	v_add_co_u32_e64 v4, s[28:29], v4, v29
	v_and_or_b32 v9, v9, s87, v0
	v_lshrrev_b32_e32 v0, 16, v23
	v_addc_co_u32_e64 v5, s[28:29], v5, v46, s[28:29]
	v_and_or_b32 v8, v8, s87, v0
	v_lshrrev_b32_e32 v0, 16, v13
	v_add_co_u32_e64 v40, s[28:29], v40, v29
	v_and_or_b32 v10, v10, s87, v0
	v_lshrrev_b32_e32 v0, 16, v14
	v_addc_co_u32_e64 v41, s[28:29], v41, v46, s[28:29]
	v_and_or_b32 v11, v11, s87, v0
	global_store_dwordx4 v[56:57], v[16:19], off glc slc
	global_store_dwordx4 v[56:57], v[8:11], off offset:1024 glc slc
	global_store_dwordx4 v[58:59], v[16:19], off glc slc
	global_store_dwordx4 v[58:59], v[8:11], off offset:1024 glc slc
	v_add_co_u32_e64 v56, s[28:29], v56, v29
	v_addc_co_u32_e64 v57, s[28:29], v57, v46, s[28:29]
	v_sub_u32_e32 v53, v53, v54
	v_cmp_gt_i32_e64 s[28:29], 1, v53
	s_or_b64 s[34:35], s[28:29], s[34:35]
	v_add_co_u32_e64 v58, s[28:29], v58, v29
	v_addc_co_u32_e64 v59, s[28:29], v59, v46, s[28:29]
	s_andn2_b64 exec, exec, s[34:35]
	s_cbranch_execz .LBB2_792
.LBB2_694:                              ;   Parent Loop BB2_47 Depth=1
                                        ;     Parent Loop BB2_603 Depth=2
                                        ; =>    This Inner Loop Header: Depth=3
	global_load_dwordx4 v[16:19], v[4:5], off glc slc
	global_load_dwordx4 v[20:23], v[40:41], off glc slc
	global_load_dwordx4 v[8:11], v[4:5], off offset:1024 glc slc
	global_load_dwordx4 v[12:15], v[40:41], off offset:1024 glc slc
	s_waitcnt vmcnt(0)
	v_lshlrev_b32_e32 v0, 16, v16
	v_lshlrev_b32_e32 v39, 16, v20
	v_max_f32_e32 v39, v39, v39
	v_max_f32_e32 v0, v0, v0
	v_min_f32_e32 v42, v0, v39
	v_max_f32_e32 v0, v0, v39
	v_cndmask_b32_e32 v39, v0, v42, vcc
	v_and_b32_e32 v0, 0x7f800000, v39
	v_cmp_ne_u32_e64 s[28:29], s85, v0
                                        ; implicit-def: $vgpr42
	s_and_saveexec_b64 s[36:37], s[28:29]
	s_xor_b64 s[28:29], exec, s[36:37]
; %bb.695:                              ;   in Loop: Header=BB2_694 Depth=3
	v_bfe_u32 v0, v39, 16, 1
	v_add3_u32 v42, v39, v0, s86
                                        ; implicit-def: $vgpr39
; %bb.696:                              ;   in Loop: Header=BB2_694 Depth=3
	s_andn2_saveexec_b64 s[36:37], s[28:29]
; %bb.697:                              ;   in Loop: Header=BB2_694 Depth=3
	v_or_b32_e32 v0, 0x10000, v39
	v_cmp_eq_u32_sdwa s[28:29], v39, v52 src0_sel:WORD_0 src1_sel:DWORD
	v_cndmask_b32_e64 v42, v0, v39, s[28:29]
; %bb.698:                              ;   in Loop: Header=BB2_694 Depth=3
	s_or_b64 exec, exec, s[36:37]
	v_and_b32_e32 v0, 0xffff0000, v16
	v_and_b32_e32 v16, 0xffff0000, v20
	v_max_f32_e32 v16, v16, v16
	v_max_f32_e32 v0, v0, v0
	v_min_f32_e32 v20, v0, v16
	v_max_f32_e32 v0, v0, v16
	v_cndmask_b32_e32 v20, v0, v20, vcc
	v_and_b32_e32 v0, 0x7f800000, v20
	v_cmp_ne_u32_e64 s[28:29], s85, v0
                                        ; implicit-def: $vgpr16
	s_and_saveexec_b64 s[36:37], s[28:29]
	s_xor_b64 s[28:29], exec, s[36:37]
; %bb.699:                              ;   in Loop: Header=BB2_694 Depth=3
	v_bfe_u32 v0, v20, 16, 1
	v_add3_u32 v16, v20, v0, s86
                                        ; implicit-def: $vgpr20
; %bb.700:                              ;   in Loop: Header=BB2_694 Depth=3
	s_andn2_saveexec_b64 s[36:37], s[28:29]
; %bb.701:                              ;   in Loop: Header=BB2_694 Depth=3
	v_or_b32_e32 v0, 0x10000, v20
	v_cmp_eq_u32_sdwa s[28:29], v20, v52 src0_sel:WORD_0 src1_sel:DWORD
	v_cndmask_b32_e64 v16, v0, v20, s[28:29]
; %bb.702:                              ;   in Loop: Header=BB2_694 Depth=3
	s_or_b64 exec, exec, s[36:37]
	v_lshlrev_b32_e32 v0, 16, v17
	v_lshlrev_b32_e32 v20, 16, v21
	v_max_f32_e32 v20, v20, v20
	v_max_f32_e32 v0, v0, v0
	v_min_f32_e32 v39, v0, v20
	v_max_f32_e32 v0, v0, v20
	v_cndmask_b32_e32 v39, v0, v39, vcc
	v_and_b32_e32 v0, 0x7f800000, v39
	v_cmp_ne_u32_e64 s[28:29], s85, v0
                                        ; implicit-def: $vgpr20
	s_and_saveexec_b64 s[36:37], s[28:29]
	s_xor_b64 s[28:29], exec, s[36:37]
; %bb.703:                              ;   in Loop: Header=BB2_694 Depth=3
	v_bfe_u32 v0, v39, 16, 1
	v_add3_u32 v20, v39, v0, s86
                                        ; implicit-def: $vgpr39
; %bb.704:                              ;   in Loop: Header=BB2_694 Depth=3
	s_andn2_saveexec_b64 s[36:37], s[28:29]
; %bb.705:                              ;   in Loop: Header=BB2_694 Depth=3
	v_or_b32_e32 v0, 0x10000, v39
	v_cmp_eq_u32_sdwa s[28:29], v39, v52 src0_sel:WORD_0 src1_sel:DWORD
	v_cndmask_b32_e64 v20, v0, v39, s[28:29]
; %bb.706:                              ;   in Loop: Header=BB2_694 Depth=3
	s_or_b64 exec, exec, s[36:37]
	v_and_b32_e32 v0, 0xffff0000, v17
	v_and_b32_e32 v17, 0xffff0000, v21
	v_max_f32_e32 v17, v17, v17
	v_max_f32_e32 v0, v0, v0
	v_min_f32_e32 v21, v0, v17
	v_max_f32_e32 v0, v0, v17
	v_cndmask_b32_e32 v21, v0, v21, vcc
	v_and_b32_e32 v0, 0x7f800000, v21
	v_cmp_ne_u32_e64 s[28:29], s85, v0
                                        ; implicit-def: $vgpr17
	s_and_saveexec_b64 s[36:37], s[28:29]
	s_xor_b64 s[28:29], exec, s[36:37]
; %bb.707:                              ;   in Loop: Header=BB2_694 Depth=3
	v_bfe_u32 v0, v21, 16, 1
	v_add3_u32 v17, v21, v0, s86
                                        ; implicit-def: $vgpr21
; %bb.708:                              ;   in Loop: Header=BB2_694 Depth=3
	s_andn2_saveexec_b64 s[36:37], s[28:29]
; %bb.709:                              ;   in Loop: Header=BB2_694 Depth=3
	v_or_b32_e32 v0, 0x10000, v21
	v_cmp_eq_u32_sdwa s[28:29], v21, v52 src0_sel:WORD_0 src1_sel:DWORD
	v_cndmask_b32_e64 v17, v0, v21, s[28:29]
; %bb.710:                              ;   in Loop: Header=BB2_694 Depth=3
	s_or_b64 exec, exec, s[36:37]
	v_lshlrev_b32_e32 v0, 16, v18
	v_lshlrev_b32_e32 v21, 16, v22
	v_max_f32_e32 v21, v21, v21
	v_max_f32_e32 v0, v0, v0
	v_min_f32_e32 v39, v0, v21
	v_max_f32_e32 v0, v0, v21
	v_cndmask_b32_e32 v39, v0, v39, vcc
	v_and_b32_e32 v0, 0x7f800000, v39
	v_cmp_ne_u32_e64 s[28:29], s85, v0
                                        ; implicit-def: $vgpr21
	s_and_saveexec_b64 s[36:37], s[28:29]
	s_xor_b64 s[28:29], exec, s[36:37]
; %bb.711:                              ;   in Loop: Header=BB2_694 Depth=3
	v_bfe_u32 v0, v39, 16, 1
	v_add3_u32 v21, v39, v0, s86
                                        ; implicit-def: $vgpr39
; %bb.712:                              ;   in Loop: Header=BB2_694 Depth=3
	s_andn2_saveexec_b64 s[36:37], s[28:29]
; %bb.713:                              ;   in Loop: Header=BB2_694 Depth=3
	v_or_b32_e32 v0, 0x10000, v39
	v_cmp_eq_u32_sdwa s[28:29], v39, v52 src0_sel:WORD_0 src1_sel:DWORD
	v_cndmask_b32_e64 v21, v0, v39, s[28:29]
; %bb.714:                              ;   in Loop: Header=BB2_694 Depth=3
	s_or_b64 exec, exec, s[36:37]
	v_and_b32_e32 v0, 0xffff0000, v18
	v_and_b32_e32 v18, 0xffff0000, v22
	v_max_f32_e32 v18, v18, v18
	v_max_f32_e32 v0, v0, v0
	v_min_f32_e32 v22, v0, v18
	v_max_f32_e32 v0, v0, v18
	v_cndmask_b32_e32 v22, v0, v22, vcc
	v_and_b32_e32 v0, 0x7f800000, v22
	v_cmp_ne_u32_e64 s[28:29], s85, v0
                                        ; implicit-def: $vgpr18
	s_and_saveexec_b64 s[36:37], s[28:29]
	s_xor_b64 s[28:29], exec, s[36:37]
; %bb.715:                              ;   in Loop: Header=BB2_694 Depth=3
	v_bfe_u32 v0, v22, 16, 1
	v_add3_u32 v18, v22, v0, s86
                                        ; implicit-def: $vgpr22
; %bb.716:                              ;   in Loop: Header=BB2_694 Depth=3
	s_andn2_saveexec_b64 s[36:37], s[28:29]
; %bb.717:                              ;   in Loop: Header=BB2_694 Depth=3
	v_or_b32_e32 v0, 0x10000, v22
	v_cmp_eq_u32_sdwa s[28:29], v22, v52 src0_sel:WORD_0 src1_sel:DWORD
	v_cndmask_b32_e64 v18, v0, v22, s[28:29]
; %bb.718:                              ;   in Loop: Header=BB2_694 Depth=3
	s_or_b64 exec, exec, s[36:37]
	v_lshlrev_b32_e32 v0, 16, v19
	v_lshlrev_b32_e32 v22, 16, v23
	v_max_f32_e32 v22, v22, v22
	v_max_f32_e32 v0, v0, v0
	v_min_f32_e32 v39, v0, v22
	v_max_f32_e32 v0, v0, v22
	v_cndmask_b32_e32 v39, v0, v39, vcc
	v_and_b32_e32 v0, 0x7f800000, v39
	v_cmp_ne_u32_e64 s[28:29], s85, v0
                                        ; implicit-def: $vgpr22
	s_and_saveexec_b64 s[36:37], s[28:29]
	s_xor_b64 s[28:29], exec, s[36:37]
; %bb.719:                              ;   in Loop: Header=BB2_694 Depth=3
	v_bfe_u32 v0, v39, 16, 1
	v_add3_u32 v22, v39, v0, s86
                                        ; implicit-def: $vgpr39
; %bb.720:                              ;   in Loop: Header=BB2_694 Depth=3
	s_andn2_saveexec_b64 s[36:37], s[28:29]
; %bb.721:                              ;   in Loop: Header=BB2_694 Depth=3
	v_or_b32_e32 v0, 0x10000, v39
	v_cmp_eq_u32_sdwa s[28:29], v39, v52 src0_sel:WORD_0 src1_sel:DWORD
	v_cndmask_b32_e64 v22, v0, v39, s[28:29]
; %bb.722:                              ;   in Loop: Header=BB2_694 Depth=3
	s_or_b64 exec, exec, s[36:37]
	v_and_b32_e32 v0, 0xffff0000, v19
	v_and_b32_e32 v19, 0xffff0000, v23
	v_max_f32_e32 v19, v19, v19
	v_max_f32_e32 v0, v0, v0
	v_min_f32_e32 v23, v0, v19
	v_max_f32_e32 v0, v0, v19
	v_cndmask_b32_e32 v23, v0, v23, vcc
	v_and_b32_e32 v0, 0x7f800000, v23
	v_cmp_ne_u32_e64 s[28:29], s85, v0
                                        ; implicit-def: $vgpr19
	s_and_saveexec_b64 s[36:37], s[28:29]
	s_xor_b64 s[28:29], exec, s[36:37]
; %bb.723:                              ;   in Loop: Header=BB2_694 Depth=3
	v_bfe_u32 v0, v23, 16, 1
	v_add3_u32 v19, v23, v0, s86
                                        ; implicit-def: $vgpr23
; %bb.724:                              ;   in Loop: Header=BB2_694 Depth=3
	s_andn2_saveexec_b64 s[36:37], s[28:29]
; %bb.725:                              ;   in Loop: Header=BB2_694 Depth=3
	v_or_b32_e32 v0, 0x10000, v23
	v_cmp_eq_u32_sdwa s[28:29], v23, v52 src0_sel:WORD_0 src1_sel:DWORD
	v_cndmask_b32_e64 v19, v0, v23, s[28:29]
; %bb.726:                              ;   in Loop: Header=BB2_694 Depth=3
	s_or_b64 exec, exec, s[36:37]
	v_lshlrev_b32_e32 v0, 16, v8
	v_lshlrev_b32_e32 v23, 16, v12
	v_max_f32_e32 v23, v23, v23
	v_max_f32_e32 v0, v0, v0
	v_min_f32_e32 v39, v0, v23
	v_max_f32_e32 v0, v0, v23
	v_cndmask_b32_e32 v39, v0, v39, vcc
	v_and_b32_e32 v0, 0x7f800000, v39
	v_cmp_ne_u32_e64 s[28:29], s85, v0
                                        ; implicit-def: $vgpr23
	s_and_saveexec_b64 s[36:37], s[28:29]
	s_xor_b64 s[28:29], exec, s[36:37]
; %bb.727:                              ;   in Loop: Header=BB2_694 Depth=3
	v_bfe_u32 v0, v39, 16, 1
	v_add3_u32 v23, v39, v0, s86
                                        ; implicit-def: $vgpr39
; %bb.728:                              ;   in Loop: Header=BB2_694 Depth=3
	s_andn2_saveexec_b64 s[36:37], s[28:29]
; %bb.729:                              ;   in Loop: Header=BB2_694 Depth=3
	v_or_b32_e32 v0, 0x10000, v39
	v_cmp_eq_u32_sdwa s[28:29], v39, v52 src0_sel:WORD_0 src1_sel:DWORD
	v_cndmask_b32_e64 v23, v0, v39, s[28:29]
; %bb.730:                              ;   in Loop: Header=BB2_694 Depth=3
	s_or_b64 exec, exec, s[36:37]
	v_and_b32_e32 v0, 0xffff0000, v8
	v_and_b32_e32 v8, 0xffff0000, v12
	v_max_f32_e32 v8, v8, v8
	v_max_f32_e32 v0, v0, v0
	v_min_f32_e32 v12, v0, v8
	v_max_f32_e32 v0, v0, v8
	v_cndmask_b32_e32 v12, v0, v12, vcc
	v_and_b32_e32 v0, 0x7f800000, v12
	v_cmp_ne_u32_e64 s[28:29], s85, v0
                                        ; implicit-def: $vgpr8
	s_and_saveexec_b64 s[36:37], s[28:29]
	s_xor_b64 s[28:29], exec, s[36:37]
; %bb.731:                              ;   in Loop: Header=BB2_694 Depth=3
	v_bfe_u32 v0, v12, 16, 1
	v_add3_u32 v8, v12, v0, s86
                                        ; implicit-def: $vgpr12
; %bb.732:                              ;   in Loop: Header=BB2_694 Depth=3
	s_andn2_saveexec_b64 s[36:37], s[28:29]
; %bb.733:                              ;   in Loop: Header=BB2_694 Depth=3
	v_or_b32_e32 v0, 0x10000, v12
	v_cmp_eq_u32_sdwa s[28:29], v12, v52 src0_sel:WORD_0 src1_sel:DWORD
	v_cndmask_b32_e64 v8, v0, v12, s[28:29]
; %bb.734:                              ;   in Loop: Header=BB2_694 Depth=3
	s_or_b64 exec, exec, s[36:37]
	v_lshlrev_b32_e32 v0, 16, v9
	v_lshlrev_b32_e32 v12, 16, v13
	v_max_f32_e32 v12, v12, v12
	v_max_f32_e32 v0, v0, v0
	v_min_f32_e32 v39, v0, v12
	v_max_f32_e32 v0, v0, v12
	v_cndmask_b32_e32 v39, v0, v39, vcc
	v_and_b32_e32 v0, 0x7f800000, v39
	v_cmp_ne_u32_e64 s[28:29], s85, v0
                                        ; implicit-def: $vgpr12
	s_and_saveexec_b64 s[36:37], s[28:29]
	s_xor_b64 s[28:29], exec, s[36:37]
; %bb.735:                              ;   in Loop: Header=BB2_694 Depth=3
	v_bfe_u32 v0, v39, 16, 1
	v_add3_u32 v12, v39, v0, s86
                                        ; implicit-def: $vgpr39
; %bb.736:                              ;   in Loop: Header=BB2_694 Depth=3
	s_andn2_saveexec_b64 s[36:37], s[28:29]
; %bb.737:                              ;   in Loop: Header=BB2_694 Depth=3
	v_or_b32_e32 v0, 0x10000, v39
	v_cmp_eq_u32_sdwa s[28:29], v39, v52 src0_sel:WORD_0 src1_sel:DWORD
	v_cndmask_b32_e64 v12, v0, v39, s[28:29]
; %bb.738:                              ;   in Loop: Header=BB2_694 Depth=3
	s_or_b64 exec, exec, s[36:37]
	v_and_b32_e32 v0, 0xffff0000, v9
	v_and_b32_e32 v9, 0xffff0000, v13
	v_max_f32_e32 v9, v9, v9
	v_max_f32_e32 v0, v0, v0
	v_min_f32_e32 v13, v0, v9
	v_max_f32_e32 v0, v0, v9
	v_cndmask_b32_e32 v13, v0, v13, vcc
	v_and_b32_e32 v0, 0x7f800000, v13
	v_cmp_ne_u32_e64 s[28:29], s85, v0
                                        ; implicit-def: $vgpr9
	s_and_saveexec_b64 s[36:37], s[28:29]
	s_xor_b64 s[28:29], exec, s[36:37]
; %bb.739:                              ;   in Loop: Header=BB2_694 Depth=3
	v_bfe_u32 v0, v13, 16, 1
	v_add3_u32 v9, v13, v0, s86
                                        ; implicit-def: $vgpr13
; %bb.740:                              ;   in Loop: Header=BB2_694 Depth=3
	s_andn2_saveexec_b64 s[36:37], s[28:29]
; %bb.741:                              ;   in Loop: Header=BB2_694 Depth=3
	v_or_b32_e32 v0, 0x10000, v13
	v_cmp_eq_u32_sdwa s[28:29], v13, v52 src0_sel:WORD_0 src1_sel:DWORD
	v_cndmask_b32_e64 v9, v0, v13, s[28:29]
; %bb.742:                              ;   in Loop: Header=BB2_694 Depth=3
	s_or_b64 exec, exec, s[36:37]
	v_lshlrev_b32_e32 v0, 16, v10
	v_lshlrev_b32_e32 v13, 16, v14
	v_max_f32_e32 v13, v13, v13
	v_max_f32_e32 v0, v0, v0
	v_min_f32_e32 v39, v0, v13
	v_max_f32_e32 v0, v0, v13
	v_cndmask_b32_e32 v39, v0, v39, vcc
	v_and_b32_e32 v0, 0x7f800000, v39
	v_cmp_ne_u32_e64 s[28:29], s85, v0
                                        ; implicit-def: $vgpr13
	s_and_saveexec_b64 s[36:37], s[28:29]
	s_xor_b64 s[28:29], exec, s[36:37]
; %bb.743:                              ;   in Loop: Header=BB2_694 Depth=3
	v_bfe_u32 v0, v39, 16, 1
	v_add3_u32 v13, v39, v0, s86
                                        ; implicit-def: $vgpr39
; %bb.744:                              ;   in Loop: Header=BB2_694 Depth=3
	s_andn2_saveexec_b64 s[36:37], s[28:29]
; %bb.745:                              ;   in Loop: Header=BB2_694 Depth=3
	v_or_b32_e32 v0, 0x10000, v39
	v_cmp_eq_u32_sdwa s[28:29], v39, v52 src0_sel:WORD_0 src1_sel:DWORD
	v_cndmask_b32_e64 v13, v0, v39, s[28:29]
; %bb.746:                              ;   in Loop: Header=BB2_694 Depth=3
	s_or_b64 exec, exec, s[36:37]
	v_and_b32_e32 v0, 0xffff0000, v10
	v_and_b32_e32 v10, 0xffff0000, v14
	v_max_f32_e32 v10, v10, v10
	v_max_f32_e32 v0, v0, v0
	v_min_f32_e32 v14, v0, v10
	v_max_f32_e32 v0, v0, v10
	v_cndmask_b32_e32 v14, v0, v14, vcc
	v_and_b32_e32 v0, 0x7f800000, v14
	v_cmp_ne_u32_e64 s[28:29], s85, v0
                                        ; implicit-def: $vgpr10
	s_and_saveexec_b64 s[36:37], s[28:29]
	s_xor_b64 s[28:29], exec, s[36:37]
; %bb.747:                              ;   in Loop: Header=BB2_694 Depth=3
	v_bfe_u32 v0, v14, 16, 1
	v_add3_u32 v10, v14, v0, s86
                                        ; implicit-def: $vgpr14
; %bb.748:                              ;   in Loop: Header=BB2_694 Depth=3
	s_andn2_saveexec_b64 s[36:37], s[28:29]
; %bb.749:                              ;   in Loop: Header=BB2_694 Depth=3
	v_or_b32_e32 v0, 0x10000, v14
	v_cmp_eq_u32_sdwa s[28:29], v14, v52 src0_sel:WORD_0 src1_sel:DWORD
	v_cndmask_b32_e64 v10, v0, v14, s[28:29]
; %bb.750:                              ;   in Loop: Header=BB2_694 Depth=3
	s_or_b64 exec, exec, s[36:37]
	v_lshlrev_b32_e32 v0, 16, v11
	v_lshlrev_b32_e32 v14, 16, v15
	v_max_f32_e32 v14, v14, v14
	v_max_f32_e32 v0, v0, v0
	v_min_f32_e32 v39, v0, v14
	v_max_f32_e32 v0, v0, v14
	v_cndmask_b32_e32 v39, v0, v39, vcc
	v_and_b32_e32 v0, 0x7f800000, v39
	v_cmp_ne_u32_e64 s[28:29], s85, v0
                                        ; implicit-def: $vgpr14
	s_and_saveexec_b64 s[36:37], s[28:29]
	s_xor_b64 s[28:29], exec, s[36:37]
; %bb.751:                              ;   in Loop: Header=BB2_694 Depth=3
	v_bfe_u32 v0, v39, 16, 1
	v_add3_u32 v14, v39, v0, s86
                                        ; implicit-def: $vgpr39
; %bb.752:                              ;   in Loop: Header=BB2_694 Depth=3
	s_andn2_saveexec_b64 s[36:37], s[28:29]
; %bb.753:                              ;   in Loop: Header=BB2_694 Depth=3
	v_or_b32_e32 v0, 0x10000, v39
	v_cmp_eq_u32_sdwa s[28:29], v39, v52 src0_sel:WORD_0 src1_sel:DWORD
	v_cndmask_b32_e64 v14, v0, v39, s[28:29]
; %bb.754:                              ;   in Loop: Header=BB2_694 Depth=3
	s_or_b64 exec, exec, s[36:37]
	v_and_b32_e32 v0, 0xffff0000, v11
	v_and_b32_e32 v11, 0xffff0000, v15
	v_max_f32_e32 v11, v11, v11
	v_max_f32_e32 v0, v0, v0
	v_min_f32_e32 v15, v0, v11
	v_max_f32_e32 v0, v0, v11
	v_cndmask_b32_e32 v15, v0, v15, vcc
	v_and_b32_e32 v0, 0x7f800000, v15
	v_cmp_ne_u32_e64 s[28:29], s85, v0
                                        ; implicit-def: $vgpr11
	s_and_saveexec_b64 s[36:37], s[28:29]
	s_xor_b64 s[28:29], exec, s[36:37]
; %bb.755:                              ;   in Loop: Header=BB2_694 Depth=3
	v_bfe_u32 v0, v15, 16, 1
	v_add3_u32 v11, v15, v0, s86
                                        ; implicit-def: $vgpr15
; %bb.756:                              ;   in Loop: Header=BB2_694 Depth=3
	s_andn2_saveexec_b64 s[36:37], s[28:29]
	s_cbranch_execz .LBB2_693
; %bb.757:                              ;   in Loop: Header=BB2_694 Depth=3
	v_or_b32_e32 v0, 0x10000, v15
	v_cmp_eq_u32_sdwa s[28:29], v15, v52 src0_sel:WORD_0 src1_sel:DWORD
	v_cndmask_b32_e64 v11, v0, v15, s[28:29]
	s_branch .LBB2_693
.LBB2_758:                              ;   in Loop: Header=BB2_603 Depth=2
	s_or_b64 exec, exec, s[38:39]
	s_and_saveexec_b64 vcc, s[62:63]
	s_xor_b64 vcc, exec, vcc
	s_cbranch_execz .LBB2_760
; %bb.759:                              ;   in Loop: Header=BB2_603 Depth=2
	ds_write_b32 v0, v43
	s_trap 2
.LBB2_760:                              ;   in Loop: Header=BB2_603 Depth=2
	s_or_b64 exec, exec, s[36:37]
	;;#ASMSTART
	s_wakeup
	;;#ASMEND
.LBB2_761:                              ;   in Loop: Header=BB2_603 Depth=2
	s_or_b64 exec, exec, s[34:35]
.LBB2_762:                              ;   in Loop: Header=BB2_603 Depth=2
	s_andn2_saveexec_b64 vcc, s[30:31]
	s_cbranch_execz .LBB2_764
; %bb.763:                              ;   in Loop: Header=BB2_603 Depth=2
	s_waitcnt vmcnt(0) lgkmcnt(0)
	buffer_wbinvl1_vol
	s_barrier
.LBB2_764:                              ;   in Loop: Header=BB2_603 Depth=2
	s_or_b64 exec, exec, vcc
.LBB2_765:                              ;   in Loop: Header=BB2_603 Depth=2
	s_or_b64 exec, exec, s[28:29]
                                        ; implicit-def: $vgpr4
	s_and_saveexec_b64 s[28:29], s[24:25]
	s_xor_b64 s[30:31], exec, s[28:29]
	s_cbranch_execz .LBB2_769
; %bb.766:                              ;   in Loop: Header=BB2_603 Depth=2
	v_and_b32_e32 v0, 16, v62
	v_cmp_lt_i32_e32 vcc, 0, v3
	v_cmp_ne_u32_e64 s[28:29], 0, v0
	v_and_b32_e32 v4, 16, v62
	s_and_b64 vcc, s[28:29], vcc
	s_and_saveexec_b64 s[28:29], vcc
	s_cbranch_execz .LBB2_768
; %bb.767:                              ;   in Loop: Header=BB2_603 Depth=2
	v_mov_b32_e32 v4, 1
	s_waitcnt vmcnt(0) lgkmcnt(0)
	buffer_wbinvl1_vol
.LBB2_768:                              ;   in Loop: Header=BB2_603 Depth=2
	s_or_b64 exec, exec, s[28:29]
	s_andn2_saveexec_b64 s[28:29], s[30:31]
	s_cbranch_execz .LBB2_788
	s_branch .LBB2_770
.LBB2_769:                              ;   in Loop: Header=BB2_603 Depth=2
	s_andn2_saveexec_b64 s[28:29], s[30:31]
	s_cbranch_execz .LBB2_788
.LBB2_770:                              ;   in Loop: Header=BB2_603 Depth=2
	s_and_saveexec_b64 vcc, s[48:49]
	s_xor_b64 s[30:31], exec, vcc
	s_cbranch_execz .LBB2_785
; %bb.771:                              ;   in Loop: Header=BB2_603 Depth=2
	s_and_saveexec_b64 s[34:35], s[16:17]
	s_cbranch_execz .LBB2_784
; %bb.772:                              ;   in Loop: Header=BB2_603 Depth=2
	s_mov_b64 s[38:39], exec
	v_mbcnt_lo_u32_b32 v0, s38, 0
	v_mbcnt_hi_u32_b32 v0, s39, v0
	v_cmp_eq_u32_e32 vcc, 0, v0
	;;#ASMSTART
	s_waitcnt lgkmcnt(0) vmcnt(0)
	;;#ASMEND
	s_and_saveexec_b64 s[36:37], vcc
	s_cbranch_execz .LBB2_774
; %bb.773:                              ;   in Loop: Header=BB2_603 Depth=2
	s_bcnt1_i32_b64 vcc_lo, s[38:39]
	v_mov_b32_e32 v4, vcc_lo
	v_mov_b32_e32 v5, v52
	ds_add_u64 v0, v[4:5]
	s_trap 2
.LBB2_774:                              ;   in Loop: Header=BB2_603 Depth=2
	s_or_b64 exec, exec, s[36:37]
	s_trap 2
	ds_read_b64 v[4:5], v0
	v_add_co_u32_e32 v48, vcc, v48, v54
	v_addc_co_u32_e32 v49, vcc, 0, v49, vcc
	s_waitcnt lgkmcnt(0)
	v_cmp_lt_u64_e32 vcc, v[4:5], v[48:49]
	s_and_saveexec_b64 s[36:37], vcc
	s_cbranch_execz .LBB2_783
; %bb.775:                              ;   in Loop: Header=BB2_603 Depth=2
	s_mov_b32 s46, 0
	s_mov_b64 s[38:39], 0
                                        ; implicit-def: $sgpr62_sgpr63
                                        ; implicit-def: $sgpr64_sgpr65
	s_branch .LBB2_777
.LBB2_776:                              ;   in Loop: Header=BB2_777 Depth=3
	s_or_b64 exec, exec, s[68:69]
	s_and_b64 vcc, exec, vcc
	s_or_b64 s[38:39], vcc, s[38:39]
	s_andn2_b64 vcc, s[62:63], exec
	s_and_b64 s[62:63], s[64:65], exec
	s_or_b64 s[62:63], vcc, s[62:63]
	s_andn2_b64 exec, exec, s[38:39]
	s_cbranch_execz .LBB2_781
.LBB2_777:                              ;   Parent Loop BB2_47 Depth=1
                                        ;     Parent Loop BB2_603 Depth=2
                                        ; =>    This Inner Loop Header: Depth=3
	s_add_i32 s46, s46, 1
	s_cmpk_lg_i32 s46, 0x2710
	s_cselect_b64 s[66:67], -1, 0
	s_and_b64 vcc, exec, s[66:67]
                                        ; implicit-def: $sgpr68_sgpr69
	s_cbranch_vccnz .LBB2_779
; %bb.778:                              ;   in Loop: Header=BB2_777 Depth=3
	s_trap 2
	ds_read_b64 v[4:5], v0
	s_andn2_b64 s[66:67], s[66:67], exec
	s_mov_b32 s46, 0
	s_mov_b64 s[68:69], -1
	s_waitcnt vmcnt(0) lgkmcnt(0)
	flat_load_dword v0, v[4:5] glc
	s_waitcnt vmcnt(0) lgkmcnt(0)
	buffer_invl2
	buffer_wbinvl1_vol
	v_cmp_eq_u32_e32 vcc, 0, v0
	s_and_b64 vcc, vcc, exec
	s_or_b64 s[66:67], s[66:67], vcc
.LBB2_779:                              ;   in Loop: Header=BB2_777 Depth=3
	s_andn2_b64 s[64:65], s[64:65], exec
	s_and_b64 s[68:69], s[68:69], exec
	s_mov_b64 vcc, -1
	s_or_b64 s[64:65], s[64:65], s[68:69]
	s_and_saveexec_b64 s[68:69], s[66:67]
	s_cbranch_execz .LBB2_776
; %bb.780:                              ;   in Loop: Header=BB2_777 Depth=3
	s_sleep 1
	s_trap 2
	ds_read_b64 v[4:5], v0
	s_andn2_b64 s[64:65], s[64:65], exec
	s_waitcnt lgkmcnt(0)
	v_cmp_ge_u64_e32 vcc, v[4:5], v[48:49]
	s_orn2_b64 vcc, vcc, exec
	s_branch .LBB2_776
.LBB2_781:                              ;   in Loop: Header=BB2_603 Depth=2
	s_or_b64 exec, exec, s[38:39]
	s_and_saveexec_b64 vcc, s[62:63]
	s_xor_b64 vcc, exec, vcc
	s_cbranch_execz .LBB2_783
; %bb.782:                              ;   in Loop: Header=BB2_603 Depth=2
	ds_write_b32 v0, v43
	s_trap 2
.LBB2_783:                              ;   in Loop: Header=BB2_603 Depth=2
	s_or_b64 exec, exec, s[36:37]
	;;#ASMSTART
	s_wakeup
	;;#ASMEND
.LBB2_784:                              ;   in Loop: Header=BB2_603 Depth=2
	s_or_b64 exec, exec, s[34:35]
.LBB2_785:                              ;   in Loop: Header=BB2_603 Depth=2
	s_andn2_saveexec_b64 vcc, s[30:31]
	s_cbranch_execz .LBB2_787
; %bb.786:                              ;   in Loop: Header=BB2_603 Depth=2
	;;#ASMSTART
	s_waitcnt lgkmcnt(0) vmcnt(0)
	;;#ASMEND
	s_barrier
.LBB2_787:                              ;   in Loop: Header=BB2_603 Depth=2
	s_or_b64 exec, exec, vcc
	v_and_b32_e32 v4, 16, v62
.LBB2_788:                              ;   in Loop: Header=BB2_603 Depth=2
	s_or_b64 exec, exec, s[28:29]
	v_cmp_ne_u32_e32 vcc, 0, v4
	s_xor_b64 s[28:29], s[12:13], -1
	s_and_b64 vcc, vcc, s[28:29]
	s_and_saveexec_b64 s[28:29], vcc
	s_cbranch_execz .LBB2_790
; %bb.789:                              ;   in Loop: Header=BB2_603 Depth=2
	flat_store_dword v[58:59], v43
.LBB2_790:                              ;   in Loop: Header=BB2_603 Depth=2
	s_or_b64 exec, exec, s[28:29]
	v_and_b32_e32 v0, 48, v62
	v_cmp_ne_u32_e32 vcc, 0, v0
	s_and_saveexec_b64 s[28:29], vcc
	s_cbranch_execz .LBB2_602
; %bb.791:                              ;   in Loop: Header=BB2_603 Depth=2
	v_add_co_u32_e32 v32, vcc, 2, v32
	v_addc_co_u32_e32 v33, vcc, 0, v33, vcc
	flat_store_dwordx2 v[34:35], v[32:33]
	s_branch .LBB2_602
.LBB2_792:                              ;   in Loop: Header=BB2_603 Depth=2
	s_or_b64 exec, exec, s[34:35]
	v_accvgpr_read_b32 v59, a15
	v_accvgpr_read_b32 v56, a3
	;; [unrolled: 1-line block ×4, first 2 shown]
.LBB2_793:                              ;   in Loop: Header=BB2_603 Depth=2
	s_or_b64 exec, exec, s[30:31]
	v_lshlrev_b32_e32 v22, 11, v6
	v_cmp_ne_u32_e32 vcc, v25, v22
	s_mov_b64 s[28:29], 0
	v_mov_b32_e32 v14, 0
                                        ; implicit-def: $vgpr15
                                        ; implicit-def: $vgpr16
                                        ; implicit-def: $vgpr4
	s_and_saveexec_b64 s[62:63], vcc
	s_cbranch_execz .LBB2_835
; %bb.794:                              ;   in Loop: Header=BB2_603 Depth=2
	v_lshlrev_b32_e32 v0, 6, v53
	v_accvgpr_read_b32 v5, a24
	v_sub_u32_e32 v0, v5, v0
	v_ashrrev_i32_e32 v5, 31, v0
	v_lshrrev_b32_e32 v5, 26, v5
	v_add_u32_e32 v5, v0, v5
	v_sub_u32_e32 v4, v25, v22
	v_ashrrev_i32_e32 v8, 6, v5
	v_and_b32_e32 v5, 0xffffffc0, v5
	v_sub_u32_e32 v23, v0, v5
	v_ashrrev_i32_e32 v5, 31, v4
	v_lshrrev_b32_e32 v5, 22, v5
	v_add_u32_e32 v5, v4, v5
	v_and_b32_e32 v39, 0xfffffc00, v5
	v_lshlrev_b32_e32 v0, 4, v23
	v_sub_u32_e32 v40, v4, v39
	v_lshl_add_u32 v0, v8, 10, v0
	v_ashrrev_i32_e32 v9, 10, v5
	v_cmp_lt_i32_e64 s[28:29], 15, v40
	v_sub_u32_e32 v41, v4, v0
	v_addc_co_u32_e64 v4, vcc, 0, v9, s[28:29]
	v_sub_u32_e32 v53, v4, v8
	v_cmp_lt_i32_e32 vcc, 15, v41
	s_and_saveexec_b64 s[64:65], vcc
	s_cbranch_execz .LBB2_832
; %bb.795:                              ;   in Loop: Header=BB2_603 Depth=2
	s_trap 2
	ds_read_b128 v[8:11], v0
	v_add_u32_e32 v0, v0, v22
	v_ashrrev_i32_e32 v12, 31, v0
	s_and_b32 s46, s89, 1
	s_cmp_eq_u64 s[46:47], 0
	s_waitcnt lgkmcnt(0)
	v_add_co_u32_e32 v4, vcc, v8, v0
	v_addc_co_u32_e32 v5, vcc, v9, v12, vcc
	v_add_co_u32_e32 v16, vcc, v10, v0
	v_addc_co_u32_e32 v17, vcc, v11, v12, vcc
	s_mov_b64 s[66:67], 0
	s_cselect_b64 s[30:31], -1, 0
	v_pk_mov_b32 v[18:19], v[4:5], v[4:5] op_sel:[0,1]
	v_pk_mov_b32 v[20:21], v[16:17], v[16:17] op_sel:[0,1]
.LBB2_796:                              ;   Parent Loop BB2_47 Depth=1
                                        ;     Parent Loop BB2_603 Depth=2
                                        ; =>    This Loop Header: Depth=3
                                        ;         Child Loop BB2_829 Depth 4
	global_load_dwordx4 v[8:11], v[18:19], off glc slc
	global_load_dwordx4 v[12:15], v[20:21], off glc slc
	s_waitcnt vmcnt(0)
	v_lshlrev_b32_e32 v0, 16, v8
	v_lshlrev_b32_e32 v42, 16, v12
	v_max_f32_e32 v42, v42, v42
	v_max_f32_e32 v0, v0, v0
	v_min_f32_e32 v43, v0, v42
	v_max_f32_e32 v0, v0, v42
	v_cndmask_b32_e64 v43, v0, v43, s[30:31]
	v_and_b32_e32 v0, 0x7f800000, v43
	v_cmp_ne_u32_e32 vcc, s85, v0
                                        ; implicit-def: $vgpr42
	s_and_saveexec_b64 s[34:35], vcc
	s_xor_b64 vcc, exec, s[34:35]
; %bb.797:                              ;   in Loop: Header=BB2_796 Depth=3
	v_bfe_u32 v0, v43, 16, 1
	v_add3_u32 v42, v43, v0, s86
                                        ; implicit-def: $vgpr43
; %bb.798:                              ;   in Loop: Header=BB2_796 Depth=3
	s_andn2_saveexec_b64 s[34:35], vcc
; %bb.799:                              ;   in Loop: Header=BB2_796 Depth=3
	v_or_b32_e32 v0, 0x10000, v43
	v_cmp_eq_u32_sdwa vcc, v43, v52 src0_sel:WORD_0 src1_sel:DWORD
	v_cndmask_b32_e32 v42, v0, v43, vcc
; %bb.800:                              ;   in Loop: Header=BB2_796 Depth=3
	s_or_b64 exec, exec, s[34:35]
	v_and_b32_e32 v0, 0xffff0000, v8
	v_and_b32_e32 v8, 0xffff0000, v12
	v_max_f32_e32 v8, v8, v8
	v_max_f32_e32 v0, v0, v0
	v_min_f32_e32 v12, v0, v8
	v_max_f32_e32 v0, v0, v8
	v_cndmask_b32_e64 v12, v0, v12, s[30:31]
	v_and_b32_e32 v0, 0x7f800000, v12
	v_cmp_ne_u32_e32 vcc, s85, v0
                                        ; implicit-def: $vgpr8
	s_and_saveexec_b64 s[34:35], vcc
	s_xor_b64 vcc, exec, s[34:35]
; %bb.801:                              ;   in Loop: Header=BB2_796 Depth=3
	v_bfe_u32 v0, v12, 16, 1
	v_add3_u32 v8, v12, v0, s86
                                        ; implicit-def: $vgpr12
; %bb.802:                              ;   in Loop: Header=BB2_796 Depth=3
	s_andn2_saveexec_b64 s[34:35], vcc
; %bb.803:                              ;   in Loop: Header=BB2_796 Depth=3
	v_or_b32_e32 v0, 0x10000, v12
	v_cmp_eq_u32_sdwa vcc, v12, v52 src0_sel:WORD_0 src1_sel:DWORD
	v_cndmask_b32_e32 v8, v0, v12, vcc
; %bb.804:                              ;   in Loop: Header=BB2_796 Depth=3
	s_or_b64 exec, exec, s[34:35]
	v_lshlrev_b32_e32 v0, 16, v9
	v_lshlrev_b32_e32 v12, 16, v13
	v_max_f32_e32 v12, v12, v12
	v_max_f32_e32 v0, v0, v0
	v_min_f32_e32 v43, v0, v12
	v_max_f32_e32 v0, v0, v12
	v_cndmask_b32_e64 v43, v0, v43, s[30:31]
	v_and_b32_e32 v0, 0x7f800000, v43
	v_cmp_ne_u32_e32 vcc, s85, v0
                                        ; implicit-def: $vgpr12
	s_and_saveexec_b64 s[34:35], vcc
	s_xor_b64 vcc, exec, s[34:35]
; %bb.805:                              ;   in Loop: Header=BB2_796 Depth=3
	v_bfe_u32 v0, v43, 16, 1
	v_add3_u32 v12, v43, v0, s86
                                        ; implicit-def: $vgpr43
; %bb.806:                              ;   in Loop: Header=BB2_796 Depth=3
	s_andn2_saveexec_b64 s[34:35], vcc
; %bb.807:                              ;   in Loop: Header=BB2_796 Depth=3
	v_or_b32_e32 v0, 0x10000, v43
	v_cmp_eq_u32_sdwa vcc, v43, v52 src0_sel:WORD_0 src1_sel:DWORD
	v_cndmask_b32_e32 v12, v0, v43, vcc
; %bb.808:                              ;   in Loop: Header=BB2_796 Depth=3
	s_or_b64 exec, exec, s[34:35]
	v_and_b32_e32 v0, 0xffff0000, v9
	v_and_b32_e32 v9, 0xffff0000, v13
	v_max_f32_e32 v9, v9, v9
	v_max_f32_e32 v0, v0, v0
	v_min_f32_e32 v13, v0, v9
	v_max_f32_e32 v0, v0, v9
	v_cndmask_b32_e64 v13, v0, v13, s[30:31]
	v_and_b32_e32 v0, 0x7f800000, v13
	v_cmp_ne_u32_e32 vcc, s85, v0
                                        ; implicit-def: $vgpr9
	s_and_saveexec_b64 s[34:35], vcc
	s_xor_b64 vcc, exec, s[34:35]
; %bb.809:                              ;   in Loop: Header=BB2_796 Depth=3
	v_bfe_u32 v0, v13, 16, 1
	v_add3_u32 v9, v13, v0, s86
                                        ; implicit-def: $vgpr13
; %bb.810:                              ;   in Loop: Header=BB2_796 Depth=3
	s_andn2_saveexec_b64 s[34:35], vcc
; %bb.811:                              ;   in Loop: Header=BB2_796 Depth=3
	v_or_b32_e32 v0, 0x10000, v13
	v_cmp_eq_u32_sdwa vcc, v13, v52 src0_sel:WORD_0 src1_sel:DWORD
	v_cndmask_b32_e32 v9, v0, v13, vcc
; %bb.812:                              ;   in Loop: Header=BB2_796 Depth=3
	s_or_b64 exec, exec, s[34:35]
	v_lshlrev_b32_e32 v0, 16, v10
	v_lshlrev_b32_e32 v13, 16, v14
	v_max_f32_e32 v13, v13, v13
	v_max_f32_e32 v0, v0, v0
	v_min_f32_e32 v43, v0, v13
	v_max_f32_e32 v0, v0, v13
	v_cndmask_b32_e64 v43, v0, v43, s[30:31]
	v_and_b32_e32 v0, 0x7f800000, v43
	v_cmp_ne_u32_e32 vcc, s85, v0
                                        ; implicit-def: $vgpr13
	s_and_saveexec_b64 s[34:35], vcc
	s_xor_b64 vcc, exec, s[34:35]
; %bb.813:                              ;   in Loop: Header=BB2_796 Depth=3
	v_bfe_u32 v0, v43, 16, 1
	v_add3_u32 v13, v43, v0, s86
                                        ; implicit-def: $vgpr43
; %bb.814:                              ;   in Loop: Header=BB2_796 Depth=3
	s_andn2_saveexec_b64 s[34:35], vcc
; %bb.815:                              ;   in Loop: Header=BB2_796 Depth=3
	v_or_b32_e32 v0, 0x10000, v43
	v_cmp_eq_u32_sdwa vcc, v43, v52 src0_sel:WORD_0 src1_sel:DWORD
	v_cndmask_b32_e32 v13, v0, v43, vcc
; %bb.816:                              ;   in Loop: Header=BB2_796 Depth=3
	s_or_b64 exec, exec, s[34:35]
	v_and_b32_e32 v0, 0xffff0000, v10
	v_and_b32_e32 v10, 0xffff0000, v14
	v_max_f32_e32 v10, v10, v10
	v_max_f32_e32 v0, v0, v0
	v_min_f32_e32 v14, v0, v10
	v_max_f32_e32 v0, v0, v10
	v_cndmask_b32_e64 v14, v0, v14, s[30:31]
	v_and_b32_e32 v0, 0x7f800000, v14
	v_cmp_ne_u32_e32 vcc, s85, v0
                                        ; implicit-def: $vgpr10
	s_and_saveexec_b64 s[34:35], vcc
	s_xor_b64 vcc, exec, s[34:35]
; %bb.817:                              ;   in Loop: Header=BB2_796 Depth=3
	v_bfe_u32 v0, v14, 16, 1
	v_add3_u32 v10, v14, v0, s86
                                        ; implicit-def: $vgpr14
; %bb.818:                              ;   in Loop: Header=BB2_796 Depth=3
	s_andn2_saveexec_b64 s[34:35], vcc
; %bb.819:                              ;   in Loop: Header=BB2_796 Depth=3
	v_or_b32_e32 v0, 0x10000, v14
	v_cmp_eq_u32_sdwa vcc, v14, v52 src0_sel:WORD_0 src1_sel:DWORD
	v_cndmask_b32_e32 v10, v0, v14, vcc
; %bb.820:                              ;   in Loop: Header=BB2_796 Depth=3
	s_or_b64 exec, exec, s[34:35]
	v_lshlrev_b32_e32 v0, 16, v11
	v_lshlrev_b32_e32 v14, 16, v15
	v_max_f32_e32 v14, v14, v14
	v_max_f32_e32 v0, v0, v0
	v_min_f32_e32 v43, v0, v14
	v_max_f32_e32 v0, v0, v14
	v_cndmask_b32_e64 v43, v0, v43, s[30:31]
	v_and_b32_e32 v0, 0x7f800000, v43
	v_cmp_ne_u32_e32 vcc, s85, v0
                                        ; implicit-def: $vgpr14
	s_and_saveexec_b64 s[34:35], vcc
	s_xor_b64 vcc, exec, s[34:35]
; %bb.821:                              ;   in Loop: Header=BB2_796 Depth=3
	v_bfe_u32 v0, v43, 16, 1
	v_add3_u32 v14, v43, v0, s86
                                        ; implicit-def: $vgpr43
; %bb.822:                              ;   in Loop: Header=BB2_796 Depth=3
	s_andn2_saveexec_b64 s[34:35], vcc
; %bb.823:                              ;   in Loop: Header=BB2_796 Depth=3
	v_or_b32_e32 v0, 0x10000, v43
	v_cmp_eq_u32_sdwa vcc, v43, v52 src0_sel:WORD_0 src1_sel:DWORD
	v_cndmask_b32_e32 v14, v0, v43, vcc
; %bb.824:                              ;   in Loop: Header=BB2_796 Depth=3
	s_or_b64 exec, exec, s[34:35]
	v_and_b32_e32 v0, 0xffff0000, v11
	v_and_b32_e32 v11, 0xffff0000, v15
	v_max_f32_e32 v11, v11, v11
	v_max_f32_e32 v0, v0, v0
	v_min_f32_e32 v15, v0, v11
	v_max_f32_e32 v0, v0, v11
	v_cndmask_b32_e64 v15, v0, v15, s[30:31]
	v_and_b32_e32 v0, 0x7f800000, v15
	v_cmp_ne_u32_e32 vcc, s85, v0
                                        ; implicit-def: $vgpr11
	s_and_saveexec_b64 s[34:35], vcc
	s_xor_b64 vcc, exec, s[34:35]
; %bb.825:                              ;   in Loop: Header=BB2_796 Depth=3
	v_bfe_u32 v0, v15, 16, 1
	v_add3_u32 v11, v15, v0, s86
                                        ; implicit-def: $vgpr15
; %bb.826:                              ;   in Loop: Header=BB2_796 Depth=3
	s_andn2_saveexec_b64 s[34:35], vcc
; %bb.827:                              ;   in Loop: Header=BB2_796 Depth=3
	v_or_b32_e32 v0, 0x10000, v15
	v_cmp_eq_u32_sdwa vcc, v15, v52 src0_sel:WORD_0 src1_sel:DWORD
	v_cndmask_b32_e32 v11, v0, v15, vcc
; %bb.828:                              ;   in Loop: Header=BB2_796 Depth=3
	s_or_b64 exec, exec, s[34:35]
	v_lshrrev_b32_e32 v0, 16, v12
	v_and_or_b32 v9, v9, s87, v0
	v_lshrrev_b32_e32 v0, 16, v42
	v_and_or_b32 v8, v8, s87, v0
	;; [unrolled: 2-line block ×4, first 2 shown]
	s_mov_b64 s[68:69], 0
	s_mov_b64 s[70:71], -1
.LBB2_829:                              ;   Parent Loop BB2_47 Depth=1
                                        ;     Parent Loop BB2_603 Depth=2
                                        ;       Parent Loop BB2_796 Depth=3
                                        ; =>      This Inner Loop Header: Depth=4
	s_cmp_eq_u32 s68, 0
	s_cselect_b64 s[34:35], -1, 0
	s_cmp_eq_u32 s68, 1
	s_cselect_b64 s[38:39], -1, 0
	v_cndmask_b32_e64 v0, 0, 1, s[70:71]
	v_cndmask_b32_e64 v12, v4, v16, s[38:39]
	v_cmp_ne_u32_e64 s[36:37], 1, v0
	v_cndmask_b32_e64 v13, v5, v17, s[38:39]
	v_add_co_u32_e32 v0, vcc, 0x400, v12
	global_store_dwordx4 v[12:13], v[8:11], off glc slc
	v_addc_co_u32_e32 v12, vcc, 0, v13, vcc
	s_mov_b64 s[70:71], 0
	s_mov_b64 s[68:69], 1
	v_cndmask_b32_e64 v16, v16, v0, s[38:39]
	s_and_b64 vcc, exec, s[36:37]
	v_cndmask_b32_e64 v17, v17, v12, s[38:39]
	v_cndmask_b32_e64 v5, v5, v12, s[34:35]
	;; [unrolled: 1-line block ×3, first 2 shown]
	s_cbranch_vccz .LBB2_829
; %bb.830:                              ;   in Loop: Header=BB2_796 Depth=3
	v_add_co_u32_e32 v18, vcc, v18, v1
	v_addc_co_u32_e32 v19, vcc, v19, v60, vcc
	v_add_co_u32_e32 v20, vcc, v20, v1
	v_addc_co_u32_e32 v21, vcc, v21, v60, vcc
	;; [unrolled: 2-line block ×4, first 2 shown]
	v_sub_u32_e32 v41, v41, v26
	v_cmp_gt_i32_e32 vcc, 16, v41
	s_or_b64 s[66:67], vcc, s[66:67]
	v_sub_u32_e32 v53, v53, v54
	s_andn2_b64 exec, exec, s[66:67]
	s_cbranch_execnz .LBB2_796
; %bb.831:                              ;   in Loop: Header=BB2_603 Depth=2
	s_or_b64 exec, exec, s[66:67]
	v_mov_b32_e32 v43, 1
.LBB2_832:                              ;   in Loop: Header=BB2_603 Depth=2
	s_or_b64 exec, exec, s[64:65]
	v_and_b32_e32 v0, 14, v25
	v_cndmask_b32_e64 v15, v40, v0, s[28:29]
	v_cmp_ne_u32_e32 vcc, 0, v15
	s_mov_b64 s[30:31], 0
	v_mov_b32_e32 v14, 0
                                        ; implicit-def: $vgpr16
                                        ; implicit-def: $vgpr4
	s_and_saveexec_b64 s[34:35], vcc
	s_cbranch_execz .LBB2_834
; %bb.833:                              ;   in Loop: Header=BB2_603 Depth=2
	v_sub_u32_e32 v0, v40, v0
	v_cndmask_b32_e64 v0, 0, v0, s[28:29]
	v_cmp_lt_i32_e32 vcc, 0, v53
	v_add3_u32 v14, v39, v22, v0
	v_cndmask_b32_e32 v0, 0, v54, vcc
	v_sub_u32_e32 v0, v0, v53
	v_lshl_add_u32 v16, v0, 6, v23
	v_ashrrev_i32_e32 v0, 31, v16
	v_lshrrev_b32_e32 v0, 26, v0
	v_add_u32_e32 v0, v16, v0
	s_mov_b64 s[30:31], exec
	v_ashrrev_i32_e32 v4, 6, v0
.LBB2_834:                              ;   in Loop: Header=BB2_603 Depth=2
	s_or_b64 exec, exec, s[34:35]
	s_and_b64 s[28:29], s[30:31], exec
.LBB2_835:                              ;   in Loop: Header=BB2_603 Depth=2
	s_or_b64 exec, exec, s[62:63]
	v_accvgpr_read_b32 v39, a36
	s_and_saveexec_b64 s[38:39], s[28:29]
	s_cbranch_execz .LBB2_677
.LBB2_836:                              ;   in Loop: Header=BB2_603 Depth=2
	v_ashrrev_i32_e32 v0, 31, v15
	v_add_u32_sdwa v0, v15, v0 dst_sel:DWORD dst_unused:UNUSED_PAD src0_sel:DWORD src1_sel:BYTE_3
	v_ashrrev_i32_e32 v19, 8, v0
	v_sub_u32_e32 v17, v19, v4
	v_ashrrev_i32_e32 v0, 31, v16
	v_cmp_lt_i32_e32 vcc, 0, v17
	v_lshrrev_b32_e32 v18, 26, v0
	s_and_saveexec_b64 s[30:31], vcc
	s_cbranch_execz .LBB2_848
; %bb.837:                              ;   in Loop: Header=BB2_603 Depth=2
	v_add_u32_e32 v0, v16, v18
	v_and_b32_e32 v0, 0x7fffffc0, v0
	v_sub_u32_e32 v0, v16, v0
	v_lshlrev_b32_e32 v0, 1, v0
	s_trap 2
	ds_read_b128 v[8:11], v0
	v_lshlrev_b32_e32 v4, 8, v4
	v_add3_u32 v0, v0, v14, v4
	v_ashrrev_i32_e32 v12, 31, v0
	s_and_b32 s46, s89, 1
	s_waitcnt lgkmcnt(0)
	v_add_co_u32_e32 v4, vcc, v8, v0
	v_addc_co_u32_e32 v5, vcc, v9, v12, vcc
	v_add_co_u32_e32 v8, vcc, v10, v0
	v_addc_co_u32_e32 v9, vcc, v11, v12, vcc
	s_cmp_eq_u64 s[46:47], 0
	s_mov_b64 s[34:35], 0
	s_cselect_b64 vcc, -1, 0
	v_pk_mov_b32 v[10:11], v[4:5], v[4:5] op_sel:[0,1]
	v_pk_mov_b32 v[12:13], v[8:9], v[8:9] op_sel:[0,1]
	s_branch .LBB2_839
.LBB2_838:                              ;   in Loop: Header=BB2_839 Depth=3
	s_or_b64 exec, exec, s[36:37]
	v_add_co_u32_e64 v4, s[28:29], v4, v47
	v_addc_co_u32_e64 v5, s[28:29], v5, v38, s[28:29]
	v_add_co_u32_e64 v8, s[28:29], v8, v47
	v_lshrrev_b32_e32 v20, 16, v20
	v_addc_co_u32_e64 v9, s[28:29], v9, v38, s[28:29]
	v_lshrrev_b32_e32 v0, 16, v0
	flat_store_short v[10:11], v20 glc slc
	flat_store_short v[10:11], v0 offset:128 glc slc
	flat_store_short v[12:13], v20 glc slc
	flat_store_short v[12:13], v0 offset:128 glc slc
	v_add_co_u32_e64 v10, s[28:29], v10, v47
	v_addc_co_u32_e64 v11, s[28:29], v11, v38, s[28:29]
	v_sub_u32_e32 v17, v17, v54
	v_cmp_gt_i32_e64 s[28:29], 1, v17
	s_or_b64 s[34:35], s[28:29], s[34:35]
	v_add_co_u32_e64 v12, s[28:29], v12, v47
	v_addc_co_u32_e64 v13, s[28:29], v13, v38, s[28:29]
	s_andn2_b64 exec, exec, s[34:35]
	s_cbranch_execz .LBB2_847
.LBB2_839:                              ;   Parent Loop BB2_47 Depth=1
                                        ;     Parent Loop BB2_603 Depth=2
                                        ; =>    This Inner Loop Header: Depth=3
	flat_load_ushort v0, v[4:5] glc slc
	flat_load_ushort v20, v[8:9] glc slc
	flat_load_ushort v21, v[4:5] offset:128 glc slc
	flat_load_ushort v22, v[8:9] offset:128 glc slc
	s_waitcnt vmcnt(0) lgkmcnt(0)
	v_lshlrev_b32_e32 v0, 16, v0
	v_lshlrev_b32_e32 v20, 16, v20
	v_max_f32_e32 v20, v20, v20
	v_max_f32_e32 v0, v0, v0
	v_min_f32_e32 v23, v0, v20
	v_max_f32_e32 v0, v0, v20
	v_cndmask_b32_e32 v23, v0, v23, vcc
	v_and_b32_e32 v0, 0x7f800000, v23
	v_cmp_ne_u32_e64 s[28:29], s85, v0
                                        ; implicit-def: $vgpr20
	s_and_saveexec_b64 s[36:37], s[28:29]
	s_xor_b64 s[28:29], exec, s[36:37]
; %bb.840:                              ;   in Loop: Header=BB2_839 Depth=3
	v_bfe_u32 v0, v23, 16, 1
	v_add3_u32 v20, v23, v0, s86
                                        ; implicit-def: $vgpr23
; %bb.841:                              ;   in Loop: Header=BB2_839 Depth=3
	s_andn2_saveexec_b64 s[36:37], s[28:29]
; %bb.842:                              ;   in Loop: Header=BB2_839 Depth=3
	v_or_b32_e32 v0, 0x10000, v23
	v_cmp_eq_u32_sdwa s[28:29], v23, v52 src0_sel:WORD_0 src1_sel:DWORD
	v_cndmask_b32_e64 v20, v0, v23, s[28:29]
; %bb.843:                              ;   in Loop: Header=BB2_839 Depth=3
	s_or_b64 exec, exec, s[36:37]
	v_lshlrev_b32_e32 v0, 16, v21
	v_lshlrev_b32_e32 v21, 16, v22
	v_max_f32_e32 v21, v21, v21
	v_max_f32_e32 v0, v0, v0
	v_min_f32_e32 v22, v0, v21
	v_max_f32_e32 v0, v0, v21
	v_cndmask_b32_e32 v21, v0, v22, vcc
	v_and_b32_e32 v0, 0x7f800000, v21
	v_cmp_ne_u32_e64 s[28:29], s85, v0
                                        ; implicit-def: $vgpr0
	s_and_saveexec_b64 s[36:37], s[28:29]
	s_xor_b64 s[28:29], exec, s[36:37]
; %bb.844:                              ;   in Loop: Header=BB2_839 Depth=3
	v_bfe_u32 v0, v21, 16, 1
	v_add3_u32 v0, v21, v0, s86
                                        ; implicit-def: $vgpr21
; %bb.845:                              ;   in Loop: Header=BB2_839 Depth=3
	s_andn2_saveexec_b64 s[36:37], s[28:29]
	s_cbranch_execz .LBB2_838
; %bb.846:                              ;   in Loop: Header=BB2_839 Depth=3
	v_or_b32_e32 v0, 0x10000, v21
	v_cmp_eq_u32_sdwa s[28:29], v21, v52 src0_sel:WORD_0 src1_sel:DWORD
	v_cndmask_b32_e64 v0, v0, v21, s[28:29]
	s_branch .LBB2_838
.LBB2_847:                              ;   in Loop: Header=BB2_603 Depth=2
	s_or_b64 exec, exec, s[34:35]
.LBB2_848:                              ;   in Loop: Header=BB2_603 Depth=2
	s_or_b64 exec, exec, s[30:31]
	v_lshlrev_b32_e32 v0, 8, v19
	v_cmp_ne_u32_e32 vcc, v15, v0
	s_and_saveexec_b64 s[62:63], vcc
	s_cbranch_execz .LBB2_858
; %bb.849:                              ;   in Loop: Header=BB2_603 Depth=2
	v_add_u32_e32 v4, v16, v18
	v_and_b32_e32 v4, 0xffffffc0, v4
	v_sub_u32_e32 v4, v16, v4
	v_lshlrev_b32_e32 v5, 6, v17
	v_sub_u32_e32 v4, v4, v5
	v_ashrrev_i32_e32 v5, 31, v4
	v_lshrrev_b32_e32 v5, 26, v5
	v_add_u32_e32 v5, v4, v5
	v_and_b32_e32 v8, 0x7fffffc0, v5
	v_sub_u32_e32 v4, v4, v8
	v_lshlrev_b32_e32 v5, 1, v5
	v_and_b32_e32 v5, 0xffffff80, v5
	v_lshlrev_b32_e32 v4, 1, v4
	v_add3_u32 v0, v5, v4, v0
	v_sub_u32_e32 v15, v15, v0
	v_cmp_lt_i32_e32 vcc, 1, v15
	s_and_b64 exec, exec, vcc
	s_cbranch_execz .LBB2_858
; %bb.850:                              ;   in Loop: Header=BB2_603 Depth=2
	s_trap 2
	ds_read_b128 v[8:11], v0
	v_add_u32_e32 v0, v0, v14
	v_ashrrev_i32_e32 v12, 31, v0
	s_and_b32 s46, s89, 1
	s_cmp_eq_u64 s[46:47], 0
	s_waitcnt lgkmcnt(0)
	v_add_co_u32_e32 v4, vcc, v8, v0
	v_addc_co_u32_e32 v5, vcc, v9, v12, vcc
	v_add_co_u32_e32 v8, vcc, v10, v0
	v_addc_co_u32_e32 v9, vcc, v11, v12, vcc
	s_mov_b64 s[64:65], 0
	s_cselect_b64 s[28:29], -1, 0
	v_pk_mov_b32 v[10:11], v[4:5], v[4:5] op_sel:[0,1]
	v_pk_mov_b32 v[12:13], v[8:9], v[8:9] op_sel:[0,1]
.LBB2_851:                              ;   Parent Loop BB2_47 Depth=1
                                        ;     Parent Loop BB2_603 Depth=2
                                        ; =>    This Loop Header: Depth=3
                                        ;         Child Loop BB2_856 Depth 4
	flat_load_ushort v0, v[10:11] glc slc
	flat_load_ushort v14, v[12:13] glc slc
	s_waitcnt vmcnt(0) lgkmcnt(0)
	v_lshlrev_b32_e32 v0, 16, v0
	v_lshlrev_b32_e32 v14, 16, v14
	v_max_f32_e32 v14, v14, v14
	v_max_f32_e32 v0, v0, v0
	v_min_f32_e32 v16, v0, v14
	v_max_f32_e32 v0, v0, v14
	v_cndmask_b32_e64 v14, v0, v16, s[28:29]
	v_and_b32_e32 v0, 0x7f800000, v14
	v_cmp_ne_u32_e32 vcc, s85, v0
                                        ; implicit-def: $vgpr0
	s_and_saveexec_b64 s[30:31], vcc
	s_xor_b64 vcc, exec, s[30:31]
; %bb.852:                              ;   in Loop: Header=BB2_851 Depth=3
	v_bfe_u32 v0, v14, 16, 1
	v_add3_u32 v0, v14, v0, s86
                                        ; implicit-def: $vgpr14
; %bb.853:                              ;   in Loop: Header=BB2_851 Depth=3
	s_andn2_saveexec_b64 s[30:31], vcc
; %bb.854:                              ;   in Loop: Header=BB2_851 Depth=3
	v_or_b32_e32 v0, 0x10000, v14
	v_cmp_eq_u32_sdwa vcc, v14, v52 src0_sel:WORD_0 src1_sel:DWORD
	v_cndmask_b32_e32 v0, v0, v14, vcc
; %bb.855:                              ;   in Loop: Header=BB2_851 Depth=3
	s_or_b64 exec, exec, s[30:31]
	v_lshrrev_b32_e32 v14, 16, v0
	s_mov_b64 s[66:67], 0
	s_mov_b64 s[68:69], -1
.LBB2_856:                              ;   Parent Loop BB2_47 Depth=1
                                        ;     Parent Loop BB2_603 Depth=2
                                        ;       Parent Loop BB2_851 Depth=3
                                        ; =>      This Inner Loop Header: Depth=4
	s_cmp_eq_u32 s66, 0
	s_cselect_b64 s[30:31], -1, 0
	s_cmp_eq_u32 s66, 1
	s_cselect_b64 s[36:37], -1, 0
	v_cndmask_b32_e64 v0, 0, 1, s[68:69]
	v_cndmask_b32_e64 v16, v4, v8, s[36:37]
	v_cmp_ne_u32_e64 s[34:35], 1, v0
	v_cndmask_b32_e64 v17, v5, v9, s[36:37]
	v_add_co_u32_e32 v0, vcc, 0x80, v16
	flat_store_short v[16:17], v14 glc slc
	v_addc_co_u32_e32 v16, vcc, 0, v17, vcc
	s_mov_b64 s[68:69], 0
	s_mov_b64 s[66:67], 1
	v_cndmask_b32_e64 v8, v8, v0, s[36:37]
	s_and_b64 vcc, exec, s[34:35]
	v_cndmask_b32_e64 v9, v9, v16, s[36:37]
	v_cndmask_b32_e64 v5, v5, v16, s[30:31]
	v_cndmask_b32_e64 v4, v4, v0, s[30:31]
	s_cbranch_vccz .LBB2_856
; %bb.857:                              ;   in Loop: Header=BB2_851 Depth=3
	v_add_co_u32_e32 v10, vcc, v10, v61
	v_addc_co_u32_e32 v11, vcc, v11, v28, vcc
	v_add_co_u32_e32 v12, vcc, v12, v61
	v_addc_co_u32_e32 v13, vcc, v13, v28, vcc
	v_accvgpr_read_b32 v0, a16
	v_add_co_u32_e32 v4, vcc, v4, v0
	v_accvgpr_read_b32 v7, a23
	v_addc_co_u32_e32 v5, vcc, v5, v7, vcc
	v_sub_u32_e32 v15, v15, v27
	v_cmp_gt_i32_e32 vcc, 2, v15
	s_or_b64 s[64:65], vcc, s[64:65]
	v_add_co_u32_e32 v8, vcc, v8, v0
	v_addc_co_u32_e32 v9, vcc, v9, v7, vcc
	s_andn2_b64 exec, exec, s[64:65]
	s_cbranch_execnz .LBB2_851
.LBB2_858:                              ;   in Loop: Header=BB2_603 Depth=2
	s_or_b64 exec, exec, s[62:63]
	s_or_b64 exec, exec, s[38:39]
	s_branch .LBB2_678
.LBB2_859:                              ;   in Loop: Header=BB2_603 Depth=2
	s_mov_b64 s[30:31], -1
	s_and_saveexec_b64 s[28:29], s[22:23]
	s_cbranch_execz .LBB2_861
; %bb.860:                              ;   in Loop: Header=BB2_603 Depth=2
	ds_read_b32 v0, v0 offset:720
	s_waitcnt lgkmcnt(0)
	v_and_b32_e32 v0, 15, v0
	v_cmp_eq_u32_e32 vcc, 0, v0
	s_orn2_b64 s[30:31], vcc, exec
.LBB2_861:                              ;   in Loop: Header=BB2_603 Depth=2
	s_or_b64 exec, exec, s[28:29]
	s_and_saveexec_b64 s[28:29], s[18:19]
	s_cbranch_execz .LBB2_863
; %bb.862:                              ;   in Loop: Header=BB2_603 Depth=2
	ds_read_b32 v0, v0 offset:784
	s_waitcnt lgkmcnt(0)
	v_and_b32_e32 v0, 15, v0
	v_cmp_eq_u32_e32 vcc, 0, v0
	s_and_b64 vcc, s[30:31], vcc
	s_andn2_b64 s[30:31], s[30:31], exec
	s_and_b64 vcc, vcc, exec
	s_or_b64 s[30:31], s[30:31], vcc
.LBB2_863:                              ;   in Loop: Header=BB2_603 Depth=2
	s_or_b64 exec, exec, s[28:29]
	s_xor_b64 vcc, s[30:31], -1
	v_cndmask_b32_e64 v0, 0, 1, vcc
	s_mov_b64 s[28:29], -1
	;;#ASMSTART
	;;#ASMEND
	v_cmp_ne_u32_e32 vcc, 0, v0
	v_mov_b32_e32 v12, 0
	s_cbranch_vccz .LBB2_866
; %bb.864:                              ;   in Loop: Header=BB2_603 Depth=2
	v_mov_b32_e32 v13, v56
	v_mov_b32_e32 v4, v57
	s_and_saveexec_b64 s[30:31], s[28:29]
	s_cbranch_execnz .LBB2_975
.LBB2_865:                              ;   in Loop: Header=BB2_603 Depth=2
	s_or_b64 exec, exec, s[30:31]
	s_and_saveexec_b64 s[28:29], s[10:11]
	s_cbranch_execnz .LBB2_679
	s_branch .LBB2_765
.LBB2_866:                              ;   in Loop: Header=BB2_603 Depth=2
	v_ashrrev_i32_e32 v0, 31, v25
	v_lshrrev_b32_e32 v0, 21, v0
	v_add_u32_e32 v0, v25, v0
	v_ashrrev_i32_e32 v40, 11, v0
	v_sub_u32_e32 v53, v40, v57
	v_cmp_lt_i32_e32 vcc, 0, v53
	s_and_saveexec_b64 s[30:31], vcc
	s_cbranch_execz .LBB2_934
; %bb.867:                              ;   in Loop: Header=BB2_603 Depth=2
	s_trap 2
	ds_read_b128 v[8:11], v0
	ds_read_b64 v[12:13], v0
	v_accvgpr_read_b32 v0, a26
	v_accvgpr_read_b32 v7, a27
	s_and_b32 s46, s89, 1
	s_waitcnt lgkmcnt(0)
	v_add_co_u32_e32 v4, vcc, v8, v0
	v_addc_co_u32_e32 v5, vcc, v9, v7, vcc
	v_add_co_u32_e32 v58, vcc, v10, v0
	v_addc_co_u32_e32 v59, vcc, v11, v7, vcc
	;; [unrolled: 2-line block ×3, first 2 shown]
	s_cmp_eq_u64 s[46:47], 0
	s_mov_b64 s[34:35], 0
	s_cselect_b64 vcc, -1, 0
	s_branch .LBB2_869
.LBB2_868:                              ;   in Loop: Header=BB2_869 Depth=3
	s_or_b64 exec, exec, s[36:37]
	v_lshrrev_b32_e32 v0, 16, v20
	v_and_or_b32 v17, v17, s87, v0
	v_lshrrev_b32_e32 v0, 16, v41
	v_and_or_b32 v16, v16, s87, v0
	;; [unrolled: 2-line block ×3, first 2 shown]
	v_lshrrev_b32_e32 v0, 16, v22
	v_add_co_u32_e64 v4, s[28:29], v4, v29
	v_and_or_b32 v19, v19, s87, v0
	v_lshrrev_b32_e32 v0, 16, v12
	v_addc_co_u32_e64 v5, s[28:29], v5, v46, s[28:29]
	v_and_or_b32 v9, v9, s87, v0
	v_lshrrev_b32_e32 v0, 16, v23
	v_add_co_u32_e64 v58, s[28:29], v58, v29
	v_and_or_b32 v8, v8, s87, v0
	v_lshrrev_b32_e32 v0, 16, v13
	v_addc_co_u32_e64 v59, s[28:29], v59, v46, s[28:29]
	v_sub_u32_e32 v53, v53, v54
	v_and_or_b32 v10, v10, s87, v0
	v_lshrrev_b32_e32 v0, 16, v14
	v_cmp_gt_i32_e64 s[28:29], 1, v53
	v_and_or_b32 v11, v11, s87, v0
	global_store_dwordx4 v[56:57], v[16:19], off glc slc
	global_store_dwordx4 v[56:57], v[8:11], off offset:1024 glc slc
	s_or_b64 s[34:35], s[28:29], s[34:35]
	v_add_co_u32_e64 v56, s[28:29], v56, v29
	v_addc_co_u32_e64 v57, s[28:29], v57, v46, s[28:29]
	s_andn2_b64 exec, exec, s[34:35]
	s_cbranch_execz .LBB2_933
.LBB2_869:                              ;   Parent Loop BB2_47 Depth=1
                                        ;     Parent Loop BB2_603 Depth=2
                                        ; =>    This Inner Loop Header: Depth=3
	global_load_dwordx4 v[16:19], v[4:5], off glc slc
	global_load_dwordx4 v[20:23], v[58:59], off glc slc
	global_load_dwordx4 v[8:11], v[4:5], off offset:1024 glc slc
	global_load_dwordx4 v[12:15], v[58:59], off offset:1024 glc slc
	s_waitcnt vmcnt(0)
	v_lshlrev_b32_e32 v0, 16, v16
	v_lshlrev_b32_e32 v39, 16, v20
	v_max_f32_e32 v39, v39, v39
	v_max_f32_e32 v0, v0, v0
	v_min_f32_e32 v41, v0, v39
	v_max_f32_e32 v0, v0, v39
	v_cndmask_b32_e32 v39, v0, v41, vcc
	v_and_b32_e32 v0, 0x7f800000, v39
	v_cmp_ne_u32_e64 s[28:29], s85, v0
                                        ; implicit-def: $vgpr41
	s_and_saveexec_b64 s[36:37], s[28:29]
	s_xor_b64 s[28:29], exec, s[36:37]
; %bb.870:                              ;   in Loop: Header=BB2_869 Depth=3
	v_bfe_u32 v0, v39, 16, 1
	v_add3_u32 v41, v39, v0, s86
                                        ; implicit-def: $vgpr39
; %bb.871:                              ;   in Loop: Header=BB2_869 Depth=3
	s_andn2_saveexec_b64 s[36:37], s[28:29]
; %bb.872:                              ;   in Loop: Header=BB2_869 Depth=3
	v_or_b32_e32 v0, 0x10000, v39
	v_cmp_eq_u32_sdwa s[28:29], v39, v52 src0_sel:WORD_0 src1_sel:DWORD
	v_cndmask_b32_e64 v41, v0, v39, s[28:29]
; %bb.873:                              ;   in Loop: Header=BB2_869 Depth=3
	s_or_b64 exec, exec, s[36:37]
	v_and_b32_e32 v0, 0xffff0000, v16
	v_and_b32_e32 v16, 0xffff0000, v20
	v_max_f32_e32 v16, v16, v16
	v_max_f32_e32 v0, v0, v0
	v_min_f32_e32 v20, v0, v16
	v_max_f32_e32 v0, v0, v16
	v_cndmask_b32_e32 v20, v0, v20, vcc
	v_and_b32_e32 v0, 0x7f800000, v20
	v_cmp_ne_u32_e64 s[28:29], s85, v0
                                        ; implicit-def: $vgpr16
	s_and_saveexec_b64 s[36:37], s[28:29]
	s_xor_b64 s[28:29], exec, s[36:37]
; %bb.874:                              ;   in Loop: Header=BB2_869 Depth=3
	v_bfe_u32 v0, v20, 16, 1
	v_add3_u32 v16, v20, v0, s86
                                        ; implicit-def: $vgpr20
; %bb.875:                              ;   in Loop: Header=BB2_869 Depth=3
	s_andn2_saveexec_b64 s[36:37], s[28:29]
; %bb.876:                              ;   in Loop: Header=BB2_869 Depth=3
	v_or_b32_e32 v0, 0x10000, v20
	v_cmp_eq_u32_sdwa s[28:29], v20, v52 src0_sel:WORD_0 src1_sel:DWORD
	v_cndmask_b32_e64 v16, v0, v20, s[28:29]
; %bb.877:                              ;   in Loop: Header=BB2_869 Depth=3
	s_or_b64 exec, exec, s[36:37]
	v_lshlrev_b32_e32 v0, 16, v17
	v_lshlrev_b32_e32 v20, 16, v21
	v_max_f32_e32 v20, v20, v20
	v_max_f32_e32 v0, v0, v0
	v_min_f32_e32 v39, v0, v20
	v_max_f32_e32 v0, v0, v20
	v_cndmask_b32_e32 v39, v0, v39, vcc
	v_and_b32_e32 v0, 0x7f800000, v39
	v_cmp_ne_u32_e64 s[28:29], s85, v0
                                        ; implicit-def: $vgpr20
	s_and_saveexec_b64 s[36:37], s[28:29]
	s_xor_b64 s[28:29], exec, s[36:37]
; %bb.878:                              ;   in Loop: Header=BB2_869 Depth=3
	v_bfe_u32 v0, v39, 16, 1
	v_add3_u32 v20, v39, v0, s86
                                        ; implicit-def: $vgpr39
; %bb.879:                              ;   in Loop: Header=BB2_869 Depth=3
	s_andn2_saveexec_b64 s[36:37], s[28:29]
; %bb.880:                              ;   in Loop: Header=BB2_869 Depth=3
	v_or_b32_e32 v0, 0x10000, v39
	v_cmp_eq_u32_sdwa s[28:29], v39, v52 src0_sel:WORD_0 src1_sel:DWORD
	v_cndmask_b32_e64 v20, v0, v39, s[28:29]
; %bb.881:                              ;   in Loop: Header=BB2_869 Depth=3
	s_or_b64 exec, exec, s[36:37]
	v_and_b32_e32 v0, 0xffff0000, v17
	v_and_b32_e32 v17, 0xffff0000, v21
	v_max_f32_e32 v17, v17, v17
	v_max_f32_e32 v0, v0, v0
	v_min_f32_e32 v21, v0, v17
	v_max_f32_e32 v0, v0, v17
	v_cndmask_b32_e32 v21, v0, v21, vcc
	v_and_b32_e32 v0, 0x7f800000, v21
	v_cmp_ne_u32_e64 s[28:29], s85, v0
                                        ; implicit-def: $vgpr17
	s_and_saveexec_b64 s[36:37], s[28:29]
	s_xor_b64 s[28:29], exec, s[36:37]
; %bb.882:                              ;   in Loop: Header=BB2_869 Depth=3
	v_bfe_u32 v0, v21, 16, 1
	v_add3_u32 v17, v21, v0, s86
                                        ; implicit-def: $vgpr21
; %bb.883:                              ;   in Loop: Header=BB2_869 Depth=3
	s_andn2_saveexec_b64 s[36:37], s[28:29]
; %bb.884:                              ;   in Loop: Header=BB2_869 Depth=3
	v_or_b32_e32 v0, 0x10000, v21
	v_cmp_eq_u32_sdwa s[28:29], v21, v52 src0_sel:WORD_0 src1_sel:DWORD
	v_cndmask_b32_e64 v17, v0, v21, s[28:29]
; %bb.885:                              ;   in Loop: Header=BB2_869 Depth=3
	s_or_b64 exec, exec, s[36:37]
	v_lshlrev_b32_e32 v0, 16, v18
	v_lshlrev_b32_e32 v21, 16, v22
	v_max_f32_e32 v21, v21, v21
	v_max_f32_e32 v0, v0, v0
	v_min_f32_e32 v39, v0, v21
	v_max_f32_e32 v0, v0, v21
	v_cndmask_b32_e32 v39, v0, v39, vcc
	v_and_b32_e32 v0, 0x7f800000, v39
	v_cmp_ne_u32_e64 s[28:29], s85, v0
                                        ; implicit-def: $vgpr21
	s_and_saveexec_b64 s[36:37], s[28:29]
	s_xor_b64 s[28:29], exec, s[36:37]
; %bb.886:                              ;   in Loop: Header=BB2_869 Depth=3
	v_bfe_u32 v0, v39, 16, 1
	v_add3_u32 v21, v39, v0, s86
                                        ; implicit-def: $vgpr39
; %bb.887:                              ;   in Loop: Header=BB2_869 Depth=3
	s_andn2_saveexec_b64 s[36:37], s[28:29]
; %bb.888:                              ;   in Loop: Header=BB2_869 Depth=3
	v_or_b32_e32 v0, 0x10000, v39
	v_cmp_eq_u32_sdwa s[28:29], v39, v52 src0_sel:WORD_0 src1_sel:DWORD
	v_cndmask_b32_e64 v21, v0, v39, s[28:29]
; %bb.889:                              ;   in Loop: Header=BB2_869 Depth=3
	s_or_b64 exec, exec, s[36:37]
	v_and_b32_e32 v0, 0xffff0000, v18
	v_and_b32_e32 v18, 0xffff0000, v22
	v_max_f32_e32 v18, v18, v18
	v_max_f32_e32 v0, v0, v0
	v_min_f32_e32 v22, v0, v18
	v_max_f32_e32 v0, v0, v18
	v_cndmask_b32_e32 v22, v0, v22, vcc
	v_and_b32_e32 v0, 0x7f800000, v22
	v_cmp_ne_u32_e64 s[28:29], s85, v0
                                        ; implicit-def: $vgpr18
	s_and_saveexec_b64 s[36:37], s[28:29]
	s_xor_b64 s[28:29], exec, s[36:37]
; %bb.890:                              ;   in Loop: Header=BB2_869 Depth=3
	v_bfe_u32 v0, v22, 16, 1
	v_add3_u32 v18, v22, v0, s86
                                        ; implicit-def: $vgpr22
; %bb.891:                              ;   in Loop: Header=BB2_869 Depth=3
	s_andn2_saveexec_b64 s[36:37], s[28:29]
; %bb.892:                              ;   in Loop: Header=BB2_869 Depth=3
	v_or_b32_e32 v0, 0x10000, v22
	v_cmp_eq_u32_sdwa s[28:29], v22, v52 src0_sel:WORD_0 src1_sel:DWORD
	v_cndmask_b32_e64 v18, v0, v22, s[28:29]
; %bb.893:                              ;   in Loop: Header=BB2_869 Depth=3
	s_or_b64 exec, exec, s[36:37]
	v_lshlrev_b32_e32 v0, 16, v19
	v_lshlrev_b32_e32 v22, 16, v23
	v_max_f32_e32 v22, v22, v22
	v_max_f32_e32 v0, v0, v0
	v_min_f32_e32 v39, v0, v22
	v_max_f32_e32 v0, v0, v22
	v_cndmask_b32_e32 v39, v0, v39, vcc
	v_and_b32_e32 v0, 0x7f800000, v39
	v_cmp_ne_u32_e64 s[28:29], s85, v0
                                        ; implicit-def: $vgpr22
	s_and_saveexec_b64 s[36:37], s[28:29]
	s_xor_b64 s[28:29], exec, s[36:37]
; %bb.894:                              ;   in Loop: Header=BB2_869 Depth=3
	v_bfe_u32 v0, v39, 16, 1
	v_add3_u32 v22, v39, v0, s86
                                        ; implicit-def: $vgpr39
; %bb.895:                              ;   in Loop: Header=BB2_869 Depth=3
	s_andn2_saveexec_b64 s[36:37], s[28:29]
; %bb.896:                              ;   in Loop: Header=BB2_869 Depth=3
	v_or_b32_e32 v0, 0x10000, v39
	v_cmp_eq_u32_sdwa s[28:29], v39, v52 src0_sel:WORD_0 src1_sel:DWORD
	v_cndmask_b32_e64 v22, v0, v39, s[28:29]
; %bb.897:                              ;   in Loop: Header=BB2_869 Depth=3
	s_or_b64 exec, exec, s[36:37]
	v_and_b32_e32 v0, 0xffff0000, v19
	v_and_b32_e32 v19, 0xffff0000, v23
	v_max_f32_e32 v19, v19, v19
	v_max_f32_e32 v0, v0, v0
	v_min_f32_e32 v23, v0, v19
	v_max_f32_e32 v0, v0, v19
	v_cndmask_b32_e32 v23, v0, v23, vcc
	v_and_b32_e32 v0, 0x7f800000, v23
	v_cmp_ne_u32_e64 s[28:29], s85, v0
                                        ; implicit-def: $vgpr19
	s_and_saveexec_b64 s[36:37], s[28:29]
	s_xor_b64 s[28:29], exec, s[36:37]
; %bb.898:                              ;   in Loop: Header=BB2_869 Depth=3
	v_bfe_u32 v0, v23, 16, 1
	v_add3_u32 v19, v23, v0, s86
                                        ; implicit-def: $vgpr23
; %bb.899:                              ;   in Loop: Header=BB2_869 Depth=3
	s_andn2_saveexec_b64 s[36:37], s[28:29]
; %bb.900:                              ;   in Loop: Header=BB2_869 Depth=3
	v_or_b32_e32 v0, 0x10000, v23
	v_cmp_eq_u32_sdwa s[28:29], v23, v52 src0_sel:WORD_0 src1_sel:DWORD
	v_cndmask_b32_e64 v19, v0, v23, s[28:29]
; %bb.901:                              ;   in Loop: Header=BB2_869 Depth=3
	s_or_b64 exec, exec, s[36:37]
	v_lshlrev_b32_e32 v0, 16, v8
	v_lshlrev_b32_e32 v23, 16, v12
	v_max_f32_e32 v23, v23, v23
	v_max_f32_e32 v0, v0, v0
	v_min_f32_e32 v39, v0, v23
	v_max_f32_e32 v0, v0, v23
	v_cndmask_b32_e32 v39, v0, v39, vcc
	v_and_b32_e32 v0, 0x7f800000, v39
	v_cmp_ne_u32_e64 s[28:29], s85, v0
                                        ; implicit-def: $vgpr23
	s_and_saveexec_b64 s[36:37], s[28:29]
	s_xor_b64 s[28:29], exec, s[36:37]
; %bb.902:                              ;   in Loop: Header=BB2_869 Depth=3
	v_bfe_u32 v0, v39, 16, 1
	v_add3_u32 v23, v39, v0, s86
                                        ; implicit-def: $vgpr39
; %bb.903:                              ;   in Loop: Header=BB2_869 Depth=3
	s_andn2_saveexec_b64 s[36:37], s[28:29]
; %bb.904:                              ;   in Loop: Header=BB2_869 Depth=3
	v_or_b32_e32 v0, 0x10000, v39
	v_cmp_eq_u32_sdwa s[28:29], v39, v52 src0_sel:WORD_0 src1_sel:DWORD
	v_cndmask_b32_e64 v23, v0, v39, s[28:29]
; %bb.905:                              ;   in Loop: Header=BB2_869 Depth=3
	s_or_b64 exec, exec, s[36:37]
	v_and_b32_e32 v0, 0xffff0000, v8
	v_and_b32_e32 v8, 0xffff0000, v12
	v_max_f32_e32 v8, v8, v8
	v_max_f32_e32 v0, v0, v0
	v_min_f32_e32 v12, v0, v8
	v_max_f32_e32 v0, v0, v8
	v_cndmask_b32_e32 v12, v0, v12, vcc
	v_and_b32_e32 v0, 0x7f800000, v12
	v_cmp_ne_u32_e64 s[28:29], s85, v0
                                        ; implicit-def: $vgpr8
	s_and_saveexec_b64 s[36:37], s[28:29]
	s_xor_b64 s[28:29], exec, s[36:37]
; %bb.906:                              ;   in Loop: Header=BB2_869 Depth=3
	v_bfe_u32 v0, v12, 16, 1
	v_add3_u32 v8, v12, v0, s86
                                        ; implicit-def: $vgpr12
; %bb.907:                              ;   in Loop: Header=BB2_869 Depth=3
	s_andn2_saveexec_b64 s[36:37], s[28:29]
; %bb.908:                              ;   in Loop: Header=BB2_869 Depth=3
	v_or_b32_e32 v0, 0x10000, v12
	v_cmp_eq_u32_sdwa s[28:29], v12, v52 src0_sel:WORD_0 src1_sel:DWORD
	v_cndmask_b32_e64 v8, v0, v12, s[28:29]
; %bb.909:                              ;   in Loop: Header=BB2_869 Depth=3
	s_or_b64 exec, exec, s[36:37]
	v_lshlrev_b32_e32 v0, 16, v9
	v_lshlrev_b32_e32 v12, 16, v13
	v_max_f32_e32 v12, v12, v12
	v_max_f32_e32 v0, v0, v0
	v_min_f32_e32 v39, v0, v12
	v_max_f32_e32 v0, v0, v12
	v_cndmask_b32_e32 v39, v0, v39, vcc
	v_and_b32_e32 v0, 0x7f800000, v39
	v_cmp_ne_u32_e64 s[28:29], s85, v0
                                        ; implicit-def: $vgpr12
	s_and_saveexec_b64 s[36:37], s[28:29]
	s_xor_b64 s[28:29], exec, s[36:37]
; %bb.910:                              ;   in Loop: Header=BB2_869 Depth=3
	v_bfe_u32 v0, v39, 16, 1
	v_add3_u32 v12, v39, v0, s86
                                        ; implicit-def: $vgpr39
; %bb.911:                              ;   in Loop: Header=BB2_869 Depth=3
	s_andn2_saveexec_b64 s[36:37], s[28:29]
; %bb.912:                              ;   in Loop: Header=BB2_869 Depth=3
	v_or_b32_e32 v0, 0x10000, v39
	v_cmp_eq_u32_sdwa s[28:29], v39, v52 src0_sel:WORD_0 src1_sel:DWORD
	v_cndmask_b32_e64 v12, v0, v39, s[28:29]
; %bb.913:                              ;   in Loop: Header=BB2_869 Depth=3
	s_or_b64 exec, exec, s[36:37]
	v_and_b32_e32 v0, 0xffff0000, v9
	v_and_b32_e32 v9, 0xffff0000, v13
	v_max_f32_e32 v9, v9, v9
	v_max_f32_e32 v0, v0, v0
	v_min_f32_e32 v13, v0, v9
	v_max_f32_e32 v0, v0, v9
	v_cndmask_b32_e32 v13, v0, v13, vcc
	v_and_b32_e32 v0, 0x7f800000, v13
	v_cmp_ne_u32_e64 s[28:29], s85, v0
                                        ; implicit-def: $vgpr9
	s_and_saveexec_b64 s[36:37], s[28:29]
	s_xor_b64 s[28:29], exec, s[36:37]
; %bb.914:                              ;   in Loop: Header=BB2_869 Depth=3
	v_bfe_u32 v0, v13, 16, 1
	v_add3_u32 v9, v13, v0, s86
                                        ; implicit-def: $vgpr13
; %bb.915:                              ;   in Loop: Header=BB2_869 Depth=3
	s_andn2_saveexec_b64 s[36:37], s[28:29]
; %bb.916:                              ;   in Loop: Header=BB2_869 Depth=3
	v_or_b32_e32 v0, 0x10000, v13
	v_cmp_eq_u32_sdwa s[28:29], v13, v52 src0_sel:WORD_0 src1_sel:DWORD
	v_cndmask_b32_e64 v9, v0, v13, s[28:29]
; %bb.917:                              ;   in Loop: Header=BB2_869 Depth=3
	s_or_b64 exec, exec, s[36:37]
	v_lshlrev_b32_e32 v0, 16, v10
	v_lshlrev_b32_e32 v13, 16, v14
	v_max_f32_e32 v13, v13, v13
	v_max_f32_e32 v0, v0, v0
	v_min_f32_e32 v39, v0, v13
	v_max_f32_e32 v0, v0, v13
	v_cndmask_b32_e32 v39, v0, v39, vcc
	v_and_b32_e32 v0, 0x7f800000, v39
	v_cmp_ne_u32_e64 s[28:29], s85, v0
                                        ; implicit-def: $vgpr13
	s_and_saveexec_b64 s[36:37], s[28:29]
	s_xor_b64 s[28:29], exec, s[36:37]
; %bb.918:                              ;   in Loop: Header=BB2_869 Depth=3
	v_bfe_u32 v0, v39, 16, 1
	v_add3_u32 v13, v39, v0, s86
                                        ; implicit-def: $vgpr39
; %bb.919:                              ;   in Loop: Header=BB2_869 Depth=3
	s_andn2_saveexec_b64 s[36:37], s[28:29]
; %bb.920:                              ;   in Loop: Header=BB2_869 Depth=3
	v_or_b32_e32 v0, 0x10000, v39
	v_cmp_eq_u32_sdwa s[28:29], v39, v52 src0_sel:WORD_0 src1_sel:DWORD
	v_cndmask_b32_e64 v13, v0, v39, s[28:29]
; %bb.921:                              ;   in Loop: Header=BB2_869 Depth=3
	s_or_b64 exec, exec, s[36:37]
	v_and_b32_e32 v0, 0xffff0000, v10
	v_and_b32_e32 v10, 0xffff0000, v14
	v_max_f32_e32 v10, v10, v10
	v_max_f32_e32 v0, v0, v0
	v_min_f32_e32 v14, v0, v10
	v_max_f32_e32 v0, v0, v10
	v_cndmask_b32_e32 v14, v0, v14, vcc
	v_and_b32_e32 v0, 0x7f800000, v14
	v_cmp_ne_u32_e64 s[28:29], s85, v0
                                        ; implicit-def: $vgpr10
	s_and_saveexec_b64 s[36:37], s[28:29]
	s_xor_b64 s[28:29], exec, s[36:37]
; %bb.922:                              ;   in Loop: Header=BB2_869 Depth=3
	v_bfe_u32 v0, v14, 16, 1
	v_add3_u32 v10, v14, v0, s86
                                        ; implicit-def: $vgpr14
; %bb.923:                              ;   in Loop: Header=BB2_869 Depth=3
	s_andn2_saveexec_b64 s[36:37], s[28:29]
; %bb.924:                              ;   in Loop: Header=BB2_869 Depth=3
	v_or_b32_e32 v0, 0x10000, v14
	v_cmp_eq_u32_sdwa s[28:29], v14, v52 src0_sel:WORD_0 src1_sel:DWORD
	v_cndmask_b32_e64 v10, v0, v14, s[28:29]
; %bb.925:                              ;   in Loop: Header=BB2_869 Depth=3
	s_or_b64 exec, exec, s[36:37]
	v_lshlrev_b32_e32 v0, 16, v11
	v_lshlrev_b32_e32 v14, 16, v15
	v_max_f32_e32 v14, v14, v14
	v_max_f32_e32 v0, v0, v0
	v_min_f32_e32 v39, v0, v14
	v_max_f32_e32 v0, v0, v14
	v_cndmask_b32_e32 v39, v0, v39, vcc
	v_and_b32_e32 v0, 0x7f800000, v39
	v_cmp_ne_u32_e64 s[28:29], s85, v0
                                        ; implicit-def: $vgpr14
	s_and_saveexec_b64 s[36:37], s[28:29]
	s_xor_b64 s[28:29], exec, s[36:37]
; %bb.926:                              ;   in Loop: Header=BB2_869 Depth=3
	v_bfe_u32 v0, v39, 16, 1
	v_add3_u32 v14, v39, v0, s86
                                        ; implicit-def: $vgpr39
; %bb.927:                              ;   in Loop: Header=BB2_869 Depth=3
	s_andn2_saveexec_b64 s[36:37], s[28:29]
; %bb.928:                              ;   in Loop: Header=BB2_869 Depth=3
	v_or_b32_e32 v0, 0x10000, v39
	v_cmp_eq_u32_sdwa s[28:29], v39, v52 src0_sel:WORD_0 src1_sel:DWORD
	v_cndmask_b32_e64 v14, v0, v39, s[28:29]
; %bb.929:                              ;   in Loop: Header=BB2_869 Depth=3
	s_or_b64 exec, exec, s[36:37]
	v_and_b32_e32 v0, 0xffff0000, v11
	v_and_b32_e32 v11, 0xffff0000, v15
	v_max_f32_e32 v11, v11, v11
	v_max_f32_e32 v0, v0, v0
	v_min_f32_e32 v15, v0, v11
	v_max_f32_e32 v0, v0, v11
	v_cndmask_b32_e32 v15, v0, v15, vcc
	v_and_b32_e32 v0, 0x7f800000, v15
	v_cmp_ne_u32_e64 s[28:29], s85, v0
                                        ; implicit-def: $vgpr11
	s_and_saveexec_b64 s[36:37], s[28:29]
	s_xor_b64 s[28:29], exec, s[36:37]
; %bb.930:                              ;   in Loop: Header=BB2_869 Depth=3
	v_bfe_u32 v0, v15, 16, 1
	v_add3_u32 v11, v15, v0, s86
                                        ; implicit-def: $vgpr15
; %bb.931:                              ;   in Loop: Header=BB2_869 Depth=3
	s_andn2_saveexec_b64 s[36:37], s[28:29]
	s_cbranch_execz .LBB2_868
; %bb.932:                              ;   in Loop: Header=BB2_869 Depth=3
	v_or_b32_e32 v0, 0x10000, v15
	v_cmp_eq_u32_sdwa s[28:29], v15, v52 src0_sel:WORD_0 src1_sel:DWORD
	v_cndmask_b32_e64 v11, v0, v15, s[28:29]
	s_branch .LBB2_868
.LBB2_933:                              ;   in Loop: Header=BB2_603 Depth=2
	s_or_b64 exec, exec, s[34:35]
	v_accvgpr_read_b32 v59, a15
	v_accvgpr_read_b32 v56, a3
	;; [unrolled: 1-line block ×4, first 2 shown]
.LBB2_934:                              ;   in Loop: Header=BB2_603 Depth=2
	s_or_b64 exec, exec, s[30:31]
	v_lshlrev_b32_e32 v20, 11, v40
	v_cmp_ne_u32_e32 vcc, v25, v20
	s_mov_b64 s[28:29], 0
	v_mov_b32_e32 v12, 0
                                        ; implicit-def: $vgpr13
                                        ; implicit-def: $vgpr4
	s_and_saveexec_b64 s[34:35], vcc
	s_cbranch_execz .LBB2_974
; %bb.935:                              ;   in Loop: Header=BB2_603 Depth=2
	v_lshlrev_b32_e32 v0, 6, v53
	v_accvgpr_read_b32 v5, a24
	v_sub_u32_e32 v0, v5, v0
	v_ashrrev_i32_e32 v5, 31, v0
	v_lshrrev_b32_e32 v5, 26, v5
	v_add_u32_e32 v5, v0, v5
	v_sub_u32_e32 v4, v25, v20
	v_ashrrev_i32_e32 v8, 6, v5
	v_and_b32_e32 v5, 0xffffffc0, v5
	v_sub_u32_e32 v21, v0, v5
	v_ashrrev_i32_e32 v5, 31, v4
	v_lshrrev_b32_e32 v5, 22, v5
	v_add_u32_e32 v5, v4, v5
	v_and_b32_e32 v22, 0xfffffc00, v5
	v_lshlrev_b32_e32 v0, 4, v21
	v_sub_u32_e32 v39, v4, v22
	v_lshl_add_u32 v0, v8, 10, v0
	v_ashrrev_i32_e32 v9, 10, v5
	v_cmp_lt_i32_e32 vcc, 15, v39
	v_sub_u32_e32 v53, v4, v0
	v_addc_co_u32_e64 v4, s[28:29], 0, v9, vcc
	v_sub_u32_e32 v23, v4, v8
	v_cmp_lt_i32_e64 s[28:29], 15, v53
	s_and_saveexec_b64 s[36:37], s[28:29]
	s_cbranch_execz .LBB2_971
; %bb.936:                              ;   in Loop: Header=BB2_603 Depth=2
	s_trap 2
	ds_read_b128 v[8:11], v0
	v_add_u32_e32 v0, v0, v20
	ds_read_b64 v[12:13], v0
	v_ashrrev_i32_e32 v14, 31, v0
	s_and_b32 s46, s89, 1
	s_waitcnt lgkmcnt(0)
	v_add_co_u32_e64 v4, s[28:29], v8, v0
	v_addc_co_u32_e64 v5, s[28:29], v9, v14, s[28:29]
	v_add_co_u32_e64 v16, s[28:29], v10, v0
	v_addc_co_u32_e64 v17, s[28:29], v11, v14, s[28:29]
	;; [unrolled: 2-line block ×3, first 2 shown]
	s_cmp_eq_u64 s[46:47], 0
	s_mov_b64 s[38:39], 0
	s_cselect_b64 s[28:29], -1, 0
	s_branch .LBB2_938
.LBB2_937:                              ;   in Loop: Header=BB2_938 Depth=3
	s_or_b64 exec, exec, s[62:63]
	v_lshrrev_b32_e32 v0, 16, v12
	v_and_or_b32 v9, v9, s87, v0
	v_lshrrev_b32_e32 v0, 16, v40
	v_add_co_u32_e64 v4, s[30:31], v4, v1
	v_and_or_b32 v8, v8, s87, v0
	v_lshrrev_b32_e32 v0, 16, v13
	v_addc_co_u32_e64 v5, s[30:31], v5, v60, s[30:31]
	v_and_or_b32 v10, v10, s87, v0
	v_lshrrev_b32_e32 v0, 16, v14
	v_add_co_u32_e64 v16, s[30:31], v16, v1
	v_and_or_b32 v11, v11, s87, v0
	v_addc_co_u32_e64 v17, s[30:31], v17, v60, s[30:31]
	global_store_dwordx4 v[18:19], v[8:11], off glc slc
	v_add_co_u32_e64 v18, s[30:31], v18, v1
	v_addc_co_u32_e64 v19, s[30:31], v19, v60, s[30:31]
	v_sub_u32_e32 v53, v53, v26
	v_cmp_gt_i32_e64 s[30:31], 16, v53
	s_or_b64 s[38:39], s[30:31], s[38:39]
	v_sub_u32_e32 v23, v23, v54
	s_andn2_b64 exec, exec, s[38:39]
	s_cbranch_execz .LBB2_970
.LBB2_938:                              ;   Parent Loop BB2_47 Depth=1
                                        ;     Parent Loop BB2_603 Depth=2
                                        ; =>    This Inner Loop Header: Depth=3
	global_load_dwordx4 v[8:11], v[4:5], off glc slc
	global_load_dwordx4 v[12:15], v[16:17], off glc slc
	s_waitcnt vmcnt(0)
	v_lshlrev_b32_e32 v0, 16, v8
	v_lshlrev_b32_e32 v40, 16, v12
	v_max_f32_e32 v40, v40, v40
	v_max_f32_e32 v0, v0, v0
	v_min_f32_e32 v41, v0, v40
	v_max_f32_e32 v0, v0, v40
	v_cndmask_b32_e64 v41, v0, v41, s[28:29]
	v_and_b32_e32 v0, 0x7f800000, v41
	v_cmp_ne_u32_e64 s[30:31], s85, v0
                                        ; implicit-def: $vgpr40
	s_and_saveexec_b64 s[62:63], s[30:31]
	s_xor_b64 s[30:31], exec, s[62:63]
; %bb.939:                              ;   in Loop: Header=BB2_938 Depth=3
	v_bfe_u32 v0, v41, 16, 1
	v_add3_u32 v40, v41, v0, s86
                                        ; implicit-def: $vgpr41
; %bb.940:                              ;   in Loop: Header=BB2_938 Depth=3
	s_andn2_saveexec_b64 s[62:63], s[30:31]
; %bb.941:                              ;   in Loop: Header=BB2_938 Depth=3
	v_or_b32_e32 v0, 0x10000, v41
	v_cmp_eq_u32_sdwa s[30:31], v41, v52 src0_sel:WORD_0 src1_sel:DWORD
	v_cndmask_b32_e64 v40, v0, v41, s[30:31]
; %bb.942:                              ;   in Loop: Header=BB2_938 Depth=3
	s_or_b64 exec, exec, s[62:63]
	v_and_b32_e32 v0, 0xffff0000, v8
	v_and_b32_e32 v8, 0xffff0000, v12
	v_max_f32_e32 v8, v8, v8
	v_max_f32_e32 v0, v0, v0
	v_min_f32_e32 v12, v0, v8
	v_max_f32_e32 v0, v0, v8
	v_cndmask_b32_e64 v12, v0, v12, s[28:29]
	v_and_b32_e32 v0, 0x7f800000, v12
	v_cmp_ne_u32_e64 s[30:31], s85, v0
                                        ; implicit-def: $vgpr8
	s_and_saveexec_b64 s[62:63], s[30:31]
	s_xor_b64 s[30:31], exec, s[62:63]
; %bb.943:                              ;   in Loop: Header=BB2_938 Depth=3
	v_bfe_u32 v0, v12, 16, 1
	v_add3_u32 v8, v12, v0, s86
                                        ; implicit-def: $vgpr12
; %bb.944:                              ;   in Loop: Header=BB2_938 Depth=3
	s_andn2_saveexec_b64 s[62:63], s[30:31]
; %bb.945:                              ;   in Loop: Header=BB2_938 Depth=3
	v_or_b32_e32 v0, 0x10000, v12
	v_cmp_eq_u32_sdwa s[30:31], v12, v52 src0_sel:WORD_0 src1_sel:DWORD
	v_cndmask_b32_e64 v8, v0, v12, s[30:31]
; %bb.946:                              ;   in Loop: Header=BB2_938 Depth=3
	s_or_b64 exec, exec, s[62:63]
	v_lshlrev_b32_e32 v0, 16, v9
	v_lshlrev_b32_e32 v12, 16, v13
	v_max_f32_e32 v12, v12, v12
	v_max_f32_e32 v0, v0, v0
	v_min_f32_e32 v41, v0, v12
	v_max_f32_e32 v0, v0, v12
	v_cndmask_b32_e64 v41, v0, v41, s[28:29]
	v_and_b32_e32 v0, 0x7f800000, v41
	v_cmp_ne_u32_e64 s[30:31], s85, v0
                                        ; implicit-def: $vgpr12
	s_and_saveexec_b64 s[62:63], s[30:31]
	s_xor_b64 s[30:31], exec, s[62:63]
; %bb.947:                              ;   in Loop: Header=BB2_938 Depth=3
	v_bfe_u32 v0, v41, 16, 1
	v_add3_u32 v12, v41, v0, s86
                                        ; implicit-def: $vgpr41
; %bb.948:                              ;   in Loop: Header=BB2_938 Depth=3
	s_andn2_saveexec_b64 s[62:63], s[30:31]
; %bb.949:                              ;   in Loop: Header=BB2_938 Depth=3
	v_or_b32_e32 v0, 0x10000, v41
	v_cmp_eq_u32_sdwa s[30:31], v41, v52 src0_sel:WORD_0 src1_sel:DWORD
	v_cndmask_b32_e64 v12, v0, v41, s[30:31]
; %bb.950:                              ;   in Loop: Header=BB2_938 Depth=3
	s_or_b64 exec, exec, s[62:63]
	v_and_b32_e32 v0, 0xffff0000, v9
	v_and_b32_e32 v9, 0xffff0000, v13
	v_max_f32_e32 v9, v9, v9
	v_max_f32_e32 v0, v0, v0
	v_min_f32_e32 v13, v0, v9
	v_max_f32_e32 v0, v0, v9
	v_cndmask_b32_e64 v13, v0, v13, s[28:29]
	v_and_b32_e32 v0, 0x7f800000, v13
	v_cmp_ne_u32_e64 s[30:31], s85, v0
                                        ; implicit-def: $vgpr9
	s_and_saveexec_b64 s[62:63], s[30:31]
	s_xor_b64 s[30:31], exec, s[62:63]
; %bb.951:                              ;   in Loop: Header=BB2_938 Depth=3
	v_bfe_u32 v0, v13, 16, 1
	v_add3_u32 v9, v13, v0, s86
                                        ; implicit-def: $vgpr13
; %bb.952:                              ;   in Loop: Header=BB2_938 Depth=3
	s_andn2_saveexec_b64 s[62:63], s[30:31]
; %bb.953:                              ;   in Loop: Header=BB2_938 Depth=3
	v_or_b32_e32 v0, 0x10000, v13
	v_cmp_eq_u32_sdwa s[30:31], v13, v52 src0_sel:WORD_0 src1_sel:DWORD
	v_cndmask_b32_e64 v9, v0, v13, s[30:31]
; %bb.954:                              ;   in Loop: Header=BB2_938 Depth=3
	s_or_b64 exec, exec, s[62:63]
	v_lshlrev_b32_e32 v0, 16, v10
	v_lshlrev_b32_e32 v13, 16, v14
	v_max_f32_e32 v13, v13, v13
	v_max_f32_e32 v0, v0, v0
	v_min_f32_e32 v41, v0, v13
	v_max_f32_e32 v0, v0, v13
	v_cndmask_b32_e64 v41, v0, v41, s[28:29]
	v_and_b32_e32 v0, 0x7f800000, v41
	v_cmp_ne_u32_e64 s[30:31], s85, v0
                                        ; implicit-def: $vgpr13
	s_and_saveexec_b64 s[62:63], s[30:31]
	s_xor_b64 s[30:31], exec, s[62:63]
; %bb.955:                              ;   in Loop: Header=BB2_938 Depth=3
	v_bfe_u32 v0, v41, 16, 1
	v_add3_u32 v13, v41, v0, s86
                                        ; implicit-def: $vgpr41
; %bb.956:                              ;   in Loop: Header=BB2_938 Depth=3
	s_andn2_saveexec_b64 s[62:63], s[30:31]
; %bb.957:                              ;   in Loop: Header=BB2_938 Depth=3
	v_or_b32_e32 v0, 0x10000, v41
	v_cmp_eq_u32_sdwa s[30:31], v41, v52 src0_sel:WORD_0 src1_sel:DWORD
	v_cndmask_b32_e64 v13, v0, v41, s[30:31]
; %bb.958:                              ;   in Loop: Header=BB2_938 Depth=3
	s_or_b64 exec, exec, s[62:63]
	v_and_b32_e32 v0, 0xffff0000, v10
	v_and_b32_e32 v10, 0xffff0000, v14
	v_max_f32_e32 v10, v10, v10
	v_max_f32_e32 v0, v0, v0
	v_min_f32_e32 v14, v0, v10
	v_max_f32_e32 v0, v0, v10
	v_cndmask_b32_e64 v14, v0, v14, s[28:29]
	v_and_b32_e32 v0, 0x7f800000, v14
	v_cmp_ne_u32_e64 s[30:31], s85, v0
                                        ; implicit-def: $vgpr10
	s_and_saveexec_b64 s[62:63], s[30:31]
	s_xor_b64 s[30:31], exec, s[62:63]
; %bb.959:                              ;   in Loop: Header=BB2_938 Depth=3
	v_bfe_u32 v0, v14, 16, 1
	v_add3_u32 v10, v14, v0, s86
                                        ; implicit-def: $vgpr14
; %bb.960:                              ;   in Loop: Header=BB2_938 Depth=3
	s_andn2_saveexec_b64 s[62:63], s[30:31]
; %bb.961:                              ;   in Loop: Header=BB2_938 Depth=3
	v_or_b32_e32 v0, 0x10000, v14
	v_cmp_eq_u32_sdwa s[30:31], v14, v52 src0_sel:WORD_0 src1_sel:DWORD
	v_cndmask_b32_e64 v10, v0, v14, s[30:31]
; %bb.962:                              ;   in Loop: Header=BB2_938 Depth=3
	s_or_b64 exec, exec, s[62:63]
	v_lshlrev_b32_e32 v0, 16, v11
	v_lshlrev_b32_e32 v14, 16, v15
	v_max_f32_e32 v14, v14, v14
	v_max_f32_e32 v0, v0, v0
	v_min_f32_e32 v41, v0, v14
	v_max_f32_e32 v0, v0, v14
	v_cndmask_b32_e64 v41, v0, v41, s[28:29]
	v_and_b32_e32 v0, 0x7f800000, v41
	v_cmp_ne_u32_e64 s[30:31], s85, v0
                                        ; implicit-def: $vgpr14
	s_and_saveexec_b64 s[62:63], s[30:31]
	s_xor_b64 s[30:31], exec, s[62:63]
; %bb.963:                              ;   in Loop: Header=BB2_938 Depth=3
	v_bfe_u32 v0, v41, 16, 1
	v_add3_u32 v14, v41, v0, s86
                                        ; implicit-def: $vgpr41
; %bb.964:                              ;   in Loop: Header=BB2_938 Depth=3
	s_andn2_saveexec_b64 s[62:63], s[30:31]
; %bb.965:                              ;   in Loop: Header=BB2_938 Depth=3
	v_or_b32_e32 v0, 0x10000, v41
	v_cmp_eq_u32_sdwa s[30:31], v41, v52 src0_sel:WORD_0 src1_sel:DWORD
	v_cndmask_b32_e64 v14, v0, v41, s[30:31]
; %bb.966:                              ;   in Loop: Header=BB2_938 Depth=3
	s_or_b64 exec, exec, s[62:63]
	v_and_b32_e32 v0, 0xffff0000, v11
	v_and_b32_e32 v11, 0xffff0000, v15
	v_max_f32_e32 v11, v11, v11
	v_max_f32_e32 v0, v0, v0
	v_min_f32_e32 v15, v0, v11
	v_max_f32_e32 v0, v0, v11
	v_cndmask_b32_e64 v15, v0, v15, s[28:29]
	v_and_b32_e32 v0, 0x7f800000, v15
	v_cmp_ne_u32_e64 s[30:31], s85, v0
                                        ; implicit-def: $vgpr11
	s_and_saveexec_b64 s[62:63], s[30:31]
	s_xor_b64 s[30:31], exec, s[62:63]
; %bb.967:                              ;   in Loop: Header=BB2_938 Depth=3
	v_bfe_u32 v0, v15, 16, 1
	v_add3_u32 v11, v15, v0, s86
                                        ; implicit-def: $vgpr15
; %bb.968:                              ;   in Loop: Header=BB2_938 Depth=3
	s_andn2_saveexec_b64 s[62:63], s[30:31]
	s_cbranch_execz .LBB2_937
; %bb.969:                              ;   in Loop: Header=BB2_938 Depth=3
	v_or_b32_e32 v0, 0x10000, v15
	v_cmp_eq_u32_sdwa s[30:31], v15, v52 src0_sel:WORD_0 src1_sel:DWORD
	v_cndmask_b32_e64 v11, v0, v15, s[30:31]
	s_branch .LBB2_937
.LBB2_970:                              ;   in Loop: Header=BB2_603 Depth=2
	s_or_b64 exec, exec, s[38:39]
.LBB2_971:                              ;   in Loop: Header=BB2_603 Depth=2
	s_or_b64 exec, exec, s[36:37]
	v_and_b32_e32 v0, 14, v25
	v_cndmask_b32_e32 v25, v39, v0, vcc
	v_cmp_ne_u32_e64 s[28:29], 0, v25
	s_mov_b64 s[30:31], 0
	v_mov_b32_e32 v12, 0
                                        ; implicit-def: $vgpr13
                                        ; implicit-def: $vgpr4
	s_and_saveexec_b64 s[36:37], s[28:29]
	s_cbranch_execz .LBB2_973
; %bb.972:                              ;   in Loop: Header=BB2_603 Depth=2
	v_sub_u32_e32 v0, v39, v0
	v_cndmask_b32_e32 v0, 0, v0, vcc
	v_cmp_lt_i32_e32 vcc, 0, v23
	v_add3_u32 v12, v22, v20, v0
	v_cndmask_b32_e32 v0, 0, v54, vcc
	v_sub_u32_e32 v0, v0, v23
	v_lshl_add_u32 v13, v0, 6, v21
	v_ashrrev_i32_e32 v0, 31, v13
	v_lshrrev_b32_e32 v0, 26, v0
	v_add_u32_e32 v0, v13, v0
	s_mov_b64 s[30:31], exec
	v_ashrrev_i32_e32 v4, 6, v0
.LBB2_973:                              ;   in Loop: Header=BB2_603 Depth=2
	s_or_b64 exec, exec, s[36:37]
	s_and_b64 s[28:29], s[30:31], exec
.LBB2_974:                              ;   in Loop: Header=BB2_603 Depth=2
	s_or_b64 exec, exec, s[34:35]
	v_accvgpr_read_b32 v39, a36
	s_and_saveexec_b64 s[30:31], s[28:29]
	s_cbranch_execz .LBB2_865
.LBB2_975:                              ;   in Loop: Header=BB2_603 Depth=2
	v_ashrrev_i32_e32 v0, 31, v25
	v_add_u32_sdwa v0, v25, v0 dst_sel:DWORD dst_unused:UNUSED_PAD src0_sel:DWORD src1_sel:BYTE_3
	v_ashrrev_i32_e32 v16, 8, v0
	v_sub_u32_e32 v14, v16, v4
	v_ashrrev_i32_e32 v0, 31, v13
	v_cmp_lt_i32_e32 vcc, 0, v14
	v_lshrrev_b32_e32 v15, 26, v0
	s_and_saveexec_b64 s[34:35], vcc
	s_cbranch_execz .LBB2_987
; %bb.976:                              ;   in Loop: Header=BB2_603 Depth=2
	v_add_u32_e32 v0, v13, v15
	v_and_b32_e32 v0, 0x7fffffc0, v0
	v_sub_u32_e32 v0, v13, v0
	v_lshlrev_b32_e32 v0, 1, v0
	s_trap 2
	ds_read_b128 v[8:11], v0
	v_lshlrev_b32_e32 v4, 8, v4
	v_add3_u32 v0, v0, v12, v4
	ds_read_b64 v[18:19], v0
	v_ashrrev_i32_e32 v17, 31, v0
	s_waitcnt lgkmcnt(0)
	v_add_co_u32_e32 v4, vcc, v8, v0
	v_addc_co_u32_e32 v5, vcc, v9, v17, vcc
	v_add_co_u32_e32 v8, vcc, v10, v0
	v_addc_co_u32_e32 v9, vcc, v11, v17, vcc
	v_add_co_u32_e32 v10, vcc, v18, v0
	s_and_b32 s46, s89, 1
	v_addc_co_u32_e32 v11, vcc, v19, v17, vcc
	s_cmp_eq_u64 s[46:47], 0
	s_mov_b64 s[36:37], 0
	s_cselect_b64 vcc, -1, 0
	s_branch .LBB2_978
.LBB2_977:                              ;   in Loop: Header=BB2_978 Depth=3
	s_or_b64 exec, exec, s[38:39]
	v_add_co_u32_e64 v4, s[28:29], v4, v47
	v_addc_co_u32_e64 v5, s[28:29], v5, v38, s[28:29]
	v_add_co_u32_e64 v8, s[28:29], v8, v47
	v_addc_co_u32_e64 v9, s[28:29], v9, v38, s[28:29]
	v_sub_u32_e32 v14, v14, v54
	v_cmp_gt_i32_e64 s[28:29], 1, v14
	flat_store_short_d16_hi v[10:11], v17 glc slc
	flat_store_short_d16_hi v[10:11], v0 offset:128 glc slc
	s_or_b64 s[36:37], s[28:29], s[36:37]
	v_add_co_u32_e64 v10, s[28:29], v10, v47
	v_addc_co_u32_e64 v11, s[28:29], v11, v38, s[28:29]
	s_andn2_b64 exec, exec, s[36:37]
	s_cbranch_execz .LBB2_986
.LBB2_978:                              ;   Parent Loop BB2_47 Depth=1
                                        ;     Parent Loop BB2_603 Depth=2
                                        ; =>    This Inner Loop Header: Depth=3
	flat_load_ushort v0, v[4:5] glc slc
	flat_load_ushort v17, v[8:9] glc slc
	flat_load_ushort v18, v[4:5] offset:128 glc slc
	flat_load_ushort v19, v[8:9] offset:128 glc slc
	s_waitcnt vmcnt(0) lgkmcnt(0)
	v_lshlrev_b32_e32 v0, 16, v0
	v_lshlrev_b32_e32 v17, 16, v17
	v_max_f32_e32 v17, v17, v17
	v_max_f32_e32 v0, v0, v0
	v_min_f32_e32 v20, v0, v17
	v_max_f32_e32 v0, v0, v17
	v_cndmask_b32_e32 v20, v0, v20, vcc
	v_and_b32_e32 v0, 0x7f800000, v20
	v_cmp_ne_u32_e64 s[28:29], s85, v0
                                        ; implicit-def: $vgpr17
	s_and_saveexec_b64 s[38:39], s[28:29]
	s_xor_b64 s[28:29], exec, s[38:39]
; %bb.979:                              ;   in Loop: Header=BB2_978 Depth=3
	v_bfe_u32 v0, v20, 16, 1
	v_add3_u32 v17, v20, v0, s86
                                        ; implicit-def: $vgpr20
; %bb.980:                              ;   in Loop: Header=BB2_978 Depth=3
	s_andn2_saveexec_b64 s[38:39], s[28:29]
; %bb.981:                              ;   in Loop: Header=BB2_978 Depth=3
	v_or_b32_e32 v0, 0x10000, v20
	v_cmp_eq_u32_sdwa s[28:29], v20, v52 src0_sel:WORD_0 src1_sel:DWORD
	v_cndmask_b32_e64 v17, v0, v20, s[28:29]
; %bb.982:                              ;   in Loop: Header=BB2_978 Depth=3
	s_or_b64 exec, exec, s[38:39]
	v_lshlrev_b32_e32 v0, 16, v18
	v_lshlrev_b32_e32 v18, 16, v19
	v_max_f32_e32 v18, v18, v18
	v_max_f32_e32 v0, v0, v0
	v_min_f32_e32 v19, v0, v18
	v_max_f32_e32 v0, v0, v18
	v_cndmask_b32_e32 v18, v0, v19, vcc
	v_and_b32_e32 v0, 0x7f800000, v18
	v_cmp_ne_u32_e64 s[28:29], s85, v0
                                        ; implicit-def: $vgpr0
	s_and_saveexec_b64 s[38:39], s[28:29]
	s_xor_b64 s[28:29], exec, s[38:39]
; %bb.983:                              ;   in Loop: Header=BB2_978 Depth=3
	v_bfe_u32 v0, v18, 16, 1
	v_add3_u32 v0, v18, v0, s86
                                        ; implicit-def: $vgpr18
; %bb.984:                              ;   in Loop: Header=BB2_978 Depth=3
	s_andn2_saveexec_b64 s[38:39], s[28:29]
	s_cbranch_execz .LBB2_977
; %bb.985:                              ;   in Loop: Header=BB2_978 Depth=3
	v_or_b32_e32 v0, 0x10000, v18
	v_cmp_eq_u32_sdwa s[28:29], v18, v52 src0_sel:WORD_0 src1_sel:DWORD
	v_cndmask_b32_e64 v0, v0, v18, s[28:29]
	s_branch .LBB2_977
.LBB2_986:                              ;   in Loop: Header=BB2_603 Depth=2
	s_or_b64 exec, exec, s[36:37]
.LBB2_987:                              ;   in Loop: Header=BB2_603 Depth=2
	s_or_b64 exec, exec, s[34:35]
	v_lshlrev_b32_e32 v0, 8, v16
	v_cmp_ne_u32_e32 vcc, v25, v0
	s_and_saveexec_b64 s[34:35], vcc
	s_cbranch_execz .LBB2_995
; %bb.988:                              ;   in Loop: Header=BB2_603 Depth=2
	v_add_u32_e32 v4, v13, v15
	v_and_b32_e32 v4, 0xffffffc0, v4
	v_sub_u32_e32 v4, v13, v4
	v_lshlrev_b32_e32 v5, 6, v14
	v_sub_u32_e32 v4, v4, v5
	v_ashrrev_i32_e32 v5, 31, v4
	v_lshrrev_b32_e32 v5, 26, v5
	v_add_u32_e32 v5, v4, v5
	v_and_b32_e32 v8, 0x7fffffc0, v5
	v_sub_u32_e32 v4, v4, v8
	v_lshlrev_b32_e32 v5, 1, v5
	v_and_b32_e32 v5, 0xffffff80, v5
	v_lshlrev_b32_e32 v4, 1, v4
	v_add3_u32 v0, v5, v4, v0
	v_sub_u32_e32 v13, v25, v0
	v_cmp_lt_i32_e32 vcc, 1, v13
	s_and_b64 exec, exec, vcc
	s_cbranch_execz .LBB2_995
; %bb.989:                              ;   in Loop: Header=BB2_603 Depth=2
	s_trap 2
	ds_read_b128 v[8:11], v0
	v_add_u32_e32 v0, v0, v12
	ds_read_b64 v[14:15], v0
	v_ashrrev_i32_e32 v12, 31, v0
	s_and_b32 s46, s89, 1
	s_waitcnt lgkmcnt(0)
	v_add_co_u32_e32 v4, vcc, v8, v0
	v_addc_co_u32_e32 v5, vcc, v9, v12, vcc
	v_add_co_u32_e32 v8, vcc, v10, v0
	v_addc_co_u32_e32 v9, vcc, v11, v12, vcc
	;; [unrolled: 2-line block ×3, first 2 shown]
	s_cmp_eq_u64 s[46:47], 0
	s_mov_b64 s[36:37], 0
	s_cselect_b64 vcc, -1, 0
	s_branch .LBB2_991
.LBB2_990:                              ;   in Loop: Header=BB2_991 Depth=3
	s_or_b64 exec, exec, s[38:39]
	v_add_co_u32_e64 v4, s[28:29], v4, v61
	v_addc_co_u32_e64 v5, s[28:29], v5, v28, s[28:29]
	v_add_co_u32_e64 v8, s[28:29], v8, v61
	v_addc_co_u32_e64 v9, s[28:29], v9, v28, s[28:29]
	v_sub_u32_e32 v13, v13, v27
	v_cmp_gt_i32_e64 s[28:29], 2, v13
	flat_store_short_d16_hi v[10:11], v0 glc slc
	s_or_b64 s[36:37], s[28:29], s[36:37]
	v_add_co_u32_e64 v10, s[28:29], v10, v61
	v_addc_co_u32_e64 v11, s[28:29], v11, v28, s[28:29]
	s_andn2_b64 exec, exec, s[36:37]
	s_cbranch_execz .LBB2_995
.LBB2_991:                              ;   Parent Loop BB2_47 Depth=1
                                        ;     Parent Loop BB2_603 Depth=2
                                        ; =>    This Inner Loop Header: Depth=3
	flat_load_ushort v0, v[4:5] glc slc
	flat_load_ushort v12, v[8:9] glc slc
	s_waitcnt vmcnt(0) lgkmcnt(0)
	v_lshlrev_b32_e32 v0, 16, v0
	v_lshlrev_b32_e32 v12, 16, v12
	v_max_f32_e32 v12, v12, v12
	v_max_f32_e32 v0, v0, v0
	v_min_f32_e32 v14, v0, v12
	v_max_f32_e32 v0, v0, v12
	v_cndmask_b32_e32 v12, v0, v14, vcc
	v_and_b32_e32 v0, 0x7f800000, v12
	v_cmp_ne_u32_e64 s[28:29], s85, v0
                                        ; implicit-def: $vgpr0
	s_and_saveexec_b64 s[38:39], s[28:29]
	s_xor_b64 s[28:29], exec, s[38:39]
; %bb.992:                              ;   in Loop: Header=BB2_991 Depth=3
	v_bfe_u32 v0, v12, 16, 1
	v_add3_u32 v0, v12, v0, s86
                                        ; implicit-def: $vgpr12
; %bb.993:                              ;   in Loop: Header=BB2_991 Depth=3
	s_andn2_saveexec_b64 s[38:39], s[28:29]
	s_cbranch_execz .LBB2_990
; %bb.994:                              ;   in Loop: Header=BB2_991 Depth=3
	v_or_b32_e32 v0, 0x10000, v12
	v_cmp_eq_u32_sdwa s[28:29], v12, v52 src0_sel:WORD_0 src1_sel:DWORD
	v_cndmask_b32_e64 v0, v0, v12, s[28:29]
	s_branch .LBB2_990
.LBB2_995:                              ;   in Loop: Header=BB2_603 Depth=2
	s_or_b64 exec, exec, s[34:35]
	s_or_b64 exec, exec, s[30:31]
	s_and_saveexec_b64 s[28:29], s[10:11]
	s_cbranch_execnz .LBB2_679
	s_branch .LBB2_765
.LBB2_996:                              ;   in Loop: Header=BB2_47 Depth=1
	s_or_b64 exec, exec, s[58:59]
.LBB2_997:                              ;   in Loop: Header=BB2_47 Depth=1
	s_or_b64 exec, exec, s[56:57]
	v_cmp_gt_i32_e32 vcc, 2, v3
	s_and_saveexec_b64 s[30:31], vcc
	s_cbranch_execz .LBB2_1073
; %bb.998:                              ;   in Loop: Header=BB2_47 Depth=1
	v_cmp_eq_u32_e64 s[28:29], 0, v3
	s_mov_b64 s[34:35], 0
	s_branch .LBB2_1000
.LBB2_999:                              ;   in Loop: Header=BB2_1000 Depth=2
	s_or_b64 exec, exec, s[28:29]
	v_add_u32_e32 v24, v2, v24
	s_mov_b64 s[28:29], 0
	s_andn2_b64 exec, exec, s[34:35]
	s_cbranch_execz .LBB2_1072
.LBB2_1000:                             ;   Parent Loop BB2_47 Depth=1
                                        ; =>  This Loop Header: Depth=2
                                        ;       Child Loop BB2_1006 Depth 3
                                        ;       Child Loop BB2_1038 Depth 3
	;; [unrolled: 1-line block ×3, first 2 shown]
	v_and_b32_e32 v0, 12, v62
	s_mov_b64 s[38:39], -1
	v_cmp_ne_u32_e32 vcc, 0, v0
	s_and_saveexec_b64 s[36:37], vcc
	s_cbranch_execz .LBB2_1012
; %bb.1001:                             ;   in Loop: Header=BB2_1000 Depth=2
	v_and_b32_e32 v4, 8, v62
	v_add_co_u32_e32 v10, vcc, v50, v4
	v_addc_co_u32_e32 v11, vcc, 0, v51, vcc
	v_add_co_u32_e32 v8, vcc, 2, v32
	v_addc_co_u32_e32 v9, vcc, 0, v33, vcc
	v_cmp_lt_u64_e32 vcc, v[10:11], v[8:9]
	v_mov_b32_e32 v0, 1
	s_and_saveexec_b64 s[38:39], vcc
	s_cbranch_execz .LBB2_1011
; %bb.1002:                             ;   in Loop: Header=BB2_1000 Depth=2
	s_mov_b64 s[56:57], 0
	v_mov_b32_e32 v3, 0
                                        ; implicit-def: $sgpr58_sgpr59
	s_branch .LBB2_1006
.LBB2_1003:                             ;   in Loop: Header=BB2_1006 Depth=3
	s_or_b64 exec, exec, s[66:67]
	v_mov_b32_e32 v0, 0
	s_orn2_b64 s[64:65], s[64:65], exec
.LBB2_1004:                             ;   in Loop: Header=BB2_1006 Depth=3
	s_or_b64 exec, exec, s[62:63]
	s_andn2_b64 vcc, s[58:59], exec
	s_and_b64 s[58:59], s[64:65], exec
	s_or_b64 s[58:59], vcc, s[58:59]
	v_mov_b32_e32 v3, v0
.LBB2_1005:                             ;   in Loop: Header=BB2_1006 Depth=3
	s_or_b64 exec, exec, s[60:61]
	s_waitcnt vmcnt(0) lgkmcnt(0)
	v_add_co_u32_e32 v10, vcc, v50, v4
	v_addc_co_u32_e32 v11, vcc, 0, v51, vcc
	v_cmp_ge_u64_e32 vcc, v[10:11], v[8:9]
	s_xor_b64 s[60:61], s[58:59], -1
	s_or_b64 vcc, s[60:61], vcc
	s_and_b64 vcc, exec, vcc
	s_or_b64 s[56:57], vcc, s[56:57]
	s_andn2_b64 exec, exec, s[56:57]
	s_cbranch_execz .LBB2_1010
.LBB2_1006:                             ;   Parent Loop BB2_47 Depth=1
                                        ;     Parent Loop BB2_1000 Depth=2
                                        ; =>    This Inner Loop Header: Depth=3
	s_sleep 1
	flat_load_dwordx2 v[50:51], v[34:35] glc
	v_and_b32_e32 v0, 64, v62
	v_cmp_eq_u32_e32 vcc, 0, v0
	s_andn2_b64 s[58:59], s[58:59], exec
	s_and_saveexec_b64 s[60:61], vcc
	s_cbranch_execz .LBB2_1005
; %bb.1007:                             ;   in Loop: Header=BB2_1006 Depth=3
	v_add_u32_e32 v0, 1, v3
	v_cmp_lt_i32_e32 vcc, s83, v3
	s_mov_b64 s[64:65], -1
	s_and_saveexec_b64 s[62:63], vcc
	s_cbranch_execz .LBB2_1004
; %bb.1008:                             ;   in Loop: Header=BB2_1006 Depth=3
	s_trap 2
	ds_read_b64 v[10:11], v0
	s_waitcnt vmcnt(0) lgkmcnt(0)
	flat_load_dword v0, v[10:11] glc
	s_waitcnt vmcnt(0) lgkmcnt(0)
	buffer_invl2
	buffer_wbinvl1_vol
	v_cmp_ne_u32_e32 vcc, 0, v0
	s_and_saveexec_b64 s[66:67], vcc
	s_cbranch_execz .LBB2_1003
; %bb.1009:                             ;   in Loop: Header=BB2_1006 Depth=3
	v_or_b32_e32 v62, 64, v62
	s_xor_b64 s[64:65], exec, -1
	ds_write_b32 v0, v0
	s_trap 2
	s_branch .LBB2_1003
.LBB2_1010:                             ;   in Loop: Header=BB2_1000 Depth=2
	s_or_b64 exec, exec, s[56:57]
	v_and_b32_e32 v0, 12, v62
.LBB2_1011:                             ;   in Loop: Header=BB2_1000 Depth=2
	s_or_b64 exec, exec, s[38:39]
	v_cmp_eq_u32_e32 vcc, 0, v0
	s_orn2_b64 s[38:39], vcc, exec
	;;#ASMSTART
	s_wakeup
	;;#ASMEND
.LBB2_1012:                             ;   in Loop: Header=BB2_1000 Depth=2
	s_or_b64 exec, exec, s[36:37]
	s_xor_b64 s[28:29], s[28:29], -1
	s_and_b64 s[28:29], exec, s[28:29]
	s_or_b64 s[34:35], s[28:29], s[34:35]
	v_sub_u32_e32 v0, v39, v24
	s_xor_b64 s[28:29], s[38:39], -1
	v_min_i32_e32 v2, v2, v0
	s_and_saveexec_b64 s[36:37], s[28:29]
	s_cbranch_execz .LBB2_1030
; %bb.1013:                             ;   in Loop: Header=BB2_1000 Depth=2
	v_and_b32_e32 v0, 0x108, v62
	v_cmp_ne_u32_e32 vcc, s84, v0
	v_and_b32_e32 v4, 7, v32
	s_and_saveexec_b64 s[28:29], vcc
	s_xor_b64 s[28:29], exec, s[28:29]
                                        ; implicit-def: $vgpr8_vgpr9
; %bb.1014:                             ;   in Loop: Header=BB2_1000 Depth=2
	v_mov_b32_e32 v9, v52
; %bb.1015:                             ;   in Loop: Header=BB2_1000 Depth=2
	s_andn2_saveexec_b64 s[28:29], s[28:29]
	s_cbranch_execz .LBB2_1017
; %bb.1016:                             ;   in Loop: Header=BB2_1000 Depth=2
	v_accvgpr_read_b32 v6, a12
	v_accvgpr_read_b32 v7, a13
	v_ashrrev_i32_e32 v3, 31, v2
	v_mov_b32_e32 v9, v52
	v_mad_u64_u32 v[10:11], vcc, v4, 24, v[6:7]
	v_lshlrev_b64 v[12:13], 1, v[2:3]
	flat_store_dwordx2 v[10:11], v[12:13] offset:8
.LBB2_1017:                             ;   in Loop: Header=BB2_1000 Depth=2
	s_or_b64 exec, exec, s[28:29]
	v_and_b32_e32 v0, 0x100, v62
	v_cmp_ne_u32_e32 vcc, 0, v0
	s_mov_b64 s[28:29], -1
                                        ; implicit-def: $vgpr10_vgpr11
	s_and_saveexec_b64 s[38:39], vcc
	s_cbranch_execz .LBB2_1021
; %bb.1018:                             ;   in Loop: Header=BB2_1000 Depth=2
	v_accvgpr_read_b32 v6, a12
	v_accvgpr_read_b32 v7, a13
	v_mad_u64_u32 v[12:13], s[28:29], v4, 24, v[6:7]
	v_mov_b32_e32 v0, v13
	v_mad_u64_u32 v[10:11], s[28:29], v9, 24, v[0:1]
	v_mov_b32_e32 v13, v10
	flat_load_dword v0, v[12:13]
                                        ; implicit-def: $vgpr10_vgpr11
	s_waitcnt vmcnt(0) lgkmcnt(0)
	v_cmp_ne_u32_e32 vcc, 1, v0
	v_cmp_eq_u32_e64 s[28:29], 1, v0
	s_and_saveexec_b64 s[56:57], s[28:29]
	s_cbranch_execz .LBB2_1020
; %bb.1019:                             ;   in Loop: Header=BB2_1000 Depth=2
	flat_load_dword v10, v[12:13] offset:4 glc
	s_waitcnt vmcnt(0) lgkmcnt(0)
	v_ashrrev_i32_e32 v11, 31, v10
	v_lshrrev_b64 v[10:11], 1, v[10:11]
.LBB2_1020:                             ;   in Loop: Header=BB2_1000 Depth=2
	s_or_b64 exec, exec, s[56:57]
	s_orn2_b64 s[28:29], vcc, exec
.LBB2_1021:                             ;   in Loop: Header=BB2_1000 Depth=2
	s_or_b64 exec, exec, s[38:39]
	s_and_saveexec_b64 vcc, s[28:29]
; %bb.1022:                             ;   in Loop: Header=BB2_1000 Depth=2
	v_accvgpr_read_b32 v3, a17
	v_mul_lo_u32 v0, v9, v30
	v_mul_lo_u32 v3, v4, v3
	v_mad_u64_u32 v[10:11], s[28:29], v4, v30, 0
	v_add3_u32 v11, v11, v3, v0
; %bb.1023:                             ;   in Loop: Header=BB2_1000 Depth=2
	s_or_b64 exec, exec, vcc
	v_lshlrev_b64 v[4:5], 1, v[10:11]
	v_add_co_u32_e32 v4, vcc, v36, v4
	v_addc_co_u32_e32 v5, vcc, v37, v5, vcc
	s_trap 2
	ds_write_b64 v0, v[4:5]
	v_and_b32_e32 v0, 0x2000, v62
	v_cmp_ne_u32_e32 vcc, 0, v0
	s_and_saveexec_b64 s[28:29], vcc
	s_cbranch_execz .LBB2_1025
; %bb.1024:                             ;   in Loop: Header=BB2_1000 Depth=2
	ds_read_b64 v[4:5], v0 offset:584
	s_waitcnt lgkmcnt(0)
	v_add_co_u32_e32 v4, vcc, 1, v4
	v_addc_co_u32_e32 v5, vcc, 0, v5, vcc
	ds_write_b64 v0, v[4:5] offset:584
.LBB2_1025:                             ;   in Loop: Header=BB2_1000 Depth=2
	s_or_b64 exec, exec, s[28:29]
	v_add_co_u32_e32 v32, vcc, 2, v32
	v_addc_co_u32_e32 v33, vcc, 0, v33, vcc
	s_or_b64 exec, exec, s[36:37]
	s_and_saveexec_b64 s[28:29], s[10:11]
	s_cbranch_execnz .LBB2_1031
.LBB2_1026:                             ;   in Loop: Header=BB2_1000 Depth=2
	s_or_b64 exec, exec, s[28:29]
                                        ; implicit-def: $vgpr3
	s_and_saveexec_b64 s[28:29], s[24:25]
	s_xor_b64 s[28:29], exec, s[28:29]
	s_cbranch_execz .LBB2_1049
.LBB2_1027:                             ;   in Loop: Header=BB2_1000 Depth=2
	s_trap 2
	ds_read_b32 v0, v0
	v_cmp_lt_i32_e32 vcc, 0, v2
	v_and_b32_e32 v4, 16, v62
	v_and_b32_e32 v3, 16, v62
	s_waitcnt lgkmcnt(0)
	v_readfirstlane_b32 s36, v0
	s_cmp_eq_u32 s36, 0
	s_cselect_b64 s[36:37], -1, 0
	s_and_b64 s[36:37], vcc, s[36:37]
	v_cmp_ne_u32_e32 vcc, 0, v4
	s_and_b64 s[36:37], vcc, s[36:37]
	s_and_saveexec_b64 vcc, s[36:37]
	s_cbranch_execz .LBB2_1029
; %bb.1028:                             ;   in Loop: Header=BB2_1000 Depth=2
	v_mov_b32_e32 v3, 1
	s_waitcnt vmcnt(0)
	buffer_wbinvl1_vol
.LBB2_1029:                             ;   in Loop: Header=BB2_1000 Depth=2
	s_or_b64 exec, exec, vcc
	s_andn2_saveexec_b64 s[28:29], s[28:29]
	s_cbranch_execz .LBB2_1068
	s_branch .LBB2_1050
.LBB2_1030:                             ;   in Loop: Header=BB2_1000 Depth=2
	s_or_b64 exec, exec, s[36:37]
	s_and_saveexec_b64 s[28:29], s[10:11]
	s_cbranch_execz .LBB2_1026
.LBB2_1031:                             ;   in Loop: Header=BB2_1000 Depth=2
	s_and_saveexec_b64 vcc, s[48:49]
	s_xor_b64 s[36:37], exec, vcc
	s_cbranch_execz .LBB2_1046
; %bb.1032:                             ;   in Loop: Header=BB2_1000 Depth=2
	s_and_saveexec_b64 s[38:39], s[16:17]
	s_cbranch_execz .LBB2_1045
; %bb.1033:                             ;   in Loop: Header=BB2_1000 Depth=2
	s_mov_b64 s[58:59], exec
	v_mbcnt_lo_u32_b32 v0, s58, 0
	v_mbcnt_hi_u32_b32 v0, s59, v0
	v_cmp_eq_u32_e32 vcc, 0, v0
	s_waitcnt vmcnt(0) lgkmcnt(0)
	buffer_wbinvl1_vol
	s_and_saveexec_b64 s[56:57], vcc
	s_cbranch_execz .LBB2_1035
; %bb.1034:                             ;   in Loop: Header=BB2_1000 Depth=2
	s_bcnt1_i32_b64 vcc_lo, s[58:59]
	v_mov_b32_e32 v4, vcc_lo
	v_mov_b32_e32 v5, v52
	ds_add_u64 v0, v[4:5]
	s_trap 2
.LBB2_1035:                             ;   in Loop: Header=BB2_1000 Depth=2
	s_or_b64 exec, exec, s[56:57]
	s_trap 2
	ds_read_b64 v[4:5], v0
	v_add_co_u32_e32 v48, vcc, v48, v54
	v_addc_co_u32_e32 v49, vcc, 0, v49, vcc
	s_waitcnt lgkmcnt(0)
	v_cmp_lt_u64_e32 vcc, v[4:5], v[48:49]
	s_and_saveexec_b64 s[56:57], vcc
	s_cbranch_execz .LBB2_1044
; %bb.1036:                             ;   in Loop: Header=BB2_1000 Depth=2
	s_mov_b32 s46, 0
	s_mov_b64 s[58:59], 0
                                        ; implicit-def: $sgpr60_sgpr61
                                        ; implicit-def: $sgpr62_sgpr63
	s_branch .LBB2_1038
.LBB2_1037:                             ;   in Loop: Header=BB2_1038 Depth=3
	s_or_b64 exec, exec, s[66:67]
	s_and_b64 vcc, exec, vcc
	s_or_b64 s[58:59], vcc, s[58:59]
	s_andn2_b64 vcc, s[60:61], exec
	s_and_b64 s[60:61], s[62:63], exec
	s_or_b64 s[60:61], vcc, s[60:61]
	s_andn2_b64 exec, exec, s[58:59]
	s_cbranch_execz .LBB2_1042
.LBB2_1038:                             ;   Parent Loop BB2_47 Depth=1
                                        ;     Parent Loop BB2_1000 Depth=2
                                        ; =>    This Inner Loop Header: Depth=3
	s_add_i32 s46, s46, 1
	s_cmpk_lg_i32 s46, 0x2710
	s_cselect_b64 s[64:65], -1, 0
	s_and_b64 vcc, exec, s[64:65]
                                        ; implicit-def: $sgpr66_sgpr67
	s_cbranch_vccnz .LBB2_1040
; %bb.1039:                             ;   in Loop: Header=BB2_1038 Depth=3
	s_trap 2
	ds_read_b64 v[4:5], v0
	s_andn2_b64 s[64:65], s[64:65], exec
	s_mov_b32 s46, 0
	s_mov_b64 s[66:67], -1
	s_waitcnt lgkmcnt(0)
	flat_load_dword v0, v[4:5] glc
	s_waitcnt vmcnt(0) lgkmcnt(0)
	buffer_invl2
	buffer_wbinvl1_vol
	v_cmp_eq_u32_e32 vcc, 0, v0
	s_and_b64 vcc, vcc, exec
	s_or_b64 s[64:65], s[64:65], vcc
.LBB2_1040:                             ;   in Loop: Header=BB2_1038 Depth=3
	s_andn2_b64 s[62:63], s[62:63], exec
	s_and_b64 s[66:67], s[66:67], exec
	s_mov_b64 vcc, -1
	s_or_b64 s[62:63], s[62:63], s[66:67]
	s_and_saveexec_b64 s[66:67], s[64:65]
	s_cbranch_execz .LBB2_1037
; %bb.1041:                             ;   in Loop: Header=BB2_1038 Depth=3
	s_sleep 1
	s_trap 2
	ds_read_b64 v[4:5], v0
	s_andn2_b64 s[62:63], s[62:63], exec
	s_waitcnt lgkmcnt(0)
	v_cmp_ge_u64_e32 vcc, v[4:5], v[48:49]
	s_orn2_b64 vcc, vcc, exec
	s_branch .LBB2_1037
.LBB2_1042:                             ;   in Loop: Header=BB2_1000 Depth=2
	s_or_b64 exec, exec, s[58:59]
	s_and_saveexec_b64 vcc, s[60:61]
	s_xor_b64 vcc, exec, vcc
	s_cbranch_execz .LBB2_1044
; %bb.1043:                             ;   in Loop: Header=BB2_1000 Depth=2
	ds_write_b32 v0, v43
	s_trap 2
.LBB2_1044:                             ;   in Loop: Header=BB2_1000 Depth=2
	s_or_b64 exec, exec, s[56:57]
	;;#ASMSTART
	s_wakeup
	;;#ASMEND
.LBB2_1045:                             ;   in Loop: Header=BB2_1000 Depth=2
	s_or_b64 exec, exec, s[38:39]
.LBB2_1046:                             ;   in Loop: Header=BB2_1000 Depth=2
	s_andn2_saveexec_b64 vcc, s[36:37]
	s_cbranch_execz .LBB2_1048
; %bb.1047:                             ;   in Loop: Header=BB2_1000 Depth=2
	s_waitcnt vmcnt(0) lgkmcnt(0)
	buffer_wbinvl1_vol
	s_barrier
.LBB2_1048:                             ;   in Loop: Header=BB2_1000 Depth=2
	s_or_b64 exec, exec, vcc
	s_or_b64 exec, exec, s[28:29]
                                        ; implicit-def: $vgpr3
	s_and_saveexec_b64 s[28:29], s[24:25]
	s_xor_b64 s[28:29], exec, s[28:29]
	s_cbranch_execnz .LBB2_1027
.LBB2_1049:                             ;   in Loop: Header=BB2_1000 Depth=2
	s_andn2_saveexec_b64 s[28:29], s[28:29]
	s_cbranch_execz .LBB2_1068
.LBB2_1050:                             ;   in Loop: Header=BB2_1000 Depth=2
	s_and_saveexec_b64 vcc, s[48:49]
	s_xor_b64 s[36:37], exec, vcc
	s_cbranch_execz .LBB2_1065
; %bb.1051:                             ;   in Loop: Header=BB2_1000 Depth=2
	s_and_saveexec_b64 s[38:39], s[16:17]
	s_cbranch_execz .LBB2_1064
; %bb.1052:                             ;   in Loop: Header=BB2_1000 Depth=2
	s_mov_b64 s[58:59], exec
	v_mbcnt_lo_u32_b32 v0, s58, 0
	v_mbcnt_hi_u32_b32 v0, s59, v0
	v_cmp_eq_u32_e32 vcc, 0, v0
	;;#ASMSTART
	s_waitcnt lgkmcnt(0) vmcnt(0)
	;;#ASMEND
	s_and_saveexec_b64 s[56:57], vcc
	s_cbranch_execz .LBB2_1054
; %bb.1053:                             ;   in Loop: Header=BB2_1000 Depth=2
	s_bcnt1_i32_b64 vcc_lo, s[58:59]
	v_mov_b32_e32 v4, vcc_lo
	v_mov_b32_e32 v5, v52
	ds_add_u64 v0, v[4:5]
	s_trap 2
.LBB2_1054:                             ;   in Loop: Header=BB2_1000 Depth=2
	s_or_b64 exec, exec, s[56:57]
	s_trap 2
	ds_read_b64 v[4:5], v0
	v_add_co_u32_e32 v48, vcc, v48, v54
	v_addc_co_u32_e32 v49, vcc, 0, v49, vcc
	s_waitcnt lgkmcnt(0)
	v_cmp_lt_u64_e32 vcc, v[4:5], v[48:49]
	s_and_saveexec_b64 s[56:57], vcc
	s_cbranch_execz .LBB2_1063
; %bb.1055:                             ;   in Loop: Header=BB2_1000 Depth=2
	s_mov_b32 s46, 0
	s_mov_b64 s[58:59], 0
                                        ; implicit-def: $sgpr60_sgpr61
                                        ; implicit-def: $sgpr62_sgpr63
	s_branch .LBB2_1057
.LBB2_1056:                             ;   in Loop: Header=BB2_1057 Depth=3
	s_or_b64 exec, exec, s[66:67]
	s_and_b64 vcc, exec, vcc
	s_or_b64 s[58:59], vcc, s[58:59]
	s_andn2_b64 vcc, s[60:61], exec
	s_and_b64 s[60:61], s[62:63], exec
	s_or_b64 s[60:61], vcc, s[60:61]
	s_andn2_b64 exec, exec, s[58:59]
	s_cbranch_execz .LBB2_1061
.LBB2_1057:                             ;   Parent Loop BB2_47 Depth=1
                                        ;     Parent Loop BB2_1000 Depth=2
                                        ; =>    This Inner Loop Header: Depth=3
	s_add_i32 s46, s46, 1
	s_cmpk_lg_i32 s46, 0x2710
	s_cselect_b64 s[64:65], -1, 0
	s_and_b64 vcc, exec, s[64:65]
                                        ; implicit-def: $sgpr66_sgpr67
	s_cbranch_vccnz .LBB2_1059
; %bb.1058:                             ;   in Loop: Header=BB2_1057 Depth=3
	s_trap 2
	ds_read_b64 v[4:5], v0
	s_andn2_b64 s[64:65], s[64:65], exec
	s_mov_b32 s46, 0
	s_mov_b64 s[66:67], -1
	s_waitcnt vmcnt(0) lgkmcnt(0)
	flat_load_dword v0, v[4:5] glc
	s_waitcnt vmcnt(0) lgkmcnt(0)
	buffer_invl2
	buffer_wbinvl1_vol
	v_cmp_eq_u32_e32 vcc, 0, v0
	s_and_b64 vcc, vcc, exec
	s_or_b64 s[64:65], s[64:65], vcc
.LBB2_1059:                             ;   in Loop: Header=BB2_1057 Depth=3
	s_andn2_b64 s[62:63], s[62:63], exec
	s_and_b64 s[66:67], s[66:67], exec
	s_mov_b64 vcc, -1
	s_or_b64 s[62:63], s[62:63], s[66:67]
	s_and_saveexec_b64 s[66:67], s[64:65]
	s_cbranch_execz .LBB2_1056
; %bb.1060:                             ;   in Loop: Header=BB2_1057 Depth=3
	s_sleep 1
	s_trap 2
	ds_read_b64 v[4:5], v0
	s_andn2_b64 s[62:63], s[62:63], exec
	s_waitcnt lgkmcnt(0)
	v_cmp_ge_u64_e32 vcc, v[4:5], v[48:49]
	s_orn2_b64 vcc, vcc, exec
	s_branch .LBB2_1056
.LBB2_1061:                             ;   in Loop: Header=BB2_1000 Depth=2
	s_or_b64 exec, exec, s[58:59]
	s_and_saveexec_b64 vcc, s[60:61]
	s_xor_b64 vcc, exec, vcc
	s_cbranch_execz .LBB2_1063
; %bb.1062:                             ;   in Loop: Header=BB2_1000 Depth=2
	ds_write_b32 v0, v43
	s_trap 2
.LBB2_1063:                             ;   in Loop: Header=BB2_1000 Depth=2
	s_or_b64 exec, exec, s[56:57]
	;;#ASMSTART
	s_wakeup
	;;#ASMEND
.LBB2_1064:                             ;   in Loop: Header=BB2_1000 Depth=2
	s_or_b64 exec, exec, s[38:39]
.LBB2_1065:                             ;   in Loop: Header=BB2_1000 Depth=2
	s_andn2_saveexec_b64 vcc, s[36:37]
	s_cbranch_execz .LBB2_1067
; %bb.1066:                             ;   in Loop: Header=BB2_1000 Depth=2
	;;#ASMSTART
	s_waitcnt lgkmcnt(0) vmcnt(0)
	;;#ASMEND
	s_barrier
.LBB2_1067:                             ;   in Loop: Header=BB2_1000 Depth=2
	s_or_b64 exec, exec, vcc
	v_and_b32_e32 v3, 16, v62
.LBB2_1068:                             ;   in Loop: Header=BB2_1000 Depth=2
	s_or_b64 exec, exec, s[28:29]
	v_cmp_ne_u32_e32 vcc, 0, v3
	s_xor_b64 s[28:29], s[12:13], -1
	s_and_b64 vcc, vcc, s[28:29]
	s_and_saveexec_b64 s[28:29], vcc
	s_cbranch_execz .LBB2_1070
; %bb.1069:                             ;   in Loop: Header=BB2_1000 Depth=2
	flat_store_dword v[58:59], v43
.LBB2_1070:                             ;   in Loop: Header=BB2_1000 Depth=2
	s_or_b64 exec, exec, s[28:29]
	v_and_b32_e32 v0, 48, v62
	v_cmp_ne_u32_e32 vcc, 0, v0
	s_and_saveexec_b64 s[28:29], vcc
	s_cbranch_execz .LBB2_999
; %bb.1071:                             ;   in Loop: Header=BB2_1000 Depth=2
	v_add_co_u32_e32 v32, vcc, 2, v32
	v_addc_co_u32_e32 v33, vcc, 0, v33, vcc
	flat_store_dwordx2 v[34:35], v[32:33]
	s_branch .LBB2_999
.LBB2_1072:                             ;   in Loop: Header=BB2_47 Depth=1
	s_or_b64 exec, exec, s[34:35]
.LBB2_1073:                             ;   in Loop: Header=BB2_47 Depth=1
	s_or_b64 exec, exec, s[30:31]
	v_accvgpr_read_b32 v25, a21
	s_and_b64 vcc, exec, s[26:27]
	v_accvgpr_read_b32 v24, a20
	s_cbranch_vccnz .LBB2_1336
; %bb.1074:                             ;   in Loop: Header=BB2_47 Depth=1
	s_mov_b32 s46, 1
.LBB2_1075:                             ;   Parent Loop BB2_47 Depth=1
                                        ; =>  This Loop Header: Depth=2
                                        ;       Child Loop BB2_1078 Depth 3
                                        ;         Child Loop BB2_1086 Depth 4
                                        ;         Child Loop BB2_1114 Depth 4
	;; [unrolled: 1-line block ×4, first 2 shown]
                                        ;           Child Loop BB2_1155 Depth 5
                                        ;         Child Loop BB2_1161 Depth 4
                                        ;           Child Loop BB2_1162 Depth 5
                                        ;         Child Loop BB2_1171 Depth 4
                                        ;         Child Loop BB2_1176 Depth 4
                                        ;           Child Loop BB2_1177 Depth 5
                                        ;         Child Loop BB2_1190 Depth 4
                                        ;         Child Loop BB2_1195 Depth 4
	;; [unrolled: 1-line block ×6, first 2 shown]
                                        ;       Child Loop BB2_1260 Depth 3
                                        ;         Child Loop BB2_1266 Depth 4
                                        ;         Child Loop BB2_1298 Depth 4
	;; [unrolled: 1-line block ×3, first 2 shown]
	s_sub_i32 s26, s76, s46
	s_cmp_le_i32 s72, s26
	s_cselect_b32 s27, s72, 0
	s_sub_i32 s26, s26, s27
	v_accvgpr_read_b32 v6, a30
	s_ashr_i32 s27, s26, 31
	v_accvgpr_read_b32 v7, a31
	v_mul_lo_u32 v0, v6, s27
	v_mul_lo_u32 v4, v7, s26
	v_mad_u64_u32 v[2:3], s[26:27], v6, s26, 0
	v_add3_u32 v3, v3, v0, v4
	v_accvgpr_read_b32 v4, a32
	v_accvgpr_read_b32 v5, a33
	v_sub_co_u32_e32 v4, vcc, v4, v2
	v_subb_co_u32_e32 v5, vcc, v5, v3, vcc
	v_cmp_lt_i64_e32 vcc, v[6:7], v[4:5]
	v_cndmask_b32_e32 v0, v4, v6, vcc
	v_max_i32_e32 v20, 0, v0
	v_add_u32_e32 v4, 31, v20
	v_lshrrev_b32_e32 v4, 1, v4
	v_and_b32_e32 v4, 0x3ffffff0, v4
	v_cmp_lt_i32_e32 vcc, 0, v0
	v_max_i32_e32 v14, s79, v4
	s_and_b64 s[26:27], s[54:55], vcc
	v_mov_b32_e32 v4, 0
	v_mov_b32_e32 v16, 0
	s_and_saveexec_b64 s[36:37], s[26:27]
	s_cbranch_execz .LBB2_1257
; %bb.1076:                             ;   in Loop: Header=BB2_1075 Depth=2
	v_accvgpr_read_b32 v4, a34
	v_accvgpr_read_b32 v5, a35
	v_add_co_u32_e32 v2, vcc, v2, v4
	v_addc_co_u32_e32 v3, vcc, v3, v5, vcc
	s_mov_b32 s68, 1
	s_mov_b64 s[56:57], -1
	s_mov_b64 s[38:39], 0
	v_mov_b32_e32 v16, 0
	v_lshlrev_b64 v[18:19], 1, v[2:3]
	s_branch .LBB2_1078
.LBB2_1077:                             ;   in Loop: Header=BB2_1078 Depth=3
	s_or_b64 exec, exec, s[26:27]
	v_add_u32_e32 v16, v14, v16
	v_cmp_ge_i32_e32 vcc, v16, v20
	s_xor_b64 s[26:27], s[56:57], -1
	s_or_b64 s[26:27], s[26:27], vcc
	s_and_b64 s[26:27], exec, s[26:27]
	s_or_b64 s[38:39], s[26:27], s[38:39]
	s_mov_b64 s[56:57], 0
	v_mov_b32_e32 v4, s68
	s_mov_b32 s68, 2
	s_andn2_b64 exec, exec, s[38:39]
	s_cbranch_execz .LBB2_1332
.LBB2_1078:                             ;   Parent Loop BB2_47 Depth=1
                                        ;     Parent Loop BB2_1075 Depth=2
                                        ; =>    This Loop Header: Depth=3
                                        ;         Child Loop BB2_1086 Depth 4
                                        ;         Child Loop BB2_1114 Depth 4
	;; [unrolled: 1-line block ×4, first 2 shown]
                                        ;           Child Loop BB2_1155 Depth 5
                                        ;         Child Loop BB2_1161 Depth 4
                                        ;           Child Loop BB2_1162 Depth 5
                                        ;         Child Loop BB2_1171 Depth 4
                                        ;         Child Loop BB2_1176 Depth 4
                                        ;           Child Loop BB2_1177 Depth 5
                                        ;         Child Loop BB2_1190 Depth 4
                                        ;         Child Loop BB2_1195 Depth 4
	;; [unrolled: 1-line block ×6, first 2 shown]
	s_and_saveexec_b64 s[26:27], s[4:5]
	s_cbranch_execz .LBB2_1080
; %bb.1079:                             ;   in Loop: Header=BB2_1078 Depth=3
	s_trap 2
	ds_read_b128 v[2:5], v0
	v_ashrrev_i32_e32 v17, 31, v16
	s_waitcnt lgkmcnt(0)
	v_add_co_u32_e32 v0, vcc, v2, v18
	v_addc_co_u32_e32 v6, vcc, v3, v19, vcc
	v_lshlrev_b64 v[2:3], 1, v[16:17]
	v_add_co_u32_e32 v8, vcc, v0, v2
	v_addc_co_u32_e32 v9, vcc, v6, v3, vcc
	ds_write_b64 v0, v[8:9]
	v_add_co_u32_e32 v0, vcc, v4, v18
	v_addc_co_u32_e32 v6, vcc, v5, v19, vcc
	v_add_co_u32_e32 v0, vcc, v0, v2
	v_addc_co_u32_e32 v2, vcc, v6, v3, vcc
	v_cmp_ne_u64_e32 vcc, 0, v[4:5]
	v_cndmask_b32_e32 v3, 0, v2, vcc
	v_cndmask_b32_e32 v2, 0, v0, vcc
	ds_write_b64 v0, v[2:3]
.LBB2_1080:                             ;   in Loop: Header=BB2_1078 Depth=3
	s_or_b64 exec, exec, s[26:27]
	v_and_b32_e32 v0, 12, v62
	v_cmp_ne_u32_e32 vcc, 0, v0
	s_mov_b64 s[28:29], -1
	s_and_saveexec_b64 s[26:27], vcc
	s_cbranch_execz .LBB2_1092
; %bb.1081:                             ;   in Loop: Header=BB2_1078 Depth=3
	v_and_b32_e32 v2, 8, v62
	v_add_co_u32_e32 v8, vcc, v50, v2
	v_addc_co_u32_e32 v9, vcc, 0, v51, vcc
	v_add_co_u32_e32 v4, vcc, 2, v32
	v_addc_co_u32_e32 v5, vcc, 0, v33, vcc
	v_cmp_lt_u64_e32 vcc, v[8:9], v[4:5]
	v_mov_b32_e32 v0, 1
	s_and_saveexec_b64 s[28:29], vcc
	s_cbranch_execz .LBB2_1091
; %bb.1082:                             ;   in Loop: Header=BB2_1078 Depth=3
	s_mov_b64 s[30:31], 0
	v_mov_b32_e32 v3, 0
                                        ; implicit-def: $sgpr34_sgpr35
	s_branch .LBB2_1086
.LBB2_1083:                             ;   in Loop: Header=BB2_1086 Depth=4
	s_or_b64 exec, exec, s[64:65]
	v_mov_b32_e32 v0, 0
	s_orn2_b64 s[62:63], s[62:63], exec
.LBB2_1084:                             ;   in Loop: Header=BB2_1086 Depth=4
	s_or_b64 exec, exec, s[60:61]
	s_andn2_b64 vcc, s[34:35], exec
	s_and_b64 s[34:35], s[62:63], exec
	s_or_b64 s[34:35], vcc, s[34:35]
	v_mov_b32_e32 v3, v0
.LBB2_1085:                             ;   in Loop: Header=BB2_1086 Depth=4
	s_or_b64 exec, exec, s[58:59]
	s_waitcnt vmcnt(0) lgkmcnt(0)
	v_add_co_u32_e32 v8, vcc, v50, v2
	v_addc_co_u32_e32 v9, vcc, 0, v51, vcc
	v_cmp_ge_u64_e32 vcc, v[8:9], v[4:5]
	s_xor_b64 s[58:59], s[34:35], -1
	s_or_b64 vcc, s[58:59], vcc
	s_and_b64 vcc, exec, vcc
	s_or_b64 s[30:31], vcc, s[30:31]
	s_andn2_b64 exec, exec, s[30:31]
	s_cbranch_execz .LBB2_1090
.LBB2_1086:                             ;   Parent Loop BB2_47 Depth=1
                                        ;     Parent Loop BB2_1075 Depth=2
                                        ;       Parent Loop BB2_1078 Depth=3
                                        ; =>      This Inner Loop Header: Depth=4
	s_sleep 1
	flat_load_dwordx2 v[50:51], v[34:35] glc
	v_and_b32_e32 v0, 64, v62
	v_cmp_eq_u32_e32 vcc, 0, v0
	s_andn2_b64 s[34:35], s[34:35], exec
	s_and_saveexec_b64 s[58:59], vcc
	s_cbranch_execz .LBB2_1085
; %bb.1087:                             ;   in Loop: Header=BB2_1086 Depth=4
	v_add_u32_e32 v0, 1, v3
	v_cmp_lt_i32_e32 vcc, s83, v3
	s_mov_b64 s[62:63], -1
	s_and_saveexec_b64 s[60:61], vcc
	s_cbranch_execz .LBB2_1084
; %bb.1088:                             ;   in Loop: Header=BB2_1086 Depth=4
	s_trap 2
	ds_read_b64 v[8:9], v0
	s_waitcnt vmcnt(0) lgkmcnt(0)
	flat_load_dword v0, v[8:9] glc
	s_waitcnt vmcnt(0) lgkmcnt(0)
	buffer_invl2
	buffer_wbinvl1_vol
	v_cmp_ne_u32_e32 vcc, 0, v0
	s_and_saveexec_b64 s[64:65], vcc
	s_cbranch_execz .LBB2_1083
; %bb.1089:                             ;   in Loop: Header=BB2_1086 Depth=4
	v_or_b32_e32 v62, 64, v62
	s_xor_b64 s[62:63], exec, -1
	ds_write_b32 v0, v0
	s_trap 2
	s_branch .LBB2_1083
.LBB2_1090:                             ;   in Loop: Header=BB2_1078 Depth=3
	s_or_b64 exec, exec, s[30:31]
	v_and_b32_e32 v0, 12, v62
.LBB2_1091:                             ;   in Loop: Header=BB2_1078 Depth=3
	s_or_b64 exec, exec, s[28:29]
	v_cmp_eq_u32_e32 vcc, 0, v0
	s_orn2_b64 s[28:29], vcc, exec
	;;#ASMSTART
	s_wakeup
	;;#ASMEND
.LBB2_1092:                             ;   in Loop: Header=BB2_1078 Depth=3
	s_or_b64 exec, exec, s[26:27]
	v_sub_u32_e32 v0, v20, v16
	s_xor_b64 s[26:27], s[28:29], -1
	v_min_i32_e32 v14, v14, v0
	s_and_saveexec_b64 s[28:29], s[26:27]
	s_cbranch_execz .LBB2_1106
; %bb.1093:                             ;   in Loop: Header=BB2_1078 Depth=3
	v_and_b32_e32 v0, 0x108, v62
	v_cmp_ne_u32_e32 vcc, s84, v0
	v_and_b32_e32 v2, 7, v32
	s_and_saveexec_b64 s[26:27], vcc
	s_xor_b64 s[26:27], exec, s[26:27]
                                        ; implicit-def: $vgpr4_vgpr5
; %bb.1094:                             ;   in Loop: Header=BB2_1078 Depth=3
	v_mov_b32_e32 v5, v52
; %bb.1095:                             ;   in Loop: Header=BB2_1078 Depth=3
	s_andn2_saveexec_b64 s[26:27], s[26:27]
	s_cbranch_execz .LBB2_1097
; %bb.1096:                             ;   in Loop: Header=BB2_1078 Depth=3
	v_accvgpr_read_b32 v6, a12
	v_accvgpr_read_b32 v7, a13
	v_ashrrev_i32_e32 v15, 31, v14
	v_mov_b32_e32 v5, v52
	v_mad_u64_u32 v[8:9], vcc, v2, 24, v[6:7]
	v_lshlrev_b64 v[10:11], 1, v[14:15]
	flat_store_dwordx2 v[8:9], v[10:11] offset:8
.LBB2_1097:                             ;   in Loop: Header=BB2_1078 Depth=3
	s_or_b64 exec, exec, s[26:27]
	v_and_b32_e32 v0, 0x100, v62
	v_cmp_ne_u32_e32 vcc, 0, v0
	s_mov_b64 s[26:27], -1
                                        ; implicit-def: $vgpr8_vgpr9
	s_and_saveexec_b64 s[30:31], vcc
	s_cbranch_execz .LBB2_1101
; %bb.1098:                             ;   in Loop: Header=BB2_1078 Depth=3
	v_accvgpr_read_b32 v6, a12
	v_accvgpr_read_b32 v7, a13
	v_mad_u64_u32 v[10:11], s[26:27], v2, 24, v[6:7]
	v_mov_b32_e32 v0, v11
	v_mad_u64_u32 v[8:9], s[26:27], v5, 24, v[0:1]
	v_mov_b32_e32 v11, v8
	flat_load_dword v0, v[10:11]
                                        ; implicit-def: $vgpr8_vgpr9
	s_waitcnt vmcnt(0) lgkmcnt(0)
	v_cmp_ne_u32_e32 vcc, 1, v0
	v_cmp_eq_u32_e64 s[26:27], 1, v0
	s_and_saveexec_b64 s[34:35], s[26:27]
	s_cbranch_execz .LBB2_1100
; %bb.1099:                             ;   in Loop: Header=BB2_1078 Depth=3
	flat_load_dword v8, v[10:11] offset:4 glc
	s_waitcnt vmcnt(0) lgkmcnt(0)
	v_ashrrev_i32_e32 v9, 31, v8
	v_lshrrev_b64 v[8:9], 1, v[8:9]
.LBB2_1100:                             ;   in Loop: Header=BB2_1078 Depth=3
	s_or_b64 exec, exec, s[34:35]
	s_orn2_b64 s[26:27], vcc, exec
.LBB2_1101:                             ;   in Loop: Header=BB2_1078 Depth=3
	s_or_b64 exec, exec, s[30:31]
	s_and_saveexec_b64 vcc, s[26:27]
; %bb.1102:                             ;   in Loop: Header=BB2_1078 Depth=3
	v_accvgpr_read_b32 v3, a17
	v_mul_lo_u32 v0, v5, v30
	v_mul_lo_u32 v3, v2, v3
	v_mad_u64_u32 v[8:9], s[26:27], v2, v30, 0
	v_add3_u32 v9, v9, v3, v0
; %bb.1103:                             ;   in Loop: Header=BB2_1078 Depth=3
	s_or_b64 exec, exec, vcc
	v_lshlrev_b64 v[2:3], 1, v[8:9]
	v_add_co_u32_e32 v2, vcc, v36, v2
	v_addc_co_u32_e32 v3, vcc, v37, v3, vcc
	s_trap 2
	ds_write_b64 v0, v[2:3]
	v_and_b32_e32 v0, 0x2000, v62
	v_cmp_ne_u32_e32 vcc, 0, v0
	s_and_saveexec_b64 s[26:27], vcc
	s_cbranch_execz .LBB2_1105
; %bb.1104:                             ;   in Loop: Header=BB2_1078 Depth=3
	ds_read_b64 v[2:3], v0 offset:584
	s_waitcnt lgkmcnt(0)
	v_add_co_u32_e32 v2, vcc, 1, v2
	v_addc_co_u32_e32 v3, vcc, 0, v3, vcc
	ds_write_b64 v0, v[2:3] offset:584
.LBB2_1105:                             ;   in Loop: Header=BB2_1078 Depth=3
	s_or_b64 exec, exec, s[26:27]
	v_add_co_u32_e32 v32, vcc, 2, v32
	v_addc_co_u32_e32 v33, vcc, 0, v33, vcc
.LBB2_1106:                             ;   in Loop: Header=BB2_1078 Depth=3
	s_or_b64 exec, exec, s[28:29]
	s_and_saveexec_b64 s[26:27], s[10:11]
	s_cbranch_execz .LBB2_1125
; %bb.1107:                             ;   in Loop: Header=BB2_1078 Depth=3
	s_and_saveexec_b64 s[28:29], s[48:49]
	s_xor_b64 s[28:29], exec, s[28:29]
	s_cbranch_execz .LBB2_1122
; %bb.1108:                             ;   in Loop: Header=BB2_1078 Depth=3
	s_and_saveexec_b64 s[30:31], s[16:17]
	s_cbranch_execz .LBB2_1121
; %bb.1109:                             ;   in Loop: Header=BB2_1078 Depth=3
	s_mov_b64 s[58:59], exec
	v_mbcnt_lo_u32_b32 v0, s58, 0
	v_mbcnt_hi_u32_b32 v0, s59, v0
	v_cmp_eq_u32_e32 vcc, 0, v0
	s_waitcnt vmcnt(0) lgkmcnt(0)
	buffer_wbinvl1_vol
	s_and_saveexec_b64 s[34:35], vcc
	s_cbranch_execz .LBB2_1111
; %bb.1110:                             ;   in Loop: Header=BB2_1078 Depth=3
	s_bcnt1_i32_b64 vcc_lo, s[58:59]
	v_mov_b32_e32 v2, vcc_lo
	v_mov_b32_e32 v3, v52
	ds_add_u64 v0, v[2:3]
	s_trap 2
.LBB2_1111:                             ;   in Loop: Header=BB2_1078 Depth=3
	s_or_b64 exec, exec, s[34:35]
	s_trap 2
	ds_read_b64 v[2:3], v0
	v_add_co_u32_e32 v48, vcc, v48, v54
	v_addc_co_u32_e32 v49, vcc, 0, v49, vcc
	s_waitcnt lgkmcnt(0)
	v_cmp_lt_u64_e32 vcc, v[2:3], v[48:49]
	s_and_saveexec_b64 s[34:35], vcc
	s_cbranch_execz .LBB2_1120
; %bb.1112:                             ;   in Loop: Header=BB2_1078 Depth=3
	s_mov_b32 s69, 0
	s_mov_b64 s[58:59], 0
                                        ; implicit-def: $sgpr60_sgpr61
                                        ; implicit-def: $sgpr62_sgpr63
	s_branch .LBB2_1114
.LBB2_1113:                             ;   in Loop: Header=BB2_1114 Depth=4
	s_or_b64 exec, exec, s[66:67]
	s_and_b64 vcc, exec, vcc
	s_or_b64 s[58:59], vcc, s[58:59]
	s_andn2_b64 vcc, s[60:61], exec
	s_and_b64 s[60:61], s[62:63], exec
	s_or_b64 s[60:61], vcc, s[60:61]
	s_andn2_b64 exec, exec, s[58:59]
	s_cbranch_execz .LBB2_1118
.LBB2_1114:                             ;   Parent Loop BB2_47 Depth=1
                                        ;     Parent Loop BB2_1075 Depth=2
                                        ;       Parent Loop BB2_1078 Depth=3
                                        ; =>      This Inner Loop Header: Depth=4
	s_add_i32 s69, s69, 1
	s_cmpk_lg_i32 s69, 0x2710
	s_cselect_b64 s[64:65], -1, 0
	s_and_b64 vcc, exec, s[64:65]
                                        ; implicit-def: $sgpr66_sgpr67
	s_cbranch_vccnz .LBB2_1116
; %bb.1115:                             ;   in Loop: Header=BB2_1114 Depth=4
	s_trap 2
	ds_read_b64 v[2:3], v0
	s_andn2_b64 s[64:65], s[64:65], exec
	s_mov_b32 s69, 0
	s_mov_b64 s[66:67], -1
	s_waitcnt lgkmcnt(0)
	flat_load_dword v0, v[2:3] glc
	s_waitcnt vmcnt(0) lgkmcnt(0)
	buffer_invl2
	buffer_wbinvl1_vol
	v_cmp_eq_u32_e32 vcc, 0, v0
	s_and_b64 vcc, vcc, exec
	s_or_b64 s[64:65], s[64:65], vcc
.LBB2_1116:                             ;   in Loop: Header=BB2_1114 Depth=4
	s_andn2_b64 s[62:63], s[62:63], exec
	s_and_b64 s[66:67], s[66:67], exec
	s_mov_b64 vcc, -1
	s_or_b64 s[62:63], s[62:63], s[66:67]
	s_and_saveexec_b64 s[66:67], s[64:65]
	s_cbranch_execz .LBB2_1113
; %bb.1117:                             ;   in Loop: Header=BB2_1114 Depth=4
	s_sleep 1
	s_trap 2
	ds_read_b64 v[2:3], v0
	s_andn2_b64 s[62:63], s[62:63], exec
	s_waitcnt lgkmcnt(0)
	v_cmp_ge_u64_e32 vcc, v[2:3], v[48:49]
	s_orn2_b64 vcc, vcc, exec
	s_branch .LBB2_1113
.LBB2_1118:                             ;   in Loop: Header=BB2_1078 Depth=3
	s_or_b64 exec, exec, s[58:59]
	s_and_saveexec_b64 vcc, s[60:61]
	s_xor_b64 vcc, exec, vcc
	s_cbranch_execz .LBB2_1120
; %bb.1119:                             ;   in Loop: Header=BB2_1078 Depth=3
	ds_write_b32 v0, v43
	s_trap 2
.LBB2_1120:                             ;   in Loop: Header=BB2_1078 Depth=3
	s_or_b64 exec, exec, s[34:35]
	;;#ASMSTART
	s_wakeup
	;;#ASMEND
.LBB2_1121:                             ;   in Loop: Header=BB2_1078 Depth=3
	s_or_b64 exec, exec, s[30:31]
.LBB2_1122:                             ;   in Loop: Header=BB2_1078 Depth=3
	s_andn2_saveexec_b64 s[28:29], s[28:29]
	s_cbranch_execz .LBB2_1124
; %bb.1123:                             ;   in Loop: Header=BB2_1078 Depth=3
	s_waitcnt vmcnt(0) lgkmcnt(0)
	buffer_wbinvl1_vol
	s_barrier
.LBB2_1124:                             ;   in Loop: Header=BB2_1078 Depth=3
	s_or_b64 exec, exec, s[28:29]
.LBB2_1125:                             ;   in Loop: Header=BB2_1078 Depth=3
	s_or_b64 exec, exec, s[26:27]
	s_trap 2
	ds_read_b32 v2, v0
	v_and_b32_e32 v0, 0x4000, v62
	v_cmp_ne_u32_e32 vcc, 0, v0
	s_xor_b64 s[26:27], s[6:7], -1
	s_and_b64 s[28:29], s[26:27], vcc
	s_and_saveexec_b64 s[26:27], s[28:29]
	s_cbranch_execz .LBB2_1144
; %bb.1126:                             ;   in Loop: Header=BB2_1078 Depth=3
	s_and_saveexec_b64 s[28:29], s[48:49]
	s_xor_b64 s[28:29], exec, s[28:29]
	s_cbranch_execz .LBB2_1141
; %bb.1127:                             ;   in Loop: Header=BB2_1078 Depth=3
	s_and_saveexec_b64 s[30:31], s[16:17]
	s_cbranch_execz .LBB2_1140
; %bb.1128:                             ;   in Loop: Header=BB2_1078 Depth=3
	s_mov_b64 s[58:59], exec
	v_mbcnt_lo_u32_b32 v0, s58, 0
	v_mbcnt_hi_u32_b32 v0, s59, v0
	v_cmp_eq_u32_e32 vcc, 0, v0
	s_waitcnt vmcnt(0) lgkmcnt(0)
	buffer_wbinvl1_vol
	s_and_saveexec_b64 s[34:35], vcc
	s_cbranch_execz .LBB2_1130
; %bb.1129:                             ;   in Loop: Header=BB2_1078 Depth=3
	s_bcnt1_i32_b64 vcc_lo, s[58:59]
	v_mov_b32_e32 v4, vcc_lo
	v_mov_b32_e32 v5, v52
	ds_add_u64 v0, v[4:5]
	s_trap 2
.LBB2_1130:                             ;   in Loop: Header=BB2_1078 Depth=3
	s_or_b64 exec, exec, s[34:35]
	s_trap 2
	ds_read_b64 v[4:5], v0
	v_add_co_u32_e32 v48, vcc, v48, v54
	v_addc_co_u32_e32 v49, vcc, 0, v49, vcc
	s_waitcnt lgkmcnt(0)
	v_cmp_lt_u64_e32 vcc, v[4:5], v[48:49]
	s_and_saveexec_b64 s[34:35], vcc
	s_cbranch_execz .LBB2_1139
; %bb.1131:                             ;   in Loop: Header=BB2_1078 Depth=3
	s_mov_b32 s69, 0
	s_mov_b64 s[58:59], 0
                                        ; implicit-def: $sgpr60_sgpr61
                                        ; implicit-def: $sgpr62_sgpr63
	s_branch .LBB2_1133
.LBB2_1132:                             ;   in Loop: Header=BB2_1133 Depth=4
	s_or_b64 exec, exec, s[66:67]
	s_and_b64 vcc, exec, vcc
	s_or_b64 s[58:59], vcc, s[58:59]
	s_andn2_b64 vcc, s[60:61], exec
	s_and_b64 s[60:61], s[62:63], exec
	s_or_b64 s[60:61], vcc, s[60:61]
	s_andn2_b64 exec, exec, s[58:59]
	s_cbranch_execz .LBB2_1137
.LBB2_1133:                             ;   Parent Loop BB2_47 Depth=1
                                        ;     Parent Loop BB2_1075 Depth=2
                                        ;       Parent Loop BB2_1078 Depth=3
                                        ; =>      This Inner Loop Header: Depth=4
	s_add_i32 s69, s69, 1
	s_cmpk_lg_i32 s69, 0x2710
	s_cselect_b64 s[64:65], -1, 0
	s_and_b64 vcc, exec, s[64:65]
                                        ; implicit-def: $sgpr66_sgpr67
	s_cbranch_vccnz .LBB2_1135
; %bb.1134:                             ;   in Loop: Header=BB2_1133 Depth=4
	s_trap 2
	ds_read_b64 v[4:5], v0
	s_andn2_b64 s[64:65], s[64:65], exec
	s_mov_b32 s69, 0
	s_mov_b64 s[66:67], -1
	s_waitcnt lgkmcnt(0)
	flat_load_dword v0, v[4:5] glc
	s_waitcnt vmcnt(0) lgkmcnt(0)
	buffer_invl2
	buffer_wbinvl1_vol
	v_cmp_eq_u32_e32 vcc, 0, v0
	s_and_b64 vcc, vcc, exec
	s_or_b64 s[64:65], s[64:65], vcc
.LBB2_1135:                             ;   in Loop: Header=BB2_1133 Depth=4
	s_andn2_b64 s[62:63], s[62:63], exec
	s_and_b64 s[66:67], s[66:67], exec
	s_mov_b64 vcc, -1
	s_or_b64 s[62:63], s[62:63], s[66:67]
	s_and_saveexec_b64 s[66:67], s[64:65]
	s_cbranch_execz .LBB2_1132
; %bb.1136:                             ;   in Loop: Header=BB2_1133 Depth=4
	s_sleep 1
	s_trap 2
	ds_read_b64 v[4:5], v0
	s_andn2_b64 s[62:63], s[62:63], exec
	s_waitcnt lgkmcnt(0)
	v_cmp_ge_u64_e32 vcc, v[4:5], v[48:49]
	s_orn2_b64 vcc, vcc, exec
	s_branch .LBB2_1132
.LBB2_1137:                             ;   in Loop: Header=BB2_1078 Depth=3
	s_or_b64 exec, exec, s[58:59]
	s_and_saveexec_b64 vcc, s[60:61]
	s_xor_b64 vcc, exec, vcc
	s_cbranch_execz .LBB2_1139
; %bb.1138:                             ;   in Loop: Header=BB2_1078 Depth=3
	ds_write_b32 v0, v43
	s_trap 2
.LBB2_1139:                             ;   in Loop: Header=BB2_1078 Depth=3
	s_or_b64 exec, exec, s[34:35]
	;;#ASMSTART
	s_wakeup
	;;#ASMEND
.LBB2_1140:                             ;   in Loop: Header=BB2_1078 Depth=3
	s_or_b64 exec, exec, s[30:31]
.LBB2_1141:                             ;   in Loop: Header=BB2_1078 Depth=3
	s_andn2_saveexec_b64 s[28:29], s[28:29]
	s_cbranch_execz .LBB2_1143
; %bb.1142:                             ;   in Loop: Header=BB2_1078 Depth=3
	s_waitcnt vmcnt(0) lgkmcnt(0)
	buffer_wbinvl1_vol
	s_barrier
.LBB2_1143:                             ;   in Loop: Header=BB2_1078 Depth=3
	s_or_b64 exec, exec, s[28:29]
.LBB2_1144:                             ;   in Loop: Header=BB2_1078 Depth=3
	s_or_b64 exec, exec, s[26:27]
	s_trap 2
	ds_read_b64 v[4:5], v0
	v_mov_b32_e32 v15, 0
	s_waitcnt lgkmcnt(0)
	v_readfirstlane_b32 s26, v4
	v_readfirstlane_b32 s27, v5
	s_cmp_eq_u64 s[26:27], 0
	s_cselect_b64 s[26:27], -1, 0
	s_or_b64 s[26:27], s[26:27], s[26:27]
	s_and_b64 vcc, exec, s[26:27]
	s_cbranch_vccnz .LBB2_1211
; %bb.1145:                             ;   in Loop: Header=BB2_1078 Depth=3
	s_trap 2
	ds_read_b64 v[4:5], v0
	v_cmp_eq_u32_e32 vcc, 0, v2
	v_cndmask_b32_e32 v15, 0, v14, vcc
	v_lshlrev_b32_e32 v17, 1, v15
	s_mov_b64 s[26:27], -1
	s_waitcnt lgkmcnt(0)
	v_cmp_ne_u64_e32 vcc, 0, v[4:5]
	s_cbranch_vccz .LBB2_1181
; %bb.1146:                             ;   in Loop: Header=BB2_1078 Depth=3
	s_and_saveexec_b64 s[28:29], s[20:21]
	s_cbranch_execz .LBB2_1148
; %bb.1147:                             ;   in Loop: Header=BB2_1078 Depth=3
	ds_read_b32 v0, v0 offset:720
	s_waitcnt lgkmcnt(0)
	v_and_b32_e32 v0, 15, v0
	v_cmp_eq_u32_e32 vcc, 0, v0
	s_orn2_b64 s[26:27], vcc, exec
.LBB2_1148:                             ;   in Loop: Header=BB2_1078 Depth=3
	s_or_b64 exec, exec, s[28:29]
	s_and_saveexec_b64 s[28:29], s[22:23]
	s_cbranch_execz .LBB2_1150
; %bb.1149:                             ;   in Loop: Header=BB2_1078 Depth=3
	ds_read_b32 v0, v0 offset:784
	s_waitcnt lgkmcnt(0)
	v_and_b32_e32 v0, 15, v0
	v_cmp_eq_u32_e32 vcc, 0, v0
	s_and_b64 vcc, s[26:27], vcc
	s_andn2_b64 s[26:27], s[26:27], exec
	s_and_b64 vcc, vcc, exec
	s_or_b64 s[26:27], s[26:27], vcc
.LBB2_1150:                             ;   in Loop: Header=BB2_1078 Depth=3
	s_or_b64 exec, exec, s[28:29]
	s_xor_b64 s[26:27], s[26:27], -1
	v_cndmask_b32_e64 v0, 0, 1, s[26:27]
	s_mov_b64 s[28:29], -1
	;;#ASMSTART
	;;#ASMEND
	v_cmp_ne_u32_e32 vcc, 0, v0
	v_mov_b32_e32 v10, 0
	v_mov_b32_e32 v11, v17
	;; [unrolled: 1-line block ×4, first 2 shown]
	s_cbranch_vccz .LBB2_1152
; %bb.1151:                             ;   in Loop: Header=BB2_1078 Depth=3
	s_and_saveexec_b64 s[34:35], s[28:29]
	s_cbranch_execnz .LBB2_1169
	s_branch .LBB2_1180
.LBB2_1152:                             ;   in Loop: Header=BB2_1078 Depth=3
	v_ashrrev_i32_e32 v0, 31, v17
	v_lshrrev_b32_e32 v0, 22, v0
	v_add_u32_e32 v0, v17, v0
	v_and_b32_e32 v21, 0xfffffc00, v0
	v_accvgpr_read_b32 v2, a18
	v_sub_u32_e32 v24, v17, v21
	v_sub_u32_e32 v22, v17, v2
	v_ashrrev_i32_e32 v2, 10, v0
	v_cmp_lt_i32_e64 s[26:27], 15, v24
	v_accvgpr_read_b32 v0, a25
	v_addc_co_u32_e64 v23, vcc, v2, v0, s[26:27]
	v_cmp_lt_i32_e32 vcc, 15, v22
	v_accvgpr_read_b32 v3, a19
	s_and_saveexec_b64 s[58:59], vcc
	s_cbranch_execz .LBB2_1158
; %bb.1153:                             ;   in Loop: Header=BB2_1078 Depth=3
	s_trap 2
	ds_read_b64 v[2:3], v0
	ds_read_b128 v[8:11], v0
	v_accvgpr_read_b32 v6, a18
	v_accvgpr_read_b32 v7, a19
	s_mov_b64 s[60:61], 0
	s_waitcnt lgkmcnt(0)
	v_add_co_u32_e32 v4, vcc, v2, v6
	v_addc_co_u32_e32 v5, vcc, v3, v7, vcc
	v_add_co_u32_e32 v2, vcc, v8, v6
	v_addc_co_u32_e32 v3, vcc, v9, v7, vcc
	v_add_co_u32_e32 v8, vcc, v10, v6
	v_addc_co_u32_e32 v9, vcc, v11, v7, vcc
.LBB2_1154:                             ;   Parent Loop BB2_47 Depth=1
                                        ;     Parent Loop BB2_1075 Depth=2
                                        ;       Parent Loop BB2_1078 Depth=3
                                        ; =>      This Loop Header: Depth=4
                                        ;           Child Loop BB2_1155 Depth 5
	global_load_dwordx4 v[10:13], v[4:5], off glc slc
	s_mov_b64 s[64:65], -1
	s_mov_b64 s[62:63], 0
	s_waitcnt vmcnt(0)
.LBB2_1155:                             ;   Parent Loop BB2_47 Depth=1
                                        ;     Parent Loop BB2_1075 Depth=2
                                        ;       Parent Loop BB2_1078 Depth=3
                                        ;         Parent Loop BB2_1154 Depth=4
                                        ; =>        This Inner Loop Header: Depth=5
	s_cmp_eq_u32 s62, 0
	s_cselect_b64 s[28:29], -1, 0
	s_cmp_eq_u32 s62, 1
	s_cselect_b64 s[34:35], -1, 0
	v_cndmask_b32_e64 v0, 0, 1, s[64:65]
	v_cndmask_b32_e64 v40, v2, v8, s[34:35]
	v_cmp_ne_u32_e64 s[30:31], 1, v0
	v_cndmask_b32_e64 v41, v3, v9, s[34:35]
	v_add_co_u32_e32 v0, vcc, 0x400, v40
	v_addc_co_u32_e32 v6, vcc, 0, v41, vcc
	s_mov_b64 s[64:65], 0
	s_mov_b64 s[62:63], 1
	v_cndmask_b32_e64 v8, v8, v0, s[34:35]
	s_and_b64 vcc, exec, s[30:31]
	v_cndmask_b32_e64 v9, v9, v6, s[34:35]
	v_cndmask_b32_e64 v3, v3, v6, s[28:29]
	;; [unrolled: 1-line block ×3, first 2 shown]
	global_store_dwordx4 v[40:41], v[10:13], off glc slc
	s_cbranch_vccz .LBB2_1155
; %bb.1156:                             ;   in Loop: Header=BB2_1154 Depth=4
	v_add_co_u32_e32 v2, vcc, v2, v44
	v_addc_co_u32_e32 v3, vcc, v3, v45, vcc
	v_add_co_u32_e32 v8, vcc, v8, v44
	v_addc_co_u32_e32 v9, vcc, v9, v45, vcc
	;; [unrolled: 2-line block ×3, first 2 shown]
	v_sub_u32_e32 v22, v22, v26
	v_cmp_gt_i32_e32 vcc, 16, v22
	s_or_b64 s[60:61], vcc, s[60:61]
	v_sub_u32_e32 v23, v23, v54
	s_andn2_b64 exec, exec, s[60:61]
	s_cbranch_execnz .LBB2_1154
; %bb.1157:                             ;   in Loop: Header=BB2_1078 Depth=3
	s_or_b64 exec, exec, s[60:61]
.LBB2_1158:                             ;   in Loop: Header=BB2_1078 Depth=3
	s_or_b64 exec, exec, s[58:59]
	v_and_b32_e32 v0, 14, v17
	v_cndmask_b32_e64 v22, v24, v0, s[26:27]
	v_cmp_ne_u32_e32 vcc, 0, v22
	s_mov_b64 s[28:29], 0
	v_mov_b32_e32 v10, 0
                                        ; implicit-def: $vgpr11
                                        ; implicit-def: $vgpr12
                                        ; implicit-def: $vgpr2
	s_and_saveexec_b64 s[58:59], vcc
	s_cbranch_execz .LBB2_1168
; %bb.1159:                             ;   in Loop: Header=BB2_1078 Depth=3
	v_sub_u32_e32 v0, v24, v0
	v_cndmask_b32_e64 v0, 0, v0, s[26:27]
	v_cmp_lt_i32_e32 vcc, 0, v23
	v_add_u32_e32 v21, v0, v21
	v_cndmask_b32_e32 v0, 0, v54, vcc
	v_sub_u32_e32 v0, v0, v23
	v_accvgpr_read_b32 v2, a24
	v_lshl_add_u32 v0, v0, 6, v2
	v_ashrrev_i32_e32 v2, 31, v0
	v_lshrrev_b32_e32 v2, 26, v2
	v_add_u32_e32 v2, v0, v2
	v_ashrrev_i32_e32 v3, 6, v2
	v_and_b32_e32 v2, 0xffffffc0, v2
	v_sub_u32_e32 v23, v0, v2
	v_ashrrev_i32_e32 v2, 31, v22
	v_lshrrev_b32_e32 v2, 22, v2
	v_add_u32_e32 v2, v22, v2
	v_and_b32_e32 v24, 0xfffffc00, v2
	v_lshlrev_b32_e32 v0, 4, v23
	v_sub_u32_e32 v39, v22, v24
	v_lshl_add_u32 v0, v3, 10, v0
	v_ashrrev_i32_e32 v4, 10, v2
	v_cmp_lt_i32_e64 s[26:27], 15, v39
	v_sub_u32_e32 v53, v22, v0
	v_addc_co_u32_e64 v2, vcc, 0, v4, s[26:27]
	v_sub_u32_e32 v25, v2, v3
	v_cmp_lt_i32_e32 vcc, 15, v53
	s_and_saveexec_b64 s[60:61], vcc
	s_cbranch_execz .LBB2_1165
; %bb.1160:                             ;   in Loop: Header=BB2_1078 Depth=3
	s_trap 2
	ds_read_b64 v[2:3], v0
	v_add_u32_e32 v0, v0, v21
	ds_read_b128 v[8:11], v0
	v_ashrrev_i32_e32 v6, 31, v0
	s_mov_b64 s[62:63], 0
	s_waitcnt lgkmcnt(0)
	v_add_co_u32_e32 v4, vcc, v2, v0
	v_addc_co_u32_e32 v5, vcc, v3, v6, vcc
	v_add_co_u32_e32 v2, vcc, v8, v0
	v_addc_co_u32_e32 v3, vcc, v9, v6, vcc
	;; [unrolled: 2-line block ×3, first 2 shown]
.LBB2_1161:                             ;   Parent Loop BB2_47 Depth=1
                                        ;     Parent Loop BB2_1075 Depth=2
                                        ;       Parent Loop BB2_1078 Depth=3
                                        ; =>      This Loop Header: Depth=4
                                        ;           Child Loop BB2_1162 Depth 5
	global_load_dwordx4 v[10:13], v[4:5], off glc slc
	s_mov_b64 s[66:67], -1
	s_mov_b64 s[64:65], 0
	s_waitcnt vmcnt(0)
.LBB2_1162:                             ;   Parent Loop BB2_47 Depth=1
                                        ;     Parent Loop BB2_1075 Depth=2
                                        ;       Parent Loop BB2_1078 Depth=3
                                        ;         Parent Loop BB2_1161 Depth=4
                                        ; =>        This Inner Loop Header: Depth=5
	s_cmp_eq_u32 s64, 0
	s_cselect_b64 s[28:29], -1, 0
	s_cmp_eq_u32 s64, 1
	s_cselect_b64 s[34:35], -1, 0
	v_cndmask_b32_e64 v0, 0, 1, s[66:67]
	v_cndmask_b32_e64 v40, v2, v8, s[34:35]
	v_cmp_ne_u32_e64 s[30:31], 1, v0
	v_cndmask_b32_e64 v41, v3, v9, s[34:35]
	v_add_co_u32_e32 v0, vcc, 0x400, v40
	v_addc_co_u32_e32 v6, vcc, 0, v41, vcc
	s_mov_b64 s[66:67], 0
	s_mov_b64 s[64:65], 1
	v_cndmask_b32_e64 v8, v8, v0, s[34:35]
	s_and_b64 vcc, exec, s[30:31]
	v_cndmask_b32_e64 v9, v9, v6, s[34:35]
	v_cndmask_b32_e64 v3, v3, v6, s[28:29]
	;; [unrolled: 1-line block ×3, first 2 shown]
	global_store_dwordx4 v[40:41], v[10:13], off glc slc
	s_cbranch_vccz .LBB2_1162
; %bb.1163:                             ;   in Loop: Header=BB2_1161 Depth=4
	v_add_co_u32_e32 v2, vcc, v2, v44
	v_addc_co_u32_e32 v3, vcc, v3, v45, vcc
	v_add_co_u32_e32 v8, vcc, v8, v44
	v_addc_co_u32_e32 v9, vcc, v9, v45, vcc
	;; [unrolled: 2-line block ×3, first 2 shown]
	v_sub_u32_e32 v53, v53, v26
	v_cmp_gt_i32_e32 vcc, 16, v53
	s_or_b64 s[62:63], vcc, s[62:63]
	v_sub_u32_e32 v25, v25, v54
	s_andn2_b64 exec, exec, s[62:63]
	s_cbranch_execnz .LBB2_1161
; %bb.1164:                             ;   in Loop: Header=BB2_1078 Depth=3
	s_or_b64 exec, exec, s[62:63]
.LBB2_1165:                             ;   in Loop: Header=BB2_1078 Depth=3
	s_or_b64 exec, exec, s[60:61]
	v_and_b32_e32 v0, 14, v22
	v_cndmask_b32_e64 v11, v39, v0, s[26:27]
	v_cmp_ne_u32_e32 vcc, 0, v11
	s_mov_b64 s[28:29], 0
	v_mov_b32_e32 v10, 0
                                        ; implicit-def: $vgpr12
                                        ; implicit-def: $vgpr2
	s_and_saveexec_b64 s[30:31], vcc
	s_cbranch_execz .LBB2_1167
; %bb.1166:                             ;   in Loop: Header=BB2_1078 Depth=3
	v_sub_u32_e32 v0, v39, v0
	v_cndmask_b32_e64 v0, 0, v0, s[26:27]
	v_cmp_lt_i32_e32 vcc, 0, v25
	v_add3_u32 v10, v24, v21, v0
	v_cndmask_b32_e32 v0, 0, v54, vcc
	v_sub_u32_e32 v0, v0, v25
	v_lshl_add_u32 v12, v0, 6, v23
	v_ashrrev_i32_e32 v0, 31, v12
	v_lshrrev_b32_e32 v0, 26, v0
	v_add_u32_e32 v0, v12, v0
	s_mov_b64 s[28:29], exec
	v_ashrrev_i32_e32 v2, 6, v0
.LBB2_1167:                             ;   in Loop: Header=BB2_1078 Depth=3
	s_or_b64 exec, exec, s[30:31]
	s_and_b64 s[28:29], s[28:29], exec
.LBB2_1168:                             ;   in Loop: Header=BB2_1078 Depth=3
	s_or_b64 exec, exec, s[58:59]
	v_accvgpr_read_b32 v25, a21
	v_accvgpr_read_b32 v24, a20
	s_and_saveexec_b64 s[34:35], s[28:29]
	s_cbranch_execz .LBB2_1180
.LBB2_1169:                             ;   in Loop: Header=BB2_1078 Depth=3
	v_ashrrev_i32_e32 v0, 31, v11
	v_lshrrev_b32_e32 v0, 23, v0
	v_add_u32_e32 v0, v11, v0
	v_ashrrev_i32_e32 v22, 9, v0
	v_sub_u32_e32 v13, v22, v2
	v_ashrrev_i32_e32 v0, 31, v12
	v_cmp_lt_i32_e32 vcc, 0, v13
	v_lshrrev_b32_e32 v21, 26, v0
	s_and_saveexec_b64 s[26:27], vcc
	s_cbranch_execz .LBB2_1173
; %bb.1170:                             ;   in Loop: Header=BB2_1078 Depth=3
	v_add_u32_e32 v0, v12, v21
	v_and_b32_e32 v0, 0x7fffffc0, v0
	v_sub_u32_e32 v0, v12, v0
	v_lshlrev_b32_e32 v0, 1, v0
	s_trap 2
	v_lshlrev_b32_e32 v4, 9, v2
	ds_read_b64 v[2:3], v0
	v_add3_u32 v0, v0, v10, v4
	ds_read_b128 v[40:43], v0
	v_ashrrev_i32_e32 v6, 31, v0
	s_mov_b64 s[28:29], 0
	s_waitcnt lgkmcnt(0)
	v_add_co_u32_e32 v2, vcc, v2, v0
	v_addc_co_u32_e32 v3, vcc, v3, v6, vcc
	v_add_co_u32_e32 v4, vcc, v40, v0
	v_addc_co_u32_e32 v5, vcc, v41, v6, vcc
	v_add_co_u32_e32 v8, vcc, v42, v0
	v_addc_co_u32_e32 v9, vcc, v43, v6, vcc
.LBB2_1171:                             ;   Parent Loop BB2_47 Depth=1
                                        ;     Parent Loop BB2_1075 Depth=2
                                        ;       Parent Loop BB2_1078 Depth=3
                                        ; =>      This Inner Loop Header: Depth=4
	flat_load_ushort v0, v[2:3] glc slc
	flat_load_ushort v6, v[2:3] offset:128 glc slc
	flat_load_ushort v7, v[2:3] offset:256 glc slc
	;; [unrolled: 1-line block ×3, first 2 shown]
	v_add_co_u32_e32 v2, vcc, v2, v55
	v_addc_co_u32_e32 v3, vcc, v3, v31, vcc
	v_sub_u32_e32 v13, v13, v54
	v_cmp_gt_i32_e32 vcc, 1, v13
	s_or_b64 s[28:29], vcc, s[28:29]
	s_waitcnt vmcnt(0) lgkmcnt(0)
	flat_store_short v[4:5], v0 glc slc
	flat_store_short v[4:5], v6 offset:128 glc slc
	flat_store_short v[4:5], v7 offset:256 glc slc
	;; [unrolled: 1-line block ×3, first 2 shown]
	flat_store_short v[8:9], v0 glc slc
	flat_store_short v[8:9], v6 offset:128 glc slc
	flat_store_short v[8:9], v7 offset:256 glc slc
	;; [unrolled: 1-line block ×3, first 2 shown]
	v_add_co_u32_e32 v4, vcc, v4, v55
	v_addc_co_u32_e32 v5, vcc, v5, v31, vcc
	v_add_co_u32_e32 v8, vcc, v8, v55
	v_addc_co_u32_e32 v9, vcc, v9, v31, vcc
	s_andn2_b64 exec, exec, s[28:29]
	s_cbranch_execnz .LBB2_1171
; %bb.1172:                             ;   in Loop: Header=BB2_1078 Depth=3
	s_or_b64 exec, exec, s[28:29]
	v_mov_b32_e32 v43, 1
.LBB2_1173:                             ;   in Loop: Header=BB2_1078 Depth=3
	s_or_b64 exec, exec, s[26:27]
	v_lshlrev_b32_e32 v0, 9, v22
	v_cmp_ne_u32_e32 vcc, v11, v0
	s_and_saveexec_b64 s[58:59], vcc
	s_cbranch_execz .LBB2_1179
; %bb.1174:                             ;   in Loop: Header=BB2_1078 Depth=3
	v_add_u32_e32 v2, v12, v21
	v_and_b32_e32 v2, 0xffffffc0, v2
	v_sub_u32_e32 v2, v12, v2
	v_lshlrev_b32_e32 v3, 6, v13
	v_sub_u32_e32 v2, v2, v3
	v_ashrrev_i32_e32 v3, 31, v2
	v_lshrrev_b32_e32 v3, 26, v3
	v_add_u32_e32 v3, v2, v3
	v_and_b32_e32 v4, 0x7fffffc0, v3
	v_sub_u32_e32 v2, v2, v4
	v_lshlrev_b32_e32 v3, 1, v3
	v_and_b32_e32 v3, 0xffffff80, v3
	v_lshlrev_b32_e32 v2, 1, v2
	v_add3_u32 v0, v3, v2, v0
	v_sub_u32_e32 v11, v11, v0
	v_cmp_lt_i32_e32 vcc, 1, v11
	s_and_b64 exec, exec, vcc
	s_cbranch_execz .LBB2_1179
; %bb.1175:                             ;   in Loop: Header=BB2_1078 Depth=3
	s_trap 2
	ds_read_b64 v[2:3], v0
	v_add_u32_e32 v0, v0, v10
	ds_read_b128 v[22:25], v0
	v_ashrrev_i32_e32 v6, 31, v0
	s_mov_b64 s[60:61], 0
	s_waitcnt lgkmcnt(0)
	v_add_co_u32_e32 v4, vcc, v2, v0
	v_addc_co_u32_e32 v5, vcc, v3, v6, vcc
	v_add_co_u32_e32 v2, vcc, v22, v0
	v_addc_co_u32_e32 v3, vcc, v23, v6, vcc
	;; [unrolled: 2-line block ×3, first 2 shown]
	v_accvgpr_read_b32 v25, a21
	v_accvgpr_read_b32 v24, a20
.LBB2_1176:                             ;   Parent Loop BB2_47 Depth=1
                                        ;     Parent Loop BB2_1075 Depth=2
                                        ;       Parent Loop BB2_1078 Depth=3
                                        ; =>      This Loop Header: Depth=4
                                        ;           Child Loop BB2_1177 Depth 5
	flat_load_ushort v10, v[4:5] glc slc
	s_mov_b64 s[64:65], -1
	s_mov_b64 s[62:63], 0
	s_waitcnt vmcnt(0)
.LBB2_1177:                             ;   Parent Loop BB2_47 Depth=1
                                        ;     Parent Loop BB2_1075 Depth=2
                                        ;       Parent Loop BB2_1078 Depth=3
                                        ;         Parent Loop BB2_1176 Depth=4
                                        ; =>        This Inner Loop Header: Depth=5
	s_cmp_eq_u32 s62, 0
	s_cselect_b64 s[26:27], -1, 0
	s_cmp_eq_u32 s62, 1
	s_cselect_b64 s[30:31], -1, 0
	v_cndmask_b32_e64 v0, 0, 1, s[64:65]
	v_cndmask_b32_e64 v12, v2, v8, s[30:31]
	v_cmp_ne_u32_e64 s[28:29], 1, v0
	v_cndmask_b32_e64 v13, v3, v9, s[30:31]
	v_add_co_u32_e32 v0, vcc, 0x80, v12
	v_addc_co_u32_e32 v6, vcc, 0, v13, vcc
	s_mov_b64 s[64:65], 0
	s_mov_b64 s[62:63], 1
	v_cndmask_b32_e64 v8, v8, v0, s[30:31]
	s_and_b64 vcc, exec, s[28:29]
	v_cndmask_b32_e64 v9, v9, v6, s[30:31]
	v_cndmask_b32_e64 v3, v3, v6, s[26:27]
	;; [unrolled: 1-line block ×3, first 2 shown]
	s_waitcnt lgkmcnt(0)
	flat_store_short v[12:13], v10 glc slc
	s_cbranch_vccz .LBB2_1177
; %bb.1178:                             ;   in Loop: Header=BB2_1176 Depth=4
	v_accvgpr_read_b32 v0, a16
	v_add_co_u32_e32 v2, vcc, v2, v0
	v_accvgpr_read_b32 v7, a23
	v_addc_co_u32_e32 v3, vcc, v3, v7, vcc
	v_add_co_u32_e32 v8, vcc, v8, v0
	v_addc_co_u32_e32 v9, vcc, v9, v7, vcc
	v_sub_u32_e32 v11, v11, v27
	v_cmp_gt_i32_e32 vcc, 2, v11
	s_or_b64 s[60:61], vcc, s[60:61]
	v_add_co_u32_e32 v4, vcc, v61, v4
	v_addc_co_u32_e32 v5, vcc, v28, v5, vcc
	s_andn2_b64 exec, exec, s[60:61]
	s_cbranch_execnz .LBB2_1176
.LBB2_1179:                             ;   in Loop: Header=BB2_1078 Depth=3
	s_or_b64 exec, exec, s[58:59]
.LBB2_1180:                             ;   in Loop: Header=BB2_1078 Depth=3
	s_or_b64 exec, exec, s[34:35]
	s_mov_b64 s[26:27], 0
.LBB2_1181:                             ;   in Loop: Header=BB2_1078 Depth=3
	s_and_b64 vcc, exec, s[26:27]
	s_cbranch_vccz .LBB2_1211
; %bb.1182:                             ;   in Loop: Header=BB2_1078 Depth=3
	s_mov_b64 s[26:27], -1
	s_and_saveexec_b64 s[28:29], s[20:21]
	s_cbranch_execz .LBB2_1184
; %bb.1183:                             ;   in Loop: Header=BB2_1078 Depth=3
	ds_read_b32 v0, v0 offset:720
	s_waitcnt lgkmcnt(0)
	v_and_b32_e32 v0, 15, v0
	v_cmp_eq_u32_e32 vcc, 0, v0
	s_orn2_b64 s[26:27], vcc, exec
.LBB2_1184:                             ;   in Loop: Header=BB2_1078 Depth=3
	s_or_b64 exec, exec, s[28:29]
	s_and_saveexec_b64 s[28:29], s[18:19]
	s_cbranch_execz .LBB2_1186
; %bb.1185:                             ;   in Loop: Header=BB2_1078 Depth=3
	ds_read_b32 v0, v0 offset:784
	s_waitcnt lgkmcnt(0)
	v_and_b32_e32 v0, 15, v0
	v_cmp_eq_u32_e32 vcc, 0, v0
	s_and_b64 vcc, s[26:27], vcc
	s_andn2_b64 s[26:27], s[26:27], exec
	s_and_b64 vcc, vcc, exec
	s_or_b64 s[26:27], s[26:27], vcc
.LBB2_1186:                             ;   in Loop: Header=BB2_1078 Depth=3
	s_or_b64 exec, exec, s[28:29]
	s_xor_b64 s[26:27], s[26:27], -1
	v_cndmask_b32_e64 v0, 0, 1, s[26:27]
	s_mov_b64 s[30:31], -1
	;;#ASMSTART
	;;#ASMEND
	v_cmp_ne_u32_e32 vcc, 0, v0
	v_mov_b32_e32 v10, 0
	s_cbranch_vccz .LBB2_1188
; %bb.1187:                             ;   in Loop: Header=BB2_1078 Depth=3
	v_mov_b32_e32 v11, v56
	v_mov_b32_e32 v4, v57
	s_and_saveexec_b64 s[26:27], s[30:31]
	s_cbranch_execnz .LBB2_1201
	s_branch .LBB2_1210
.LBB2_1188:                             ;   in Loop: Header=BB2_1078 Depth=3
	v_ashrrev_i32_e32 v0, 31, v17
	v_lshrrev_b32_e32 v0, 22, v0
	v_add_u32_e32 v0, v17, v0
	v_and_b32_e32 v8, 0xfffffc00, v0
	v_accvgpr_read_b32 v2, a18
	v_sub_u32_e32 v13, v17, v8
	v_sub_u32_e32 v9, v17, v2
	v_ashrrev_i32_e32 v2, 10, v0
	v_cmp_lt_i32_e32 vcc, 15, v13
	v_accvgpr_read_b32 v0, a25
	v_addc_co_u32_e64 v12, s[26:27], v2, v0, vcc
	v_cmp_lt_i32_e64 s[26:27], 15, v9
	v_accvgpr_read_b32 v3, a19
	s_and_saveexec_b64 s[28:29], s[26:27]
	s_cbranch_execz .LBB2_1192
; %bb.1189:                             ;   in Loop: Header=BB2_1078 Depth=3
	s_trap 2
	ds_read_b64 v[2:3], v0
	v_accvgpr_read_b32 v4, a18
	s_mov_b64 s[30:31], 0
	v_accvgpr_read_b32 v5, a19
.LBB2_1190:                             ;   Parent Loop BB2_47 Depth=1
                                        ;     Parent Loop BB2_1075 Depth=2
                                        ;       Parent Loop BB2_1078 Depth=3
                                        ; =>      This Inner Loop Header: Depth=4
	s_waitcnt lgkmcnt(0)
	v_add_co_u32_e64 v10, s[26:27], v2, v4
	v_addc_co_u32_e64 v11, s[26:27], v3, v5, s[26:27]
	global_load_dwordx4 v[22:25], v[10:11], off glc slc
	v_add_co_u32_e64 v4, s[26:27], v4, v1
	v_sub_u32_e32 v9, v9, v26
	v_addc_co_u32_e64 v5, s[26:27], v5, v60, s[26:27]
	v_cmp_gt_i32_e64 s[26:27], 16, v9
	v_sub_u32_e32 v12, v12, v54
	s_or_b64 s[30:31], s[26:27], s[30:31]
	s_waitcnt vmcnt(0)
	global_store_dwordx4 v[10:11], v[22:25], off glc slc
	s_andn2_b64 exec, exec, s[30:31]
	s_cbranch_execnz .LBB2_1190
; %bb.1191:                             ;   in Loop: Header=BB2_1078 Depth=3
	s_or_b64 exec, exec, s[30:31]
	v_accvgpr_read_b32 v25, a21
	v_accvgpr_read_b32 v24, a20
.LBB2_1192:                             ;   in Loop: Header=BB2_1078 Depth=3
	s_or_b64 exec, exec, s[28:29]
	v_and_b32_e32 v0, 14, v17
	v_cndmask_b32_e32 v9, v13, v0, vcc
	v_cmp_ne_u32_e64 s[26:27], 0, v9
	s_mov_b64 s[30:31], 0
	v_mov_b32_e32 v10, 0
                                        ; implicit-def: $vgpr17
                                        ; implicit-def: $vgpr11
                                        ; implicit-def: $vgpr4
	s_and_saveexec_b64 s[28:29], s[26:27]
	s_cbranch_execz .LBB2_1200
; %bb.1193:                             ;   in Loop: Header=BB2_1078 Depth=3
	v_sub_u32_e32 v0, v13, v0
	v_cndmask_b32_e32 v0, 0, v0, vcc
	v_cmp_lt_i32_e32 vcc, 0, v12
	v_add_u32_e32 v8, v0, v8
	v_cndmask_b32_e32 v0, 0, v54, vcc
	v_sub_u32_e32 v0, v0, v12
	v_accvgpr_read_b32 v2, a24
	v_lshl_add_u32 v0, v0, 6, v2
	v_ashrrev_i32_e32 v2, 31, v0
	v_lshrrev_b32_e32 v2, 26, v2
	v_add_u32_e32 v2, v0, v2
	v_ashrrev_i32_e32 v3, 6, v2
	v_and_b32_e32 v2, 0xffffffc0, v2
	v_sub_u32_e32 v12, v0, v2
	v_ashrrev_i32_e32 v2, 31, v9
	v_lshrrev_b32_e32 v2, 22, v2
	v_add_u32_e32 v2, v9, v2
	v_and_b32_e32 v13, 0xfffffc00, v2
	v_lshlrev_b32_e32 v0, 4, v12
	v_sub_u32_e32 v22, v9, v13
	v_lshl_add_u32 v0, v3, 10, v0
	v_ashrrev_i32_e32 v4, 10, v2
	v_cmp_lt_i32_e32 vcc, 15, v22
	v_sub_u32_e32 v10, v9, v0
	v_addc_co_u32_e64 v2, s[26:27], 0, v4, vcc
	v_sub_u32_e32 v21, v2, v3
	v_cmp_lt_i32_e64 s[26:27], 15, v10
	s_and_saveexec_b64 s[30:31], s[26:27]
	s_cbranch_execz .LBB2_1197
; %bb.1194:                             ;   in Loop: Header=BB2_1078 Depth=3
	s_trap 2
	ds_read_b64 v[2:3], v0
	v_add_u32_e32 v4, v0, v8
	v_ashrrev_i32_e32 v5, 31, v4
	s_mov_b64 s[34:35], 0
.LBB2_1195:                             ;   Parent Loop BB2_47 Depth=1
                                        ;     Parent Loop BB2_1075 Depth=2
                                        ;       Parent Loop BB2_1078 Depth=3
                                        ; =>      This Inner Loop Header: Depth=4
	s_waitcnt lgkmcnt(0)
	v_add_co_u32_e64 v24, s[26:27], v2, v4
	v_addc_co_u32_e64 v25, s[26:27], v3, v5, s[26:27]
	global_load_dwordx4 v[40:43], v[24:25], off glc slc
	v_add_co_u32_e64 v4, s[26:27], v4, v1
	v_sub_u32_e32 v10, v10, v26
	v_addc_co_u32_e64 v5, s[26:27], v5, v60, s[26:27]
	v_cmp_gt_i32_e64 s[26:27], 16, v10
	v_sub_u32_e32 v21, v21, v54
	s_or_b64 s[34:35], s[26:27], s[34:35]
	s_waitcnt vmcnt(0)
	global_store_dwordx4 v[24:25], v[40:43], off glc slc
	s_andn2_b64 exec, exec, s[34:35]
	s_cbranch_execnz .LBB2_1195
; %bb.1196:                             ;   in Loop: Header=BB2_1078 Depth=3
	s_or_b64 exec, exec, s[34:35]
	v_accvgpr_read_b32 v25, a21
	v_accvgpr_read_b32 v24, a20
	v_mov_b32_e32 v43, 1
.LBB2_1197:                             ;   in Loop: Header=BB2_1078 Depth=3
	s_or_b64 exec, exec, s[30:31]
	v_and_b32_e32 v0, 14, v9
	v_cndmask_b32_e32 v17, v22, v0, vcc
	v_cmp_ne_u32_e64 s[26:27], 0, v17
	s_mov_b64 s[30:31], 0
	v_mov_b32_e32 v10, 0
                                        ; implicit-def: $vgpr11
                                        ; implicit-def: $vgpr4
	s_and_saveexec_b64 s[34:35], s[26:27]
	s_cbranch_execz .LBB2_1199
; %bb.1198:                             ;   in Loop: Header=BB2_1078 Depth=3
	v_sub_u32_e32 v0, v22, v0
	v_cndmask_b32_e32 v0, 0, v0, vcc
	v_cmp_lt_i32_e32 vcc, 0, v21
	v_add3_u32 v10, v13, v8, v0
	v_cndmask_b32_e32 v0, 0, v54, vcc
	v_sub_u32_e32 v0, v0, v21
	v_lshl_add_u32 v11, v0, 6, v12
	v_ashrrev_i32_e32 v0, 31, v11
	v_lshrrev_b32_e32 v0, 26, v0
	v_add_u32_e32 v0, v11, v0
	s_mov_b64 s[30:31], exec
	v_ashrrev_i32_e32 v4, 6, v0
.LBB2_1199:                             ;   in Loop: Header=BB2_1078 Depth=3
	s_or_b64 exec, exec, s[34:35]
	s_and_b64 s[30:31], s[30:31], exec
.LBB2_1200:                             ;   in Loop: Header=BB2_1078 Depth=3
	s_or_b64 exec, exec, s[28:29]
	s_and_saveexec_b64 s[26:27], s[30:31]
	s_cbranch_execz .LBB2_1210
.LBB2_1201:                             ;   in Loop: Header=BB2_1078 Depth=3
	v_ashrrev_i32_e32 v0, 31, v17
	v_lshrrev_b32_e32 v0, 23, v0
	v_add_u32_e32 v0, v17, v0
	v_ashrrev_i32_e32 v21, 9, v0
	v_sub_u32_e32 v12, v21, v4
	v_ashrrev_i32_e32 v0, 31, v11
	v_cmp_lt_i32_e32 vcc, 0, v12
	v_lshrrev_b32_e32 v13, 26, v0
	s_and_saveexec_b64 s[28:29], vcc
	s_cbranch_execz .LBB2_1205
; %bb.1202:                             ;   in Loop: Header=BB2_1078 Depth=3
	s_trap 2
	ds_read_b64 v[2:3], v0
	v_add_u32_e32 v0, v11, v13
	v_and_b32_e32 v0, 0x7fffffc0, v0
	v_sub_u32_e32 v0, v11, v0
	v_lshlrev_b32_e32 v0, 1, v0
	v_lshlrev_b32_e32 v4, 9, v4
	v_add3_u32 v4, v0, v10, v4
	v_ashrrev_i32_e32 v5, 31, v4
	s_mov_b64 s[30:31], 0
	s_waitcnt lgkmcnt(0)
	v_pk_mov_b32 v[8:9], v[2:3], v[2:3] op_sel:[0,1]
.LBB2_1203:                             ;   Parent Loop BB2_47 Depth=1
                                        ;     Parent Loop BB2_1075 Depth=2
                                        ;       Parent Loop BB2_1078 Depth=3
                                        ; =>      This Inner Loop Header: Depth=4
	v_add_co_u32_e32 v22, vcc, v4, v8
	v_addc_co_u32_e32 v23, vcc, v5, v9, vcc
	flat_load_ushort v0, v[22:23] glc slc
	flat_load_ushort v6, v[22:23] offset:128 glc slc
	flat_load_ushort v7, v[22:23] offset:256 glc slc
	;; [unrolled: 1-line block ×3, first 2 shown]
	v_add_co_u32_e32 v22, vcc, v4, v2
	v_addc_co_u32_e32 v23, vcc, v5, v3, vcc
	v_add_co_u32_e32 v8, vcc, v8, v55
	v_addc_co_u32_e32 v9, vcc, v9, v31, vcc
	v_add_co_u32_e32 v2, vcc, v2, v55
	v_sub_u32_e32 v12, v12, v54
	v_addc_co_u32_e32 v3, vcc, v3, v31, vcc
	v_cmp_gt_i32_e32 vcc, 1, v12
	s_or_b64 s[30:31], vcc, s[30:31]
	s_waitcnt vmcnt(0) lgkmcnt(0)
	flat_store_short v[22:23], v0 glc slc
	flat_store_short v[22:23], v6 offset:128 glc slc
	flat_store_short v[22:23], v7 offset:256 glc slc
	;; [unrolled: 1-line block ×3, first 2 shown]
	s_andn2_b64 exec, exec, s[30:31]
	s_cbranch_execnz .LBB2_1203
; %bb.1204:                             ;   in Loop: Header=BB2_1078 Depth=3
	s_or_b64 exec, exec, s[30:31]
	v_accvgpr_read_b32 v25, a21
	v_accvgpr_read_b32 v24, a20
.LBB2_1205:                             ;   in Loop: Header=BB2_1078 Depth=3
	s_or_b64 exec, exec, s[28:29]
	v_lshlrev_b32_e32 v0, 9, v21
	v_cmp_ne_u32_e32 vcc, v17, v0
	s_and_saveexec_b64 s[28:29], vcc
	s_cbranch_execz .LBB2_1209
; %bb.1206:                             ;   in Loop: Header=BB2_1078 Depth=3
	v_add_u32_e32 v2, v11, v13
	v_and_b32_e32 v2, 0xffffffc0, v2
	v_sub_u32_e32 v2, v11, v2
	v_lshlrev_b32_e32 v3, 6, v12
	v_sub_u32_e32 v2, v2, v3
	v_ashrrev_i32_e32 v3, 31, v2
	v_lshrrev_b32_e32 v3, 26, v3
	v_add_u32_e32 v3, v2, v3
	v_and_b32_e32 v4, 0x7fffffc0, v3
	v_sub_u32_e32 v2, v2, v4
	v_lshlrev_b32_e32 v3, 1, v3
	v_and_b32_e32 v3, 0xffffff80, v3
	v_lshlrev_b32_e32 v2, 1, v2
	v_add3_u32 v0, v3, v2, v0
	v_sub_u32_e32 v8, v17, v0
	v_cmp_lt_i32_e32 vcc, 1, v8
	s_and_b64 exec, exec, vcc
	s_cbranch_execz .LBB2_1209
; %bb.1207:                             ;   in Loop: Header=BB2_1078 Depth=3
	s_trap 2
	ds_read_b64 v[2:3], v0
	v_add_u32_e32 v4, v0, v10
	v_ashrrev_i32_e32 v5, 31, v4
	s_mov_b64 s[30:31], 0
.LBB2_1208:                             ;   Parent Loop BB2_47 Depth=1
                                        ;     Parent Loop BB2_1075 Depth=2
                                        ;       Parent Loop BB2_1078 Depth=3
                                        ; =>      This Inner Loop Header: Depth=4
	s_waitcnt lgkmcnt(0)
	v_add_co_u32_e32 v10, vcc, v2, v4
	v_addc_co_u32_e32 v11, vcc, v3, v5, vcc
	flat_load_ushort v0, v[10:11] glc slc
	v_add_co_u32_e32 v4, vcc, v4, v61
	v_sub_u32_e32 v8, v8, v27
	v_addc_co_u32_e32 v5, vcc, v5, v28, vcc
	v_cmp_gt_i32_e32 vcc, 2, v8
	s_or_b64 s[30:31], vcc, s[30:31]
	s_waitcnt vmcnt(0) lgkmcnt(0)
	flat_store_short v[10:11], v0 glc slc
	s_andn2_b64 exec, exec, s[30:31]
	s_cbranch_execnz .LBB2_1208
.LBB2_1209:                             ;   in Loop: Header=BB2_1078 Depth=3
	s_or_b64 exec, exec, s[28:29]
.LBB2_1210:                             ;   in Loop: Header=BB2_1078 Depth=3
	s_or_b64 exec, exec, s[26:27]
.LBB2_1211:                             ;   in Loop: Header=BB2_1078 Depth=3
	s_and_saveexec_b64 s[26:27], s[10:11]
	s_cbranch_execz .LBB2_1230
; %bb.1212:                             ;   in Loop: Header=BB2_1078 Depth=3
	s_and_saveexec_b64 s[28:29], s[48:49]
	s_xor_b64 s[28:29], exec, s[28:29]
	s_cbranch_execz .LBB2_1227
; %bb.1213:                             ;   in Loop: Header=BB2_1078 Depth=3
	s_and_saveexec_b64 s[30:31], s[16:17]
	s_cbranch_execz .LBB2_1226
; %bb.1214:                             ;   in Loop: Header=BB2_1078 Depth=3
	s_mov_b64 s[58:59], exec
	v_mbcnt_lo_u32_b32 v0, s58, 0
	v_mbcnt_hi_u32_b32 v0, s59, v0
	v_cmp_eq_u32_e32 vcc, 0, v0
	s_waitcnt vmcnt(0) lgkmcnt(0)
	buffer_wbinvl1_vol
	s_and_saveexec_b64 s[34:35], vcc
	s_cbranch_execz .LBB2_1216
; %bb.1215:                             ;   in Loop: Header=BB2_1078 Depth=3
	s_bcnt1_i32_b64 vcc_lo, s[58:59]
	v_mov_b32_e32 v2, vcc_lo
	v_mov_b32_e32 v3, v52
	ds_add_u64 v0, v[2:3]
	s_trap 2
.LBB2_1216:                             ;   in Loop: Header=BB2_1078 Depth=3
	s_or_b64 exec, exec, s[34:35]
	s_trap 2
	ds_read_b64 v[2:3], v0
	v_add_co_u32_e32 v48, vcc, v48, v54
	v_addc_co_u32_e32 v49, vcc, 0, v49, vcc
	s_waitcnt lgkmcnt(0)
	v_cmp_lt_u64_e32 vcc, v[2:3], v[48:49]
	s_and_saveexec_b64 s[34:35], vcc
	s_cbranch_execz .LBB2_1225
; %bb.1217:                             ;   in Loop: Header=BB2_1078 Depth=3
	s_mov_b32 s69, 0
	s_mov_b64 s[58:59], 0
                                        ; implicit-def: $sgpr60_sgpr61
                                        ; implicit-def: $sgpr62_sgpr63
	s_branch .LBB2_1219
.LBB2_1218:                             ;   in Loop: Header=BB2_1219 Depth=4
	s_or_b64 exec, exec, s[66:67]
	s_and_b64 vcc, exec, vcc
	s_or_b64 s[58:59], vcc, s[58:59]
	s_andn2_b64 vcc, s[60:61], exec
	s_and_b64 s[60:61], s[62:63], exec
	s_or_b64 s[60:61], vcc, s[60:61]
	s_andn2_b64 exec, exec, s[58:59]
	s_cbranch_execz .LBB2_1223
.LBB2_1219:                             ;   Parent Loop BB2_47 Depth=1
                                        ;     Parent Loop BB2_1075 Depth=2
                                        ;       Parent Loop BB2_1078 Depth=3
                                        ; =>      This Inner Loop Header: Depth=4
	s_add_i32 s69, s69, 1
	s_cmpk_lg_i32 s69, 0x2710
	s_cselect_b64 s[64:65], -1, 0
	s_and_b64 vcc, exec, s[64:65]
                                        ; implicit-def: $sgpr66_sgpr67
	s_cbranch_vccnz .LBB2_1221
; %bb.1220:                             ;   in Loop: Header=BB2_1219 Depth=4
	s_trap 2
	ds_read_b64 v[2:3], v0
	s_andn2_b64 s[64:65], s[64:65], exec
	s_mov_b32 s69, 0
	s_mov_b64 s[66:67], -1
	s_waitcnt lgkmcnt(0)
	flat_load_dword v0, v[2:3] glc
	s_waitcnt vmcnt(0) lgkmcnt(0)
	buffer_invl2
	buffer_wbinvl1_vol
	v_cmp_eq_u32_e32 vcc, 0, v0
	s_and_b64 vcc, vcc, exec
	s_or_b64 s[64:65], s[64:65], vcc
.LBB2_1221:                             ;   in Loop: Header=BB2_1219 Depth=4
	s_andn2_b64 s[62:63], s[62:63], exec
	s_and_b64 s[66:67], s[66:67], exec
	s_mov_b64 vcc, -1
	s_or_b64 s[62:63], s[62:63], s[66:67]
	s_and_saveexec_b64 s[66:67], s[64:65]
	s_cbranch_execz .LBB2_1218
; %bb.1222:                             ;   in Loop: Header=BB2_1219 Depth=4
	s_sleep 1
	s_trap 2
	ds_read_b64 v[2:3], v0
	s_andn2_b64 s[62:63], s[62:63], exec
	s_waitcnt lgkmcnt(0)
	v_cmp_ge_u64_e32 vcc, v[2:3], v[48:49]
	s_orn2_b64 vcc, vcc, exec
	s_branch .LBB2_1218
.LBB2_1223:                             ;   in Loop: Header=BB2_1078 Depth=3
	s_or_b64 exec, exec, s[58:59]
	s_and_saveexec_b64 vcc, s[60:61]
	s_xor_b64 vcc, exec, vcc
	s_cbranch_execz .LBB2_1225
; %bb.1224:                             ;   in Loop: Header=BB2_1078 Depth=3
	ds_write_b32 v0, v43
	s_trap 2
.LBB2_1225:                             ;   in Loop: Header=BB2_1078 Depth=3
	s_or_b64 exec, exec, s[34:35]
	;;#ASMSTART
	s_wakeup
	;;#ASMEND
.LBB2_1226:                             ;   in Loop: Header=BB2_1078 Depth=3
	s_or_b64 exec, exec, s[30:31]
.LBB2_1227:                             ;   in Loop: Header=BB2_1078 Depth=3
	s_andn2_saveexec_b64 s[28:29], s[28:29]
	s_cbranch_execz .LBB2_1229
; %bb.1228:                             ;   in Loop: Header=BB2_1078 Depth=3
	s_waitcnt vmcnt(0) lgkmcnt(0)
	buffer_wbinvl1_vol
	s_barrier
.LBB2_1229:                             ;   in Loop: Header=BB2_1078 Depth=3
	s_or_b64 exec, exec, s[28:29]
.LBB2_1230:                             ;   in Loop: Header=BB2_1078 Depth=3
	s_or_b64 exec, exec, s[26:27]
                                        ; implicit-def: $vgpr2
	s_and_saveexec_b64 s[26:27], s[24:25]
	s_xor_b64 s[28:29], exec, s[26:27]
	s_cbranch_execz .LBB2_1234
; %bb.1231:                             ;   in Loop: Header=BB2_1078 Depth=3
	v_and_b32_e32 v0, 16, v62
	v_cmp_lt_i32_e32 vcc, 0, v15
	v_cmp_ne_u32_e64 s[26:27], 0, v0
	v_and_b32_e32 v2, 16, v62
	s_and_b64 vcc, s[26:27], vcc
	s_and_saveexec_b64 s[26:27], vcc
	s_cbranch_execz .LBB2_1233
; %bb.1232:                             ;   in Loop: Header=BB2_1078 Depth=3
	v_mov_b32_e32 v2, 1
	s_waitcnt vmcnt(0) lgkmcnt(0)
	buffer_wbinvl1_vol
.LBB2_1233:                             ;   in Loop: Header=BB2_1078 Depth=3
	s_or_b64 exec, exec, s[26:27]
	s_andn2_saveexec_b64 s[26:27], s[28:29]
	s_cbranch_execz .LBB2_1253
	s_branch .LBB2_1235
.LBB2_1234:                             ;   in Loop: Header=BB2_1078 Depth=3
	s_andn2_saveexec_b64 s[26:27], s[28:29]
	s_cbranch_execz .LBB2_1253
.LBB2_1235:                             ;   in Loop: Header=BB2_1078 Depth=3
	s_and_saveexec_b64 s[28:29], s[48:49]
	s_xor_b64 s[28:29], exec, s[28:29]
	s_cbranch_execz .LBB2_1250
; %bb.1236:                             ;   in Loop: Header=BB2_1078 Depth=3
	s_and_saveexec_b64 s[30:31], s[16:17]
	s_cbranch_execz .LBB2_1249
; %bb.1237:                             ;   in Loop: Header=BB2_1078 Depth=3
	s_mov_b64 s[58:59], exec
	v_mbcnt_lo_u32_b32 v0, s58, 0
	v_mbcnt_hi_u32_b32 v0, s59, v0
	v_cmp_eq_u32_e32 vcc, 0, v0
	;;#ASMSTART
	s_waitcnt lgkmcnt(0) vmcnt(0)
	;;#ASMEND
	s_and_saveexec_b64 s[34:35], vcc
	s_cbranch_execz .LBB2_1239
; %bb.1238:                             ;   in Loop: Header=BB2_1078 Depth=3
	s_bcnt1_i32_b64 vcc_lo, s[58:59]
	v_mov_b32_e32 v2, vcc_lo
	v_mov_b32_e32 v3, v52
	ds_add_u64 v0, v[2:3]
	s_trap 2
.LBB2_1239:                             ;   in Loop: Header=BB2_1078 Depth=3
	s_or_b64 exec, exec, s[34:35]
	s_trap 2
	ds_read_b64 v[2:3], v0
	v_add_co_u32_e32 v48, vcc, v48, v54
	v_addc_co_u32_e32 v49, vcc, 0, v49, vcc
	s_waitcnt lgkmcnt(0)
	v_cmp_lt_u64_e32 vcc, v[2:3], v[48:49]
	s_and_saveexec_b64 s[34:35], vcc
	s_cbranch_execz .LBB2_1248
; %bb.1240:                             ;   in Loop: Header=BB2_1078 Depth=3
	s_mov_b32 s69, 0
	s_mov_b64 s[58:59], 0
                                        ; implicit-def: $sgpr60_sgpr61
                                        ; implicit-def: $sgpr62_sgpr63
	s_branch .LBB2_1242
.LBB2_1241:                             ;   in Loop: Header=BB2_1242 Depth=4
	s_or_b64 exec, exec, s[66:67]
	s_and_b64 vcc, exec, vcc
	s_or_b64 s[58:59], vcc, s[58:59]
	s_andn2_b64 vcc, s[60:61], exec
	s_and_b64 s[60:61], s[62:63], exec
	s_or_b64 s[60:61], vcc, s[60:61]
	s_andn2_b64 exec, exec, s[58:59]
	s_cbranch_execz .LBB2_1246
.LBB2_1242:                             ;   Parent Loop BB2_47 Depth=1
                                        ;     Parent Loop BB2_1075 Depth=2
                                        ;       Parent Loop BB2_1078 Depth=3
                                        ; =>      This Inner Loop Header: Depth=4
	s_add_i32 s69, s69, 1
	s_cmpk_lg_i32 s69, 0x2710
	s_cselect_b64 s[64:65], -1, 0
	s_and_b64 vcc, exec, s[64:65]
                                        ; implicit-def: $sgpr66_sgpr67
	s_cbranch_vccnz .LBB2_1244
; %bb.1243:                             ;   in Loop: Header=BB2_1242 Depth=4
	s_trap 2
	ds_read_b64 v[2:3], v0
	s_andn2_b64 s[64:65], s[64:65], exec
	s_mov_b32 s69, 0
	s_mov_b64 s[66:67], -1
	s_waitcnt vmcnt(0) lgkmcnt(0)
	flat_load_dword v0, v[2:3] glc
	s_waitcnt vmcnt(0) lgkmcnt(0)
	buffer_invl2
	buffer_wbinvl1_vol
	v_cmp_eq_u32_e32 vcc, 0, v0
	s_and_b64 vcc, vcc, exec
	s_or_b64 s[64:65], s[64:65], vcc
.LBB2_1244:                             ;   in Loop: Header=BB2_1242 Depth=4
	s_andn2_b64 s[62:63], s[62:63], exec
	s_and_b64 s[66:67], s[66:67], exec
	s_mov_b64 vcc, -1
	s_or_b64 s[62:63], s[62:63], s[66:67]
	s_and_saveexec_b64 s[66:67], s[64:65]
	s_cbranch_execz .LBB2_1241
; %bb.1245:                             ;   in Loop: Header=BB2_1242 Depth=4
	s_sleep 1
	s_trap 2
	ds_read_b64 v[2:3], v0
	s_andn2_b64 s[62:63], s[62:63], exec
	s_waitcnt lgkmcnt(0)
	v_cmp_ge_u64_e32 vcc, v[2:3], v[48:49]
	s_orn2_b64 vcc, vcc, exec
	s_branch .LBB2_1241
.LBB2_1246:                             ;   in Loop: Header=BB2_1078 Depth=3
	s_or_b64 exec, exec, s[58:59]
	s_and_saveexec_b64 vcc, s[60:61]
	s_xor_b64 vcc, exec, vcc
	s_cbranch_execz .LBB2_1248
; %bb.1247:                             ;   in Loop: Header=BB2_1078 Depth=3
	ds_write_b32 v0, v43
	s_trap 2
.LBB2_1248:                             ;   in Loop: Header=BB2_1078 Depth=3
	s_or_b64 exec, exec, s[34:35]
	;;#ASMSTART
	s_wakeup
	;;#ASMEND
.LBB2_1249:                             ;   in Loop: Header=BB2_1078 Depth=3
	s_or_b64 exec, exec, s[30:31]
.LBB2_1250:                             ;   in Loop: Header=BB2_1078 Depth=3
	s_andn2_saveexec_b64 s[28:29], s[28:29]
	s_cbranch_execz .LBB2_1252
; %bb.1251:                             ;   in Loop: Header=BB2_1078 Depth=3
	;;#ASMSTART
	s_waitcnt lgkmcnt(0) vmcnt(0)
	;;#ASMEND
	s_barrier
.LBB2_1252:                             ;   in Loop: Header=BB2_1078 Depth=3
	s_or_b64 exec, exec, s[28:29]
	v_and_b32_e32 v2, 16, v62
.LBB2_1253:                             ;   in Loop: Header=BB2_1078 Depth=3
	s_or_b64 exec, exec, s[26:27]
	v_cmp_ne_u32_e32 vcc, 0, v2
	s_xor_b64 s[26:27], s[12:13], -1
	s_and_b64 s[28:29], vcc, s[26:27]
	s_and_saveexec_b64 s[26:27], s[28:29]
	s_cbranch_execz .LBB2_1255
; %bb.1254:                             ;   in Loop: Header=BB2_1078 Depth=3
	flat_store_dword v[58:59], v43
.LBB2_1255:                             ;   in Loop: Header=BB2_1078 Depth=3
	s_or_b64 exec, exec, s[26:27]
	v_and_b32_e32 v0, 48, v62
	v_cmp_ne_u32_e32 vcc, 0, v0
	s_and_saveexec_b64 s[26:27], vcc
	s_cbranch_execz .LBB2_1077
; %bb.1256:                             ;   in Loop: Header=BB2_1078 Depth=3
	v_add_co_u32_e32 v32, vcc, 2, v32
	v_addc_co_u32_e32 v33, vcc, 0, v33, vcc
	flat_store_dwordx2 v[34:35], v[32:33]
	s_branch .LBB2_1077
.LBB2_1257:                             ;   in Loop: Header=BB2_1075 Depth=2
	s_or_b64 exec, exec, s[36:37]
	v_cmp_gt_i32_e32 vcc, 2, v4
	s_and_saveexec_b64 s[28:29], vcc
	s_cbranch_execz .LBB2_1333
.LBB2_1258:                             ;   in Loop: Header=BB2_1075 Depth=2
	v_cmp_eq_u32_e64 s[26:27], 0, v4
	s_mov_b64 s[30:31], 0
	s_branch .LBB2_1260
.LBB2_1259:                             ;   in Loop: Header=BB2_1260 Depth=3
	s_or_b64 exec, exec, s[26:27]
	v_add_u32_e32 v16, v14, v16
	s_mov_b64 s[26:27], 0
	s_andn2_b64 exec, exec, s[30:31]
	s_cbranch_execz .LBB2_1334
.LBB2_1260:                             ;   Parent Loop BB2_47 Depth=1
                                        ;     Parent Loop BB2_1075 Depth=2
                                        ; =>    This Loop Header: Depth=3
                                        ;         Child Loop BB2_1266 Depth 4
                                        ;         Child Loop BB2_1298 Depth 4
	;; [unrolled: 1-line block ×3, first 2 shown]
	v_and_b32_e32 v0, 12, v62
	s_mov_b64 s[36:37], -1
	v_cmp_ne_u32_e32 vcc, 0, v0
	s_and_saveexec_b64 s[34:35], vcc
	s_cbranch_execz .LBB2_1272
; %bb.1261:                             ;   in Loop: Header=BB2_1260 Depth=3
	v_and_b32_e32 v2, 8, v62
	v_add_co_u32_e32 v8, vcc, v50, v2
	v_addc_co_u32_e32 v9, vcc, 0, v51, vcc
	v_add_co_u32_e32 v4, vcc, 2, v32
	v_addc_co_u32_e32 v5, vcc, 0, v33, vcc
	v_cmp_lt_u64_e32 vcc, v[8:9], v[4:5]
	v_mov_b32_e32 v0, 1
	s_and_saveexec_b64 s[36:37], vcc
	s_cbranch_execz .LBB2_1271
; %bb.1262:                             ;   in Loop: Header=BB2_1260 Depth=3
	s_mov_b64 s[38:39], 0
	v_mov_b32_e32 v3, 0
                                        ; implicit-def: $sgpr56_sgpr57
	s_branch .LBB2_1266
.LBB2_1263:                             ;   in Loop: Header=BB2_1266 Depth=4
	s_or_b64 exec, exec, s[64:65]
	v_mov_b32_e32 v0, 0
	s_orn2_b64 s[62:63], s[62:63], exec
.LBB2_1264:                             ;   in Loop: Header=BB2_1266 Depth=4
	s_or_b64 exec, exec, s[60:61]
	s_andn2_b64 vcc, s[56:57], exec
	s_and_b64 s[56:57], s[62:63], exec
	s_or_b64 s[56:57], vcc, s[56:57]
	v_mov_b32_e32 v3, v0
.LBB2_1265:                             ;   in Loop: Header=BB2_1266 Depth=4
	s_or_b64 exec, exec, s[58:59]
	s_waitcnt vmcnt(0) lgkmcnt(0)
	v_add_co_u32_e32 v8, vcc, v50, v2
	v_addc_co_u32_e32 v9, vcc, 0, v51, vcc
	v_cmp_ge_u64_e32 vcc, v[8:9], v[4:5]
	s_xor_b64 s[58:59], s[56:57], -1
	s_or_b64 vcc, s[58:59], vcc
	s_and_b64 vcc, exec, vcc
	s_or_b64 s[38:39], vcc, s[38:39]
	s_andn2_b64 exec, exec, s[38:39]
	s_cbranch_execz .LBB2_1270
.LBB2_1266:                             ;   Parent Loop BB2_47 Depth=1
                                        ;     Parent Loop BB2_1075 Depth=2
                                        ;       Parent Loop BB2_1260 Depth=3
                                        ; =>      This Inner Loop Header: Depth=4
	s_sleep 1
	flat_load_dwordx2 v[50:51], v[34:35] glc
	v_and_b32_e32 v0, 64, v62
	v_cmp_eq_u32_e32 vcc, 0, v0
	s_andn2_b64 s[56:57], s[56:57], exec
	s_and_saveexec_b64 s[58:59], vcc
	s_cbranch_execz .LBB2_1265
; %bb.1267:                             ;   in Loop: Header=BB2_1266 Depth=4
	v_add_u32_e32 v0, 1, v3
	v_cmp_lt_i32_e32 vcc, s83, v3
	s_mov_b64 s[62:63], -1
	s_and_saveexec_b64 s[60:61], vcc
	s_cbranch_execz .LBB2_1264
; %bb.1268:                             ;   in Loop: Header=BB2_1266 Depth=4
	s_trap 2
	ds_read_b64 v[8:9], v0
	s_waitcnt vmcnt(0) lgkmcnt(0)
	flat_load_dword v0, v[8:9] glc
	s_waitcnt vmcnt(0) lgkmcnt(0)
	buffer_invl2
	buffer_wbinvl1_vol
	v_cmp_ne_u32_e32 vcc, 0, v0
	s_and_saveexec_b64 s[64:65], vcc
	s_cbranch_execz .LBB2_1263
; %bb.1269:                             ;   in Loop: Header=BB2_1266 Depth=4
	v_or_b32_e32 v62, 64, v62
	s_xor_b64 s[62:63], exec, -1
	ds_write_b32 v0, v0
	s_trap 2
	s_branch .LBB2_1263
.LBB2_1270:                             ;   in Loop: Header=BB2_1260 Depth=3
	s_or_b64 exec, exec, s[38:39]
	v_and_b32_e32 v0, 12, v62
.LBB2_1271:                             ;   in Loop: Header=BB2_1260 Depth=3
	s_or_b64 exec, exec, s[36:37]
	v_cmp_eq_u32_e32 vcc, 0, v0
	s_orn2_b64 s[36:37], vcc, exec
	;;#ASMSTART
	s_wakeup
	;;#ASMEND
.LBB2_1272:                             ;   in Loop: Header=BB2_1260 Depth=3
	s_or_b64 exec, exec, s[34:35]
	s_xor_b64 s[26:27], s[26:27], -1
	s_and_b64 s[26:27], exec, s[26:27]
	s_or_b64 s[30:31], s[26:27], s[30:31]
	v_sub_u32_e32 v0, v20, v16
	s_xor_b64 s[26:27], s[36:37], -1
	v_min_i32_e32 v14, v14, v0
	s_and_saveexec_b64 s[34:35], s[26:27]
	s_cbranch_execz .LBB2_1290
; %bb.1273:                             ;   in Loop: Header=BB2_1260 Depth=3
	v_and_b32_e32 v0, 0x108, v62
	v_cmp_ne_u32_e32 vcc, s84, v0
	v_and_b32_e32 v2, 7, v32
	s_and_saveexec_b64 s[26:27], vcc
	s_xor_b64 s[26:27], exec, s[26:27]
                                        ; implicit-def: $vgpr4_vgpr5
; %bb.1274:                             ;   in Loop: Header=BB2_1260 Depth=3
	v_mov_b32_e32 v5, v52
; %bb.1275:                             ;   in Loop: Header=BB2_1260 Depth=3
	s_andn2_saveexec_b64 s[26:27], s[26:27]
	s_cbranch_execz .LBB2_1277
; %bb.1276:                             ;   in Loop: Header=BB2_1260 Depth=3
	v_accvgpr_read_b32 v6, a12
	v_accvgpr_read_b32 v7, a13
	v_ashrrev_i32_e32 v15, 31, v14
	v_mov_b32_e32 v5, v52
	v_mad_u64_u32 v[8:9], vcc, v2, 24, v[6:7]
	v_lshlrev_b64 v[10:11], 1, v[14:15]
	flat_store_dwordx2 v[8:9], v[10:11] offset:8
.LBB2_1277:                             ;   in Loop: Header=BB2_1260 Depth=3
	s_or_b64 exec, exec, s[26:27]
	v_and_b32_e32 v0, 0x100, v62
	v_cmp_ne_u32_e32 vcc, 0, v0
	s_mov_b64 s[26:27], -1
                                        ; implicit-def: $vgpr8_vgpr9
	s_and_saveexec_b64 s[36:37], vcc
	s_cbranch_execz .LBB2_1281
; %bb.1278:                             ;   in Loop: Header=BB2_1260 Depth=3
	v_accvgpr_read_b32 v6, a12
	v_accvgpr_read_b32 v7, a13
	v_mad_u64_u32 v[10:11], s[26:27], v2, 24, v[6:7]
	v_mov_b32_e32 v0, v11
	v_mad_u64_u32 v[8:9], s[26:27], v5, 24, v[0:1]
	v_mov_b32_e32 v11, v8
	flat_load_dword v0, v[10:11]
                                        ; implicit-def: $vgpr8_vgpr9
	s_waitcnt vmcnt(0) lgkmcnt(0)
	v_cmp_ne_u32_e32 vcc, 1, v0
	v_cmp_eq_u32_e64 s[26:27], 1, v0
	s_and_saveexec_b64 s[38:39], s[26:27]
	s_cbranch_execz .LBB2_1280
; %bb.1279:                             ;   in Loop: Header=BB2_1260 Depth=3
	flat_load_dword v8, v[10:11] offset:4 glc
	s_waitcnt vmcnt(0) lgkmcnt(0)
	v_ashrrev_i32_e32 v9, 31, v8
	v_lshrrev_b64 v[8:9], 1, v[8:9]
.LBB2_1280:                             ;   in Loop: Header=BB2_1260 Depth=3
	s_or_b64 exec, exec, s[38:39]
	s_orn2_b64 s[26:27], vcc, exec
.LBB2_1281:                             ;   in Loop: Header=BB2_1260 Depth=3
	s_or_b64 exec, exec, s[36:37]
	s_and_saveexec_b64 vcc, s[26:27]
; %bb.1282:                             ;   in Loop: Header=BB2_1260 Depth=3
	v_accvgpr_read_b32 v3, a17
	v_mul_lo_u32 v0, v5, v30
	v_mul_lo_u32 v3, v2, v3
	v_mad_u64_u32 v[8:9], s[26:27], v2, v30, 0
	v_add3_u32 v9, v9, v3, v0
; %bb.1283:                             ;   in Loop: Header=BB2_1260 Depth=3
	s_or_b64 exec, exec, vcc
	v_lshlrev_b64 v[2:3], 1, v[8:9]
	v_add_co_u32_e32 v2, vcc, v36, v2
	v_addc_co_u32_e32 v3, vcc, v37, v3, vcc
	s_trap 2
	ds_write_b64 v0, v[2:3]
	v_and_b32_e32 v0, 0x2000, v62
	v_cmp_ne_u32_e32 vcc, 0, v0
	s_and_saveexec_b64 s[26:27], vcc
	s_cbranch_execz .LBB2_1285
; %bb.1284:                             ;   in Loop: Header=BB2_1260 Depth=3
	ds_read_b64 v[2:3], v0 offset:584
	s_waitcnt lgkmcnt(0)
	v_add_co_u32_e32 v2, vcc, 1, v2
	v_addc_co_u32_e32 v3, vcc, 0, v3, vcc
	ds_write_b64 v0, v[2:3] offset:584
.LBB2_1285:                             ;   in Loop: Header=BB2_1260 Depth=3
	s_or_b64 exec, exec, s[26:27]
	v_add_co_u32_e32 v32, vcc, 2, v32
	v_addc_co_u32_e32 v33, vcc, 0, v33, vcc
	s_or_b64 exec, exec, s[34:35]
	s_and_saveexec_b64 s[26:27], s[10:11]
	s_cbranch_execnz .LBB2_1291
.LBB2_1286:                             ;   in Loop: Header=BB2_1260 Depth=3
	s_or_b64 exec, exec, s[26:27]
                                        ; implicit-def: $vgpr2
	s_and_saveexec_b64 s[26:27], s[24:25]
	s_xor_b64 s[26:27], exec, s[26:27]
	s_cbranch_execz .LBB2_1309
.LBB2_1287:                             ;   in Loop: Header=BB2_1260 Depth=3
	s_trap 2
	ds_read_b32 v0, v0
	v_cmp_lt_i32_e32 vcc, 0, v14
	v_and_b32_e32 v3, 16, v62
	v_and_b32_e32 v2, 16, v62
	s_waitcnt lgkmcnt(0)
	v_readfirstlane_b32 s34, v0
	s_cmp_eq_u32 s34, 0
	s_cselect_b64 s[34:35], -1, 0
	s_and_b64 s[34:35], vcc, s[34:35]
	v_cmp_ne_u32_e32 vcc, 0, v3
	s_and_b64 s[34:35], vcc, s[34:35]
	s_and_saveexec_b64 vcc, s[34:35]
	s_cbranch_execz .LBB2_1289
; %bb.1288:                             ;   in Loop: Header=BB2_1260 Depth=3
	v_mov_b32_e32 v2, 1
	s_waitcnt vmcnt(0)
	buffer_wbinvl1_vol
.LBB2_1289:                             ;   in Loop: Header=BB2_1260 Depth=3
	s_or_b64 exec, exec, vcc
	s_andn2_saveexec_b64 s[26:27], s[26:27]
	s_cbranch_execz .LBB2_1328
	s_branch .LBB2_1310
.LBB2_1290:                             ;   in Loop: Header=BB2_1260 Depth=3
	s_or_b64 exec, exec, s[34:35]
	s_and_saveexec_b64 s[26:27], s[10:11]
	s_cbranch_execz .LBB2_1286
.LBB2_1291:                             ;   in Loop: Header=BB2_1260 Depth=3
	s_and_saveexec_b64 vcc, s[48:49]
	s_xor_b64 s[34:35], exec, vcc
	s_cbranch_execz .LBB2_1306
; %bb.1292:                             ;   in Loop: Header=BB2_1260 Depth=3
	s_and_saveexec_b64 s[36:37], s[16:17]
	s_cbranch_execz .LBB2_1305
; %bb.1293:                             ;   in Loop: Header=BB2_1260 Depth=3
	s_mov_b64 s[56:57], exec
	v_mbcnt_lo_u32_b32 v0, s56, 0
	v_mbcnt_hi_u32_b32 v0, s57, v0
	v_cmp_eq_u32_e32 vcc, 0, v0
	s_waitcnt vmcnt(0) lgkmcnt(0)
	buffer_wbinvl1_vol
	s_and_saveexec_b64 s[38:39], vcc
	s_cbranch_execz .LBB2_1295
; %bb.1294:                             ;   in Loop: Header=BB2_1260 Depth=3
	s_bcnt1_i32_b64 vcc_lo, s[56:57]
	v_mov_b32_e32 v2, vcc_lo
	v_mov_b32_e32 v3, v52
	ds_add_u64 v0, v[2:3]
	s_trap 2
.LBB2_1295:                             ;   in Loop: Header=BB2_1260 Depth=3
	s_or_b64 exec, exec, s[38:39]
	s_trap 2
	ds_read_b64 v[2:3], v0
	v_add_co_u32_e32 v48, vcc, v48, v54
	v_addc_co_u32_e32 v49, vcc, 0, v49, vcc
	s_waitcnt lgkmcnt(0)
	v_cmp_lt_u64_e32 vcc, v[2:3], v[48:49]
	s_and_saveexec_b64 s[38:39], vcc
	s_cbranch_execz .LBB2_1304
; %bb.1296:                             ;   in Loop: Header=BB2_1260 Depth=3
	s_mov_b32 s66, 0
	s_mov_b64 s[56:57], 0
                                        ; implicit-def: $sgpr58_sgpr59
                                        ; implicit-def: $sgpr60_sgpr61
	s_branch .LBB2_1298
.LBB2_1297:                             ;   in Loop: Header=BB2_1298 Depth=4
	s_or_b64 exec, exec, s[64:65]
	s_and_b64 vcc, exec, vcc
	s_or_b64 s[56:57], vcc, s[56:57]
	s_andn2_b64 vcc, s[58:59], exec
	s_and_b64 s[58:59], s[60:61], exec
	s_or_b64 s[58:59], vcc, s[58:59]
	s_andn2_b64 exec, exec, s[56:57]
	s_cbranch_execz .LBB2_1302
.LBB2_1298:                             ;   Parent Loop BB2_47 Depth=1
                                        ;     Parent Loop BB2_1075 Depth=2
                                        ;       Parent Loop BB2_1260 Depth=3
                                        ; =>      This Inner Loop Header: Depth=4
	s_add_i32 s66, s66, 1
	s_cmpk_lg_i32 s66, 0x2710
	s_cselect_b64 s[62:63], -1, 0
	s_and_b64 vcc, exec, s[62:63]
                                        ; implicit-def: $sgpr64_sgpr65
	s_cbranch_vccnz .LBB2_1300
; %bb.1299:                             ;   in Loop: Header=BB2_1298 Depth=4
	s_trap 2
	ds_read_b64 v[2:3], v0
	s_andn2_b64 s[62:63], s[62:63], exec
	s_mov_b32 s66, 0
	s_mov_b64 s[64:65], -1
	s_waitcnt lgkmcnt(0)
	flat_load_dword v0, v[2:3] glc
	s_waitcnt vmcnt(0) lgkmcnt(0)
	buffer_invl2
	buffer_wbinvl1_vol
	v_cmp_eq_u32_e32 vcc, 0, v0
	s_and_b64 vcc, vcc, exec
	s_or_b64 s[62:63], s[62:63], vcc
.LBB2_1300:                             ;   in Loop: Header=BB2_1298 Depth=4
	s_andn2_b64 s[60:61], s[60:61], exec
	s_and_b64 s[64:65], s[64:65], exec
	s_mov_b64 vcc, -1
	s_or_b64 s[60:61], s[60:61], s[64:65]
	s_and_saveexec_b64 s[64:65], s[62:63]
	s_cbranch_execz .LBB2_1297
; %bb.1301:                             ;   in Loop: Header=BB2_1298 Depth=4
	s_sleep 1
	s_trap 2
	ds_read_b64 v[2:3], v0
	s_andn2_b64 s[60:61], s[60:61], exec
	s_waitcnt lgkmcnt(0)
	v_cmp_ge_u64_e32 vcc, v[2:3], v[48:49]
	s_orn2_b64 vcc, vcc, exec
	s_branch .LBB2_1297
.LBB2_1302:                             ;   in Loop: Header=BB2_1260 Depth=3
	s_or_b64 exec, exec, s[56:57]
	s_and_saveexec_b64 vcc, s[58:59]
	s_xor_b64 vcc, exec, vcc
	s_cbranch_execz .LBB2_1304
; %bb.1303:                             ;   in Loop: Header=BB2_1260 Depth=3
	ds_write_b32 v0, v43
	s_trap 2
.LBB2_1304:                             ;   in Loop: Header=BB2_1260 Depth=3
	s_or_b64 exec, exec, s[38:39]
	;;#ASMSTART
	s_wakeup
	;;#ASMEND
.LBB2_1305:                             ;   in Loop: Header=BB2_1260 Depth=3
	s_or_b64 exec, exec, s[36:37]
.LBB2_1306:                             ;   in Loop: Header=BB2_1260 Depth=3
	s_andn2_saveexec_b64 vcc, s[34:35]
	s_cbranch_execz .LBB2_1308
; %bb.1307:                             ;   in Loop: Header=BB2_1260 Depth=3
	s_waitcnt vmcnt(0) lgkmcnt(0)
	buffer_wbinvl1_vol
	s_barrier
.LBB2_1308:                             ;   in Loop: Header=BB2_1260 Depth=3
	s_or_b64 exec, exec, vcc
	s_or_b64 exec, exec, s[26:27]
                                        ; implicit-def: $vgpr2
	s_and_saveexec_b64 s[26:27], s[24:25]
	s_xor_b64 s[26:27], exec, s[26:27]
	s_cbranch_execnz .LBB2_1287
.LBB2_1309:                             ;   in Loop: Header=BB2_1260 Depth=3
	s_andn2_saveexec_b64 s[26:27], s[26:27]
	s_cbranch_execz .LBB2_1328
.LBB2_1310:                             ;   in Loop: Header=BB2_1260 Depth=3
	s_and_saveexec_b64 vcc, s[48:49]
	s_xor_b64 s[34:35], exec, vcc
	s_cbranch_execz .LBB2_1325
; %bb.1311:                             ;   in Loop: Header=BB2_1260 Depth=3
	s_and_saveexec_b64 s[36:37], s[16:17]
	s_cbranch_execz .LBB2_1324
; %bb.1312:                             ;   in Loop: Header=BB2_1260 Depth=3
	s_mov_b64 s[56:57], exec
	v_mbcnt_lo_u32_b32 v0, s56, 0
	v_mbcnt_hi_u32_b32 v0, s57, v0
	v_cmp_eq_u32_e32 vcc, 0, v0
	;;#ASMSTART
	s_waitcnt lgkmcnt(0) vmcnt(0)
	;;#ASMEND
	s_and_saveexec_b64 s[38:39], vcc
	s_cbranch_execz .LBB2_1314
; %bb.1313:                             ;   in Loop: Header=BB2_1260 Depth=3
	s_bcnt1_i32_b64 vcc_lo, s[56:57]
	v_mov_b32_e32 v2, vcc_lo
	v_mov_b32_e32 v3, v52
	ds_add_u64 v0, v[2:3]
	s_trap 2
.LBB2_1314:                             ;   in Loop: Header=BB2_1260 Depth=3
	s_or_b64 exec, exec, s[38:39]
	s_trap 2
	ds_read_b64 v[2:3], v0
	v_add_co_u32_e32 v48, vcc, v48, v54
	v_addc_co_u32_e32 v49, vcc, 0, v49, vcc
	s_waitcnt lgkmcnt(0)
	v_cmp_lt_u64_e32 vcc, v[2:3], v[48:49]
	s_and_saveexec_b64 s[38:39], vcc
	s_cbranch_execz .LBB2_1323
; %bb.1315:                             ;   in Loop: Header=BB2_1260 Depth=3
	s_mov_b32 s66, 0
	s_mov_b64 s[56:57], 0
                                        ; implicit-def: $sgpr58_sgpr59
                                        ; implicit-def: $sgpr60_sgpr61
	s_branch .LBB2_1317
.LBB2_1316:                             ;   in Loop: Header=BB2_1317 Depth=4
	s_or_b64 exec, exec, s[64:65]
	s_and_b64 vcc, exec, vcc
	s_or_b64 s[56:57], vcc, s[56:57]
	s_andn2_b64 vcc, s[58:59], exec
	s_and_b64 s[58:59], s[60:61], exec
	s_or_b64 s[58:59], vcc, s[58:59]
	s_andn2_b64 exec, exec, s[56:57]
	s_cbranch_execz .LBB2_1321
.LBB2_1317:                             ;   Parent Loop BB2_47 Depth=1
                                        ;     Parent Loop BB2_1075 Depth=2
                                        ;       Parent Loop BB2_1260 Depth=3
                                        ; =>      This Inner Loop Header: Depth=4
	s_add_i32 s66, s66, 1
	s_cmpk_lg_i32 s66, 0x2710
	s_cselect_b64 s[62:63], -1, 0
	s_and_b64 vcc, exec, s[62:63]
                                        ; implicit-def: $sgpr64_sgpr65
	s_cbranch_vccnz .LBB2_1319
; %bb.1318:                             ;   in Loop: Header=BB2_1317 Depth=4
	s_trap 2
	ds_read_b64 v[2:3], v0
	s_andn2_b64 s[62:63], s[62:63], exec
	s_mov_b32 s66, 0
	s_mov_b64 s[64:65], -1
	s_waitcnt vmcnt(0) lgkmcnt(0)
	flat_load_dword v0, v[2:3] glc
	s_waitcnt vmcnt(0) lgkmcnt(0)
	buffer_invl2
	buffer_wbinvl1_vol
	v_cmp_eq_u32_e32 vcc, 0, v0
	s_and_b64 vcc, vcc, exec
	s_or_b64 s[62:63], s[62:63], vcc
.LBB2_1319:                             ;   in Loop: Header=BB2_1317 Depth=4
	s_andn2_b64 s[60:61], s[60:61], exec
	s_and_b64 s[64:65], s[64:65], exec
	s_mov_b64 vcc, -1
	s_or_b64 s[60:61], s[60:61], s[64:65]
	s_and_saveexec_b64 s[64:65], s[62:63]
	s_cbranch_execz .LBB2_1316
; %bb.1320:                             ;   in Loop: Header=BB2_1317 Depth=4
	s_sleep 1
	s_trap 2
	ds_read_b64 v[2:3], v0
	s_andn2_b64 s[60:61], s[60:61], exec
	s_waitcnt lgkmcnt(0)
	v_cmp_ge_u64_e32 vcc, v[2:3], v[48:49]
	s_orn2_b64 vcc, vcc, exec
	s_branch .LBB2_1316
.LBB2_1321:                             ;   in Loop: Header=BB2_1260 Depth=3
	s_or_b64 exec, exec, s[56:57]
	s_and_saveexec_b64 vcc, s[58:59]
	s_xor_b64 vcc, exec, vcc
	s_cbranch_execz .LBB2_1323
; %bb.1322:                             ;   in Loop: Header=BB2_1260 Depth=3
	ds_write_b32 v0, v43
	s_trap 2
.LBB2_1323:                             ;   in Loop: Header=BB2_1260 Depth=3
	s_or_b64 exec, exec, s[38:39]
	;;#ASMSTART
	s_wakeup
	;;#ASMEND
.LBB2_1324:                             ;   in Loop: Header=BB2_1260 Depth=3
	s_or_b64 exec, exec, s[36:37]
.LBB2_1325:                             ;   in Loop: Header=BB2_1260 Depth=3
	s_andn2_saveexec_b64 vcc, s[34:35]
	s_cbranch_execz .LBB2_1327
; %bb.1326:                             ;   in Loop: Header=BB2_1260 Depth=3
	;;#ASMSTART
	s_waitcnt lgkmcnt(0) vmcnt(0)
	;;#ASMEND
	s_barrier
.LBB2_1327:                             ;   in Loop: Header=BB2_1260 Depth=3
	s_or_b64 exec, exec, vcc
	v_and_b32_e32 v2, 16, v62
.LBB2_1328:                             ;   in Loop: Header=BB2_1260 Depth=3
	s_or_b64 exec, exec, s[26:27]
	v_cmp_ne_u32_e32 vcc, 0, v2
	s_xor_b64 s[26:27], s[12:13], -1
	s_and_b64 vcc, vcc, s[26:27]
	s_and_saveexec_b64 s[26:27], vcc
	s_cbranch_execz .LBB2_1330
; %bb.1329:                             ;   in Loop: Header=BB2_1260 Depth=3
	flat_store_dword v[58:59], v43
.LBB2_1330:                             ;   in Loop: Header=BB2_1260 Depth=3
	s_or_b64 exec, exec, s[26:27]
	v_and_b32_e32 v0, 48, v62
	v_cmp_ne_u32_e32 vcc, 0, v0
	s_and_saveexec_b64 s[26:27], vcc
	s_cbranch_execz .LBB2_1259
; %bb.1331:                             ;   in Loop: Header=BB2_1260 Depth=3
	v_add_co_u32_e32 v32, vcc, 2, v32
	v_addc_co_u32_e32 v33, vcc, 0, v33, vcc
	flat_store_dwordx2 v[34:35], v[32:33]
	s_branch .LBB2_1259
.LBB2_1332:                             ;   in Loop: Header=BB2_1075 Depth=2
	s_or_b64 exec, exec, s[38:39]
	s_or_b64 exec, exec, s[36:37]
	v_cmp_gt_i32_e32 vcc, 2, v4
	s_and_saveexec_b64 s[28:29], vcc
	s_cbranch_execnz .LBB2_1258
.LBB2_1333:                             ;   in Loop: Header=BB2_1075 Depth=2
	s_or_b64 exec, exec, s[28:29]
	s_add_i32 s26, s46, 1
	s_cmp_eq_u32 s46, s82
	s_cbranch_scc0 .LBB2_1335
	s_branch .LBB2_1336
.LBB2_1334:                             ;   in Loop: Header=BB2_1075 Depth=2
	s_or_b64 exec, exec, s[30:31]
	s_or_b64 exec, exec, s[28:29]
	s_add_i32 s26, s46, 1
	s_cmp_eq_u32 s46, s82
	s_cbranch_scc1 .LBB2_1336
.LBB2_1335:                             ;   in Loop: Header=BB2_1075 Depth=2
	s_mov_b32 s46, s26
	s_branch .LBB2_1075
.LBB2_1336:                             ;   in Loop: Header=BB2_47 Depth=1
	v_accvgpr_read_b32 v6, a30
	v_accvgpr_read_b32 v7, a31
	v_mul_lo_u32 v0, v7, s80
	v_mul_lo_u32 v2, v6, s81
	v_mad_u64_u32 v[4:5], s[26:27], v6, s80, 0
	v_add3_u32 v5, v5, v2, v0
	v_accvgpr_read_b32 v2, a32
	v_accvgpr_read_b32 v3, a33
	v_sub_co_u32_e32 v2, vcc, v2, v4
	v_subb_co_u32_e32 v3, vcc, v3, v5, vcc
	v_cmp_lt_i64_e32 vcc, v[6:7], v[2:3]
	v_cndmask_b32_e32 v0, v2, v6, vcc
	v_max_i32_e32 v14, 0, v0
	v_add_u32_e32 v2, 31, v14
	v_lshrrev_b32_e32 v2, 1, v2
	v_and_b32_e32 v2, 0x3ffffff0, v2
	v_cmp_lt_i32_e32 vcc, 0, v0
	v_max_i32_e32 v15, s79, v2
	s_and_b64 s[26:27], s[54:55], vcc
	v_mov_b32_e32 v3, 0
	v_mov_b32_e32 v2, 0
	s_and_saveexec_b64 s[28:29], s[26:27]
	s_cbranch_execz .LBB2_1476
; %bb.1337:                             ;   in Loop: Header=BB2_47 Depth=1
	v_accvgpr_read_b32 v2, a34
	v_accvgpr_read_b32 v3, a35
	v_add_co_u32_e32 v4, vcc, v4, v2
	v_addc_co_u32_e32 v5, vcc, v5, v3, vcc
	s_mov_b32 s46, 1
	s_mov_b64 s[34:35], -1
	s_mov_b64 s[30:31], 0
	v_mov_b32_e32 v2, 0
	v_lshlrev_b64 v[8:9], 1, v[4:5]
	s_branch .LBB2_1339
.LBB2_1338:                             ;   in Loop: Header=BB2_1339 Depth=2
	s_or_b64 exec, exec, s[26:27]
	v_add_u32_e32 v2, v15, v2
	v_cmp_ge_i32_e32 vcc, v2, v14
	s_xor_b64 s[26:27], s[34:35], -1
	s_or_b64 s[26:27], s[26:27], vcc
	s_and_b64 s[26:27], exec, s[26:27]
	s_or_b64 s[30:31], s[26:27], s[30:31]
	s_mov_b64 s[34:35], 0
	v_mov_b32_e32 v3, s46
	s_mov_b32 s46, 2
	s_andn2_b64 exec, exec, s[30:31]
	s_cbranch_execz .LBB2_1475
.LBB2_1339:                             ;   Parent Loop BB2_47 Depth=1
                                        ; =>  This Loop Header: Depth=2
                                        ;       Child Loop BB2_1347 Depth 3
                                        ;       Child Loop BB2_1371 Depth 3
	;; [unrolled: 1-line block ×9, first 2 shown]
	s_and_saveexec_b64 s[26:27], s[4:5]
	s_cbranch_execz .LBB2_1341
; %bb.1340:                             ;   in Loop: Header=BB2_1339 Depth=2
	s_trap 2
	ds_read_b128 v[10:13], v0
	v_ashrrev_i32_e32 v3, 31, v2
	v_lshlrev_b64 v[4:5], 1, v[2:3]
	s_waitcnt lgkmcnt(0)
	v_add_co_u32_e32 v0, vcc, v10, v8
	v_addc_co_u32_e32 v6, vcc, v11, v9, vcc
	v_add_co_u32_e32 v10, vcc, v0, v4
	v_addc_co_u32_e32 v11, vcc, v6, v5, vcc
	ds_write_b64 v0, v[10:11]
	v_add_co_u32_e32 v0, vcc, v12, v8
	v_addc_co_u32_e32 v3, vcc, v13, v9, vcc
	v_add_co_u32_e32 v0, vcc, v0, v4
	v_addc_co_u32_e32 v3, vcc, v3, v5, vcc
	v_cmp_ne_u64_e32 vcc, 0, v[12:13]
	v_cndmask_b32_e32 v5, 0, v3, vcc
	v_cndmask_b32_e32 v4, 0, v0, vcc
	ds_write_b64 v0, v[4:5]
.LBB2_1341:                             ;   in Loop: Header=BB2_1339 Depth=2
	s_or_b64 exec, exec, s[26:27]
	v_and_b32_e32 v0, 4, v62
	v_cmp_ne_u32_e32 vcc, 0, v0
	s_mov_b64 s[36:37], -1
	s_and_saveexec_b64 s[26:27], vcc
	s_cbranch_execz .LBB2_1351
; %bb.1342:                             ;   in Loop: Header=BB2_1339 Depth=2
	v_add_co_u32_e32 v4, vcc, 2, v32
	v_addc_co_u32_e32 v5, vcc, 0, v33, vcc
	v_cmp_lt_u64_e32 vcc, v[50:51], v[4:5]
	v_mov_b32_e32 v0, 1
	s_and_saveexec_b64 s[36:37], vcc
	s_cbranch_execz .LBB2_1362
; %bb.1343:                             ;   in Loop: Header=BB2_1339 Depth=2
	s_mov_b64 s[38:39], 0
	v_mov_b32_e32 v3, 0
                                        ; implicit-def: $sgpr56_sgpr57
	s_branch .LBB2_1347
.LBB2_1344:                             ;   in Loop: Header=BB2_1347 Depth=3
	s_or_b64 exec, exec, s[64:65]
	v_mov_b32_e32 v0, 0
	s_orn2_b64 s[62:63], s[62:63], exec
.LBB2_1345:                             ;   in Loop: Header=BB2_1347 Depth=3
	s_or_b64 exec, exec, s[60:61]
	s_andn2_b64 vcc, s[56:57], exec
	s_and_b64 s[56:57], s[62:63], exec
	s_or_b64 s[56:57], vcc, s[56:57]
	v_mov_b32_e32 v3, v0
.LBB2_1346:                             ;   in Loop: Header=BB2_1347 Depth=3
	s_or_b64 exec, exec, s[58:59]
	s_waitcnt vmcnt(0) lgkmcnt(0)
	v_cmp_ge_u64_e32 vcc, v[50:51], v[4:5]
	s_xor_b64 s[58:59], s[56:57], -1
	s_or_b64 vcc, s[58:59], vcc
	s_and_b64 vcc, exec, vcc
	s_or_b64 s[38:39], vcc, s[38:39]
	s_andn2_b64 exec, exec, s[38:39]
	s_cbranch_execz .LBB2_1361
.LBB2_1347:                             ;   Parent Loop BB2_47 Depth=1
                                        ;     Parent Loop BB2_1339 Depth=2
                                        ; =>    This Inner Loop Header: Depth=3
	s_sleep 1
	flat_load_dwordx2 v[50:51], v[34:35] glc
	v_and_b32_e32 v0, 64, v62
	v_cmp_eq_u32_e32 vcc, 0, v0
	s_andn2_b64 s[56:57], s[56:57], exec
	s_and_saveexec_b64 s[58:59], vcc
	s_cbranch_execz .LBB2_1346
; %bb.1348:                             ;   in Loop: Header=BB2_1347 Depth=3
	v_add_u32_e32 v0, 1, v3
	v_cmp_lt_i32_e32 vcc, s83, v3
	s_mov_b64 s[62:63], -1
	s_and_saveexec_b64 s[60:61], vcc
	s_cbranch_execz .LBB2_1345
; %bb.1349:                             ;   in Loop: Header=BB2_1347 Depth=3
	s_trap 2
	ds_read_b64 v[10:11], v0
	s_waitcnt vmcnt(0) lgkmcnt(0)
	flat_load_dword v0, v[10:11] glc
	s_waitcnt vmcnt(0) lgkmcnt(0)
	buffer_invl2
	buffer_wbinvl1_vol
	v_cmp_ne_u32_e32 vcc, 0, v0
	s_and_saveexec_b64 s[64:65], vcc
	s_cbranch_execz .LBB2_1344
; %bb.1350:                             ;   in Loop: Header=BB2_1347 Depth=3
	v_or_b32_e32 v62, 64, v62
	s_xor_b64 s[62:63], exec, -1
	ds_write_b32 v0, v0
	s_trap 2
	s_branch .LBB2_1344
.LBB2_1351:                             ;   in Loop: Header=BB2_1339 Depth=2
	s_or_b64 exec, exec, s[26:27]
	s_xor_b64 s[26:27], s[36:37], -1
	s_and_saveexec_b64 s[36:37], s[26:27]
	s_cbranch_execz .LBB2_1363
.LBB2_1352:                             ;   in Loop: Header=BB2_1339 Depth=2
	v_and_b32_e32 v0, 0x100, v62
	v_cmp_ne_u32_e32 vcc, 0, v0
	v_and_b32_e32 v3, 7, v32
	s_mov_b64 s[26:27], -1
                                        ; implicit-def: $vgpr4_vgpr5
	s_and_saveexec_b64 s[38:39], vcc
	s_cbranch_execz .LBB2_1356
; %bb.1353:                             ;   in Loop: Header=BB2_1339 Depth=2
	v_accvgpr_read_b32 v4, a12
	v_accvgpr_read_b32 v5, a13
	v_mad_u64_u32 v[10:11], s[26:27], v3, 24, v[4:5]
	flat_load_dword v0, v[10:11]
                                        ; implicit-def: $vgpr4_vgpr5
	s_waitcnt vmcnt(0) lgkmcnt(0)
	v_cmp_ne_u32_e32 vcc, 1, v0
	v_cmp_eq_u32_e64 s[26:27], 1, v0
	s_and_saveexec_b64 s[56:57], s[26:27]
	s_cbranch_execz .LBB2_1355
; %bb.1354:                             ;   in Loop: Header=BB2_1339 Depth=2
	flat_load_dword v4, v[10:11] offset:4 glc
	s_waitcnt vmcnt(0) lgkmcnt(0)
	v_ashrrev_i32_e32 v5, 31, v4
	v_lshrrev_b64 v[4:5], 1, v[4:5]
.LBB2_1355:                             ;   in Loop: Header=BB2_1339 Depth=2
	s_or_b64 exec, exec, s[56:57]
	s_orn2_b64 s[26:27], vcc, exec
.LBB2_1356:                             ;   in Loop: Header=BB2_1339 Depth=2
	s_or_b64 exec, exec, s[38:39]
	s_and_saveexec_b64 vcc, s[26:27]
; %bb.1357:                             ;   in Loop: Header=BB2_1339 Depth=2
	v_mad_i64_i32 v[4:5], s[26:27], v3, v30, 0
; %bb.1358:                             ;   in Loop: Header=BB2_1339 Depth=2
	s_or_b64 exec, exec, vcc
	v_lshlrev_b64 v[4:5], 1, v[4:5]
	v_add_co_u32_e32 v4, vcc, v36, v4
	v_addc_co_u32_e32 v5, vcc, v37, v5, vcc
	ds_write_b64 v0, v[4:5] offset:720
	v_and_b32_e32 v0, 0x2000, v62
	v_cmp_ne_u32_e32 vcc, 0, v0
	s_and_saveexec_b64 s[26:27], vcc
	s_cbranch_execz .LBB2_1360
; %bb.1359:                             ;   in Loop: Header=BB2_1339 Depth=2
	ds_read_b64 v[4:5], v0 offset:584
	s_waitcnt lgkmcnt(0)
	v_add_co_u32_e32 v4, vcc, 1, v4
	v_addc_co_u32_e32 v5, vcc, 0, v5, vcc
	ds_write_b64 v0, v[4:5] offset:584
.LBB2_1360:                             ;   in Loop: Header=BB2_1339 Depth=2
	s_or_b64 exec, exec, s[26:27]
	v_add_co_u32_e32 v32, vcc, 2, v32
	v_addc_co_u32_e32 v33, vcc, 0, v33, vcc
	s_or_b64 exec, exec, s[36:37]
	s_and_saveexec_b64 s[26:27], s[10:11]
	s_cbranch_execz .LBB2_1382
	s_branch .LBB2_1364
.LBB2_1361:                             ;   in Loop: Header=BB2_1339 Depth=2
	s_or_b64 exec, exec, s[38:39]
	v_and_b32_e32 v0, 4, v62
.LBB2_1362:                             ;   in Loop: Header=BB2_1339 Depth=2
	s_or_b64 exec, exec, s[36:37]
	v_cmp_eq_u32_e32 vcc, 0, v0
	s_orn2_b64 s[36:37], vcc, exec
	;;#ASMSTART
	s_wakeup
	;;#ASMEND
	s_or_b64 exec, exec, s[26:27]
	s_xor_b64 s[26:27], s[36:37], -1
	s_and_saveexec_b64 s[36:37], s[26:27]
	s_cbranch_execnz .LBB2_1352
.LBB2_1363:                             ;   in Loop: Header=BB2_1339 Depth=2
	s_or_b64 exec, exec, s[36:37]
	s_and_saveexec_b64 s[26:27], s[10:11]
	s_cbranch_execz .LBB2_1382
.LBB2_1364:                             ;   in Loop: Header=BB2_1339 Depth=2
	s_and_saveexec_b64 vcc, s[48:49]
	s_xor_b64 s[36:37], exec, vcc
	s_cbranch_execz .LBB2_1379
; %bb.1365:                             ;   in Loop: Header=BB2_1339 Depth=2
	s_and_saveexec_b64 s[38:39], s[16:17]
	s_cbranch_execz .LBB2_1378
; %bb.1366:                             ;   in Loop: Header=BB2_1339 Depth=2
	s_mov_b64 s[58:59], exec
	v_mbcnt_lo_u32_b32 v0, s58, 0
	v_mbcnt_hi_u32_b32 v0, s59, v0
	v_cmp_eq_u32_e32 vcc, 0, v0
	s_waitcnt vmcnt(0) lgkmcnt(0)
	buffer_wbinvl1_vol
	s_and_saveexec_b64 s[56:57], vcc
	s_cbranch_execz .LBB2_1368
; %bb.1367:                             ;   in Loop: Header=BB2_1339 Depth=2
	s_bcnt1_i32_b64 vcc_lo, s[58:59]
	v_mov_b32_e32 v4, vcc_lo
	v_mov_b32_e32 v5, v52
	ds_add_u64 v0, v[4:5]
	s_trap 2
.LBB2_1368:                             ;   in Loop: Header=BB2_1339 Depth=2
	s_or_b64 exec, exec, s[56:57]
	s_trap 2
	ds_read_b64 v[4:5], v0
	v_add_co_u32_e32 v48, vcc, v48, v54
	v_addc_co_u32_e32 v49, vcc, 0, v49, vcc
	s_waitcnt lgkmcnt(0)
	v_cmp_lt_u64_e32 vcc, v[4:5], v[48:49]
	s_and_saveexec_b64 s[56:57], vcc
	s_cbranch_execz .LBB2_1377
; %bb.1369:                             ;   in Loop: Header=BB2_1339 Depth=2
	s_mov_b32 s68, 0
	s_mov_b64 s[58:59], 0
                                        ; implicit-def: $sgpr60_sgpr61
                                        ; implicit-def: $sgpr62_sgpr63
	s_branch .LBB2_1371
.LBB2_1370:                             ;   in Loop: Header=BB2_1371 Depth=3
	s_or_b64 exec, exec, s[66:67]
	s_and_b64 vcc, exec, vcc
	s_or_b64 s[58:59], vcc, s[58:59]
	s_andn2_b64 vcc, s[60:61], exec
	s_and_b64 s[60:61], s[62:63], exec
	s_or_b64 s[60:61], vcc, s[60:61]
	s_andn2_b64 exec, exec, s[58:59]
	s_cbranch_execz .LBB2_1375
.LBB2_1371:                             ;   Parent Loop BB2_47 Depth=1
                                        ;     Parent Loop BB2_1339 Depth=2
                                        ; =>    This Inner Loop Header: Depth=3
	s_add_i32 s68, s68, 1
	s_cmpk_lg_i32 s68, 0x2710
	s_cselect_b64 s[64:65], -1, 0
	s_and_b64 vcc, exec, s[64:65]
                                        ; implicit-def: $sgpr66_sgpr67
	s_cbranch_vccnz .LBB2_1373
; %bb.1372:                             ;   in Loop: Header=BB2_1371 Depth=3
	s_trap 2
	ds_read_b64 v[4:5], v0
	s_andn2_b64 s[64:65], s[64:65], exec
	s_mov_b32 s68, 0
	s_mov_b64 s[66:67], -1
	s_waitcnt lgkmcnt(0)
	flat_load_dword v0, v[4:5] glc
	s_waitcnt vmcnt(0) lgkmcnt(0)
	buffer_invl2
	buffer_wbinvl1_vol
	v_cmp_eq_u32_e32 vcc, 0, v0
	s_and_b64 vcc, vcc, exec
	s_or_b64 s[64:65], s[64:65], vcc
.LBB2_1373:                             ;   in Loop: Header=BB2_1371 Depth=3
	s_andn2_b64 s[62:63], s[62:63], exec
	s_and_b64 s[66:67], s[66:67], exec
	s_mov_b64 vcc, -1
	s_or_b64 s[62:63], s[62:63], s[66:67]
	s_and_saveexec_b64 s[66:67], s[64:65]
	s_cbranch_execz .LBB2_1370
; %bb.1374:                             ;   in Loop: Header=BB2_1371 Depth=3
	s_sleep 1
	s_trap 2
	ds_read_b64 v[4:5], v0
	s_andn2_b64 s[62:63], s[62:63], exec
	s_waitcnt lgkmcnt(0)
	v_cmp_ge_u64_e32 vcc, v[4:5], v[48:49]
	s_orn2_b64 vcc, vcc, exec
	s_branch .LBB2_1370
.LBB2_1375:                             ;   in Loop: Header=BB2_1339 Depth=2
	s_or_b64 exec, exec, s[58:59]
	s_and_saveexec_b64 vcc, s[60:61]
	s_xor_b64 vcc, exec, vcc
	s_cbranch_execz .LBB2_1377
; %bb.1376:                             ;   in Loop: Header=BB2_1339 Depth=2
	ds_write_b32 v0, v43
	s_trap 2
.LBB2_1377:                             ;   in Loop: Header=BB2_1339 Depth=2
	s_or_b64 exec, exec, s[56:57]
	;;#ASMSTART
	s_wakeup
	;;#ASMEND
.LBB2_1378:                             ;   in Loop: Header=BB2_1339 Depth=2
	s_or_b64 exec, exec, s[38:39]
.LBB2_1379:                             ;   in Loop: Header=BB2_1339 Depth=2
	s_andn2_saveexec_b64 vcc, s[36:37]
	s_cbranch_execz .LBB2_1381
; %bb.1380:                             ;   in Loop: Header=BB2_1339 Depth=2
	s_waitcnt vmcnt(0) lgkmcnt(0)
	buffer_wbinvl1_vol
	s_barrier
.LBB2_1381:                             ;   in Loop: Header=BB2_1339 Depth=2
	s_or_b64 exec, exec, vcc
.LBB2_1382:                             ;   in Loop: Header=BB2_1339 Depth=2
	s_or_b64 exec, exec, s[26:27]
	s_trap 2
	ds_read_b32 v3, v0
	v_and_b32_e32 v0, 0x4000, v62
	v_cmp_ne_u32_e32 vcc, 0, v0
	s_xor_b64 s[26:27], s[6:7], -1
	s_and_b64 vcc, s[26:27], vcc
	s_and_saveexec_b64 s[26:27], vcc
	s_cbranch_execz .LBB2_1401
; %bb.1383:                             ;   in Loop: Header=BB2_1339 Depth=2
	s_and_saveexec_b64 vcc, s[48:49]
	s_xor_b64 s[36:37], exec, vcc
	s_cbranch_execz .LBB2_1398
; %bb.1384:                             ;   in Loop: Header=BB2_1339 Depth=2
	s_and_saveexec_b64 s[38:39], s[16:17]
	s_cbranch_execz .LBB2_1397
; %bb.1385:                             ;   in Loop: Header=BB2_1339 Depth=2
	s_mov_b64 s[58:59], exec
	v_mbcnt_lo_u32_b32 v0, s58, 0
	v_mbcnt_hi_u32_b32 v0, s59, v0
	v_cmp_eq_u32_e32 vcc, 0, v0
	s_waitcnt vmcnt(0) lgkmcnt(0)
	buffer_wbinvl1_vol
	s_and_saveexec_b64 s[56:57], vcc
	s_cbranch_execz .LBB2_1387
; %bb.1386:                             ;   in Loop: Header=BB2_1339 Depth=2
	s_bcnt1_i32_b64 vcc_lo, s[58:59]
	v_mov_b32_e32 v4, vcc_lo
	v_mov_b32_e32 v5, v52
	ds_add_u64 v0, v[4:5]
	s_trap 2
.LBB2_1387:                             ;   in Loop: Header=BB2_1339 Depth=2
	s_or_b64 exec, exec, s[56:57]
	s_trap 2
	ds_read_b64 v[4:5], v0
	v_add_co_u32_e32 v48, vcc, v48, v54
	v_addc_co_u32_e32 v49, vcc, 0, v49, vcc
	s_waitcnt lgkmcnt(0)
	v_cmp_lt_u64_e32 vcc, v[4:5], v[48:49]
	s_and_saveexec_b64 s[56:57], vcc
	s_cbranch_execz .LBB2_1396
; %bb.1388:                             ;   in Loop: Header=BB2_1339 Depth=2
	s_mov_b32 s68, 0
	s_mov_b64 s[58:59], 0
                                        ; implicit-def: $sgpr60_sgpr61
                                        ; implicit-def: $sgpr62_sgpr63
	s_branch .LBB2_1390
.LBB2_1389:                             ;   in Loop: Header=BB2_1390 Depth=3
	s_or_b64 exec, exec, s[66:67]
	s_and_b64 vcc, exec, vcc
	s_or_b64 s[58:59], vcc, s[58:59]
	s_andn2_b64 vcc, s[60:61], exec
	s_and_b64 s[60:61], s[62:63], exec
	s_or_b64 s[60:61], vcc, s[60:61]
	s_andn2_b64 exec, exec, s[58:59]
	s_cbranch_execz .LBB2_1394
.LBB2_1390:                             ;   Parent Loop BB2_47 Depth=1
                                        ;     Parent Loop BB2_1339 Depth=2
                                        ; =>    This Inner Loop Header: Depth=3
	s_add_i32 s68, s68, 1
	s_cmpk_lg_i32 s68, 0x2710
	s_cselect_b64 s[64:65], -1, 0
	s_and_b64 vcc, exec, s[64:65]
                                        ; implicit-def: $sgpr66_sgpr67
	s_cbranch_vccnz .LBB2_1392
; %bb.1391:                             ;   in Loop: Header=BB2_1390 Depth=3
	s_trap 2
	ds_read_b64 v[4:5], v0
	s_andn2_b64 s[64:65], s[64:65], exec
	s_mov_b32 s68, 0
	s_mov_b64 s[66:67], -1
	s_waitcnt lgkmcnt(0)
	flat_load_dword v0, v[4:5] glc
	s_waitcnt vmcnt(0) lgkmcnt(0)
	buffer_invl2
	buffer_wbinvl1_vol
	v_cmp_eq_u32_e32 vcc, 0, v0
	s_and_b64 vcc, vcc, exec
	s_or_b64 s[64:65], s[64:65], vcc
.LBB2_1392:                             ;   in Loop: Header=BB2_1390 Depth=3
	s_andn2_b64 s[62:63], s[62:63], exec
	s_and_b64 s[66:67], s[66:67], exec
	s_mov_b64 vcc, -1
	s_or_b64 s[62:63], s[62:63], s[66:67]
	s_and_saveexec_b64 s[66:67], s[64:65]
	s_cbranch_execz .LBB2_1389
; %bb.1393:                             ;   in Loop: Header=BB2_1390 Depth=3
	s_sleep 1
	s_trap 2
	ds_read_b64 v[4:5], v0
	s_andn2_b64 s[62:63], s[62:63], exec
	s_waitcnt lgkmcnt(0)
	v_cmp_ge_u64_e32 vcc, v[4:5], v[48:49]
	s_orn2_b64 vcc, vcc, exec
	s_branch .LBB2_1389
.LBB2_1394:                             ;   in Loop: Header=BB2_1339 Depth=2
	s_or_b64 exec, exec, s[58:59]
	s_and_saveexec_b64 vcc, s[60:61]
	s_xor_b64 vcc, exec, vcc
	s_cbranch_execz .LBB2_1396
; %bb.1395:                             ;   in Loop: Header=BB2_1339 Depth=2
	ds_write_b32 v0, v43
	s_trap 2
.LBB2_1396:                             ;   in Loop: Header=BB2_1339 Depth=2
	s_or_b64 exec, exec, s[56:57]
	;;#ASMSTART
	s_wakeup
	;;#ASMEND
.LBB2_1397:                             ;   in Loop: Header=BB2_1339 Depth=2
	s_or_b64 exec, exec, s[38:39]
.LBB2_1398:                             ;   in Loop: Header=BB2_1339 Depth=2
	s_andn2_saveexec_b64 vcc, s[36:37]
	s_cbranch_execz .LBB2_1400
; %bb.1399:                             ;   in Loop: Header=BB2_1339 Depth=2
	s_waitcnt vmcnt(0) lgkmcnt(0)
	buffer_wbinvl1_vol
	s_barrier
.LBB2_1400:                             ;   in Loop: Header=BB2_1339 Depth=2
	s_or_b64 exec, exec, vcc
.LBB2_1401:                             ;   in Loop: Header=BB2_1339 Depth=2
	s_or_b64 exec, exec, s[26:27]
	s_trap 2
	ds_read_b64 v[4:5], v0
	v_sub_u32_e32 v0, v14, v2
	v_min_i32_e32 v15, v15, v0
	v_mov_b32_e32 v16, 0
	s_waitcnt lgkmcnt(0)
	v_readfirstlane_b32 s26, v4
	v_readfirstlane_b32 s27, v5
	s_cmp_eq_u64 s[26:27], 0
	s_cselect_b64 s[26:27], -1, 0
	s_or_b64 s[26:27], s[26:27], s[26:27]
	s_and_b64 vcc, exec, s[26:27]
	s_cbranch_vccnz .LBB2_1417
; %bb.1402:                             ;   in Loop: Header=BB2_1339 Depth=2
	s_mov_b64 s[26:27], -1
	s_and_saveexec_b64 s[36:37], s[20:21]
	s_cbranch_execz .LBB2_1404
; %bb.1403:                             ;   in Loop: Header=BB2_1339 Depth=2
	ds_read_b32 v0, v0 offset:720
	s_waitcnt lgkmcnt(0)
	v_and_b32_e32 v0, 15, v0
	v_cmp_eq_u32_e32 vcc, 0, v0
	s_orn2_b64 s[26:27], vcc, exec
.LBB2_1404:                             ;   in Loop: Header=BB2_1339 Depth=2
	s_or_b64 exec, exec, s[36:37]
	s_and_saveexec_b64 s[36:37], s[18:19]
	s_cbranch_execz .LBB2_1406
; %bb.1405:                             ;   in Loop: Header=BB2_1339 Depth=2
	ds_read_b32 v0, v0 offset:784
	s_waitcnt lgkmcnt(0)
	v_and_b32_e32 v0, 15, v0
	v_cmp_eq_u32_e32 vcc, 0, v0
	s_and_b64 vcc, s[26:27], vcc
	s_andn2_b64 s[26:27], s[26:27], exec
	s_and_b64 vcc, vcc, exec
	s_or_b64 s[26:27], s[26:27], vcc
.LBB2_1406:                             ;   in Loop: Header=BB2_1339 Depth=2
	s_or_b64 exec, exec, s[36:37]
	v_cmp_eq_u32_e32 vcc, 0, v3
	s_xor_b64 s[26:27], s[26:27], -1
	v_cndmask_b32_e32 v16, 0, v15, vcc
	v_cndmask_b32_e64 v0, 0, 1, s[26:27]
	v_mov_b32_e32 v11, 0
	v_lshlrev_b32_e32 v17, 1, v16
	s_mov_b64 s[38:39], -1
	;;#ASMSTART
	;;#ASMEND
	v_cmp_ne_u32_e32 vcc, 0, v0
	s_cbranch_vccz .LBB2_1429
; %bb.1407:                             ;   in Loop: Header=BB2_1339 Depth=2
	v_mov_b32_e32 v18, v56
	v_mov_b32_e32 v3, v57
	s_and_saveexec_b64 s[26:27], s[38:39]
	s_cbranch_execz .LBB2_1442
.LBB2_1408:                             ;   in Loop: Header=BB2_1339 Depth=2
	v_ashrrev_i32_e32 v0, 31, v17
	v_lshrrev_b32_e32 v0, 23, v0
	v_add_u32_e32 v0, v17, v0
	v_ashrrev_i32_e32 v21, 9, v0
	v_sub_u32_e32 v19, v21, v3
	v_ashrrev_i32_e32 v0, 31, v18
	v_cmp_lt_i32_e32 vcc, 0, v19
	v_lshrrev_b32_e32 v20, 26, v0
	s_and_saveexec_b64 s[36:37], vcc
	s_cbranch_execz .LBB2_1412
; %bb.1409:                             ;   in Loop: Header=BB2_1339 Depth=2
	s_trap 2
	ds_read_b64 v[4:5], v0
	v_add_u32_e32 v0, v18, v20
	v_and_b32_e32 v0, 0x7fffffc0, v0
	v_sub_u32_e32 v0, v18, v0
	v_lshlrev_b32_e32 v0, 1, v0
	v_lshlrev_b32_e32 v3, 9, v3
	v_add3_u32 v10, v0, v11, v3
	v_ashrrev_i32_e32 v3, 31, v10
	s_mov_b64 s[38:39], 0
	s_waitcnt lgkmcnt(0)
	v_pk_mov_b32 v[12:13], v[4:5], v[4:5] op_sel:[0,1]
.LBB2_1410:                             ;   Parent Loop BB2_47 Depth=1
                                        ;     Parent Loop BB2_1339 Depth=2
                                        ; =>    This Inner Loop Header: Depth=3
	v_add_co_u32_e32 v22, vcc, v10, v12
	v_addc_co_u32_e32 v23, vcc, v3, v13, vcc
	flat_load_ushort v0, v[22:23] glc slc
	flat_load_ushort v6, v[22:23] offset:128 glc slc
	flat_load_ushort v7, v[22:23] offset:256 glc slc
	;; [unrolled: 1-line block ×3, first 2 shown]
	v_add_co_u32_e32 v22, vcc, v10, v4
	v_addc_co_u32_e32 v23, vcc, v3, v5, vcc
	v_add_co_u32_e32 v12, vcc, v12, v55
	v_addc_co_u32_e32 v13, vcc, v13, v31, vcc
	v_add_co_u32_e32 v4, vcc, v4, v55
	v_sub_u32_e32 v19, v19, v54
	v_addc_co_u32_e32 v5, vcc, v5, v31, vcc
	v_cmp_gt_i32_e32 vcc, 1, v19
	s_or_b64 s[38:39], vcc, s[38:39]
	s_waitcnt vmcnt(0) lgkmcnt(0)
	flat_store_short v[22:23], v0 glc slc
	flat_store_short v[22:23], v6 offset:128 glc slc
	flat_store_short v[22:23], v7 offset:256 glc slc
	;; [unrolled: 1-line block ×3, first 2 shown]
	s_andn2_b64 exec, exec, s[38:39]
	s_cbranch_execnz .LBB2_1410
; %bb.1411:                             ;   in Loop: Header=BB2_1339 Depth=2
	s_or_b64 exec, exec, s[38:39]
	v_accvgpr_read_b32 v25, a21
	v_accvgpr_read_b32 v24, a20
.LBB2_1412:                             ;   in Loop: Header=BB2_1339 Depth=2
	s_or_b64 exec, exec, s[36:37]
	v_lshlrev_b32_e32 v0, 9, v21
	v_cmp_ne_u32_e32 vcc, v17, v0
	s_and_saveexec_b64 s[36:37], vcc
	s_cbranch_execz .LBB2_1416
; %bb.1413:                             ;   in Loop: Header=BB2_1339 Depth=2
	v_add_u32_e32 v3, v18, v20
	v_and_b32_e32 v3, 0xffffffc0, v3
	v_sub_u32_e32 v3, v18, v3
	v_lshlrev_b32_e32 v4, 6, v19
	v_sub_u32_e32 v3, v3, v4
	v_ashrrev_i32_e32 v4, 31, v3
	v_lshrrev_b32_e32 v4, 26, v4
	v_add_u32_e32 v4, v3, v4
	v_and_b32_e32 v5, 0x7fffffc0, v4
	v_sub_u32_e32 v3, v3, v5
	v_lshlrev_b32_e32 v4, 1, v4
	v_and_b32_e32 v4, 0xffffff80, v4
	v_lshlrev_b32_e32 v3, 1, v3
	v_add3_u32 v0, v4, v3, v0
	v_sub_u32_e32 v12, v17, v0
	v_cmp_lt_i32_e32 vcc, 1, v12
	s_and_b64 exec, exec, vcc
	s_cbranch_execz .LBB2_1416
; %bb.1414:                             ;   in Loop: Header=BB2_1339 Depth=2
	s_trap 2
	ds_read_b64 v[4:5], v0
	v_add_u32_e32 v10, v0, v11
	v_ashrrev_i32_e32 v3, 31, v10
	s_mov_b64 s[38:39], 0
.LBB2_1415:                             ;   Parent Loop BB2_47 Depth=1
                                        ;     Parent Loop BB2_1339 Depth=2
                                        ; =>    This Inner Loop Header: Depth=3
	s_waitcnt lgkmcnt(0)
	v_add_co_u32_e32 v18, vcc, v4, v10
	v_addc_co_u32_e32 v19, vcc, v5, v3, vcc
	flat_load_ushort v0, v[18:19] glc slc
	v_add_co_u32_e32 v10, vcc, v10, v61
	v_sub_u32_e32 v12, v12, v27
	v_addc_co_u32_e32 v3, vcc, v3, v28, vcc
	v_cmp_gt_i32_e32 vcc, 2, v12
	s_or_b64 s[38:39], vcc, s[38:39]
	s_waitcnt vmcnt(0) lgkmcnt(0)
	flat_store_short v[18:19], v0 glc slc
	s_andn2_b64 exec, exec, s[38:39]
	s_cbranch_execnz .LBB2_1415
.LBB2_1416:                             ;   in Loop: Header=BB2_1339 Depth=2
	s_or_b64 exec, exec, s[36:37]
	s_or_b64 exec, exec, s[26:27]
	s_and_saveexec_b64 s[26:27], s[10:11]
	s_cbranch_execz .LBB2_1443
	s_branch .LBB2_1418
.LBB2_1417:                             ;   in Loop: Header=BB2_1339 Depth=2
	s_and_saveexec_b64 s[26:27], s[10:11]
	s_cbranch_execz .LBB2_1443
.LBB2_1418:                             ;   in Loop: Header=BB2_1339 Depth=2
	s_and_saveexec_b64 vcc, s[48:49]
	s_xor_b64 s[36:37], exec, vcc
	s_cbranch_execz .LBB2_1451
; %bb.1419:                             ;   in Loop: Header=BB2_1339 Depth=2
	s_and_saveexec_b64 s[38:39], s[16:17]
	s_cbranch_execz .LBB2_1450
; %bb.1420:                             ;   in Loop: Header=BB2_1339 Depth=2
	s_mov_b64 s[58:59], exec
	v_mbcnt_lo_u32_b32 v0, s58, 0
	v_mbcnt_hi_u32_b32 v0, s59, v0
	v_cmp_eq_u32_e32 vcc, 0, v0
	s_waitcnt vmcnt(0) lgkmcnt(0)
	buffer_wbinvl1_vol
	s_and_saveexec_b64 s[56:57], vcc
	s_cbranch_execz .LBB2_1422
; %bb.1421:                             ;   in Loop: Header=BB2_1339 Depth=2
	s_bcnt1_i32_b64 vcc_lo, s[58:59]
	v_mov_b32_e32 v4, vcc_lo
	v_mov_b32_e32 v5, v52
	ds_add_u64 v0, v[4:5]
	s_trap 2
.LBB2_1422:                             ;   in Loop: Header=BB2_1339 Depth=2
	s_or_b64 exec, exec, s[56:57]
	s_trap 2
	ds_read_b64 v[4:5], v0
	v_add_co_u32_e32 v48, vcc, v48, v54
	v_addc_co_u32_e32 v49, vcc, 0, v49, vcc
	s_waitcnt lgkmcnt(0)
	v_cmp_lt_u64_e32 vcc, v[4:5], v[48:49]
	s_and_saveexec_b64 s[56:57], vcc
	s_cbranch_execz .LBB2_1449
; %bb.1423:                             ;   in Loop: Header=BB2_1339 Depth=2
	s_mov_b32 s68, 0
	s_mov_b64 s[58:59], 0
                                        ; implicit-def: $sgpr60_sgpr61
                                        ; implicit-def: $sgpr62_sgpr63
	s_branch .LBB2_1425
.LBB2_1424:                             ;   in Loop: Header=BB2_1425 Depth=3
	s_or_b64 exec, exec, s[66:67]
	s_and_b64 vcc, exec, vcc
	s_or_b64 s[58:59], vcc, s[58:59]
	s_andn2_b64 vcc, s[60:61], exec
	s_and_b64 s[60:61], s[62:63], exec
	s_or_b64 s[60:61], vcc, s[60:61]
	s_andn2_b64 exec, exec, s[58:59]
	s_cbranch_execz .LBB2_1447
.LBB2_1425:                             ;   Parent Loop BB2_47 Depth=1
                                        ;     Parent Loop BB2_1339 Depth=2
                                        ; =>    This Inner Loop Header: Depth=3
	s_add_i32 s68, s68, 1
	s_cmpk_lg_i32 s68, 0x2710
	s_cselect_b64 s[64:65], -1, 0
	s_and_b64 vcc, exec, s[64:65]
                                        ; implicit-def: $sgpr66_sgpr67
	s_cbranch_vccnz .LBB2_1427
; %bb.1426:                             ;   in Loop: Header=BB2_1425 Depth=3
	s_trap 2
	ds_read_b64 v[4:5], v0
	s_andn2_b64 s[64:65], s[64:65], exec
	s_mov_b32 s68, 0
	s_mov_b64 s[66:67], -1
	s_waitcnt lgkmcnt(0)
	flat_load_dword v0, v[4:5] glc
	s_waitcnt vmcnt(0) lgkmcnt(0)
	buffer_invl2
	buffer_wbinvl1_vol
	v_cmp_eq_u32_e32 vcc, 0, v0
	s_and_b64 vcc, vcc, exec
	s_or_b64 s[64:65], s[64:65], vcc
.LBB2_1427:                             ;   in Loop: Header=BB2_1425 Depth=3
	s_andn2_b64 s[62:63], s[62:63], exec
	s_and_b64 s[66:67], s[66:67], exec
	s_mov_b64 vcc, -1
	s_or_b64 s[62:63], s[62:63], s[66:67]
	s_and_saveexec_b64 s[66:67], s[64:65]
	s_cbranch_execz .LBB2_1424
; %bb.1428:                             ;   in Loop: Header=BB2_1425 Depth=3
	s_sleep 1
	s_trap 2
	ds_read_b64 v[4:5], v0
	s_andn2_b64 s[62:63], s[62:63], exec
	s_waitcnt lgkmcnt(0)
	v_cmp_ge_u64_e32 vcc, v[4:5], v[48:49]
	s_orn2_b64 vcc, vcc, exec
	s_branch .LBB2_1424
.LBB2_1429:                             ;   in Loop: Header=BB2_1339 Depth=2
	v_ashrrev_i32_e32 v0, 31, v17
	v_lshrrev_b32_e32 v0, 22, v0
	v_add_u32_e32 v0, v17, v0
	v_and_b32_e32 v12, 0xfffffc00, v0
	v_accvgpr_read_b32 v4, a18
	v_sub_u32_e32 v20, v17, v12
	v_sub_u32_e32 v3, v17, v4
	v_ashrrev_i32_e32 v4, 10, v0
	v_cmp_lt_i32_e32 vcc, 15, v20
	v_accvgpr_read_b32 v0, a25
	v_addc_co_u32_e64 v19, s[26:27], v4, v0, vcc
	v_cmp_lt_i32_e64 s[26:27], 15, v3
	v_accvgpr_read_b32 v5, a19
	s_and_saveexec_b64 s[36:37], s[26:27]
	s_cbranch_execz .LBB2_1433
; %bb.1430:                             ;   in Loop: Header=BB2_1339 Depth=2
	s_trap 2
	ds_read_b64 v[4:5], v0
	v_accvgpr_read_b32 v10, a18
	s_mov_b64 s[38:39], 0
	v_accvgpr_read_b32 v11, a19
.LBB2_1431:                             ;   Parent Loop BB2_47 Depth=1
                                        ;     Parent Loop BB2_1339 Depth=2
                                        ; =>    This Inner Loop Header: Depth=3
	s_waitcnt lgkmcnt(0)
	v_add_co_u32_e64 v40, s[26:27], v4, v10
	v_addc_co_u32_e64 v41, s[26:27], v5, v11, s[26:27]
	global_load_dwordx4 v[22:25], v[40:41], off glc slc
	v_add_co_u32_e64 v10, s[26:27], v10, v1
	v_sub_u32_e32 v3, v3, v26
	v_addc_co_u32_e64 v11, s[26:27], v11, v60, s[26:27]
	v_cmp_gt_i32_e64 s[26:27], 16, v3
	v_sub_u32_e32 v19, v19, v54
	s_or_b64 s[38:39], s[26:27], s[38:39]
	s_waitcnt vmcnt(0)
	global_store_dwordx4 v[40:41], v[22:25], off glc slc
	s_andn2_b64 exec, exec, s[38:39]
	s_cbranch_execnz .LBB2_1431
; %bb.1432:                             ;   in Loop: Header=BB2_1339 Depth=2
	s_or_b64 exec, exec, s[38:39]
	v_accvgpr_read_b32 v25, a21
	v_accvgpr_read_b32 v24, a20
.LBB2_1433:                             ;   in Loop: Header=BB2_1339 Depth=2
	s_or_b64 exec, exec, s[36:37]
	v_and_b32_e32 v0, 14, v17
	v_cndmask_b32_e32 v13, v20, v0, vcc
	v_cmp_ne_u32_e64 s[26:27], 0, v13
	s_mov_b64 s[38:39], 0
	v_mov_b32_e32 v11, 0
                                        ; implicit-def: $vgpr17
                                        ; implicit-def: $vgpr18
                                        ; implicit-def: $vgpr3
	s_and_saveexec_b64 s[36:37], s[26:27]
	s_cbranch_execz .LBB2_1441
; %bb.1434:                             ;   in Loop: Header=BB2_1339 Depth=2
	v_sub_u32_e32 v0, v20, v0
	v_cndmask_b32_e32 v0, 0, v0, vcc
	v_cmp_lt_i32_e32 vcc, 0, v19
	v_add_u32_e32 v12, v0, v12
	v_cndmask_b32_e32 v0, 0, v54, vcc
	v_sub_u32_e32 v0, v0, v19
	v_accvgpr_read_b32 v3, a24
	v_lshl_add_u32 v0, v0, 6, v3
	v_ashrrev_i32_e32 v3, 31, v0
	v_lshrrev_b32_e32 v3, 26, v3
	v_add_u32_e32 v3, v0, v3
	v_ashrrev_i32_e32 v4, 6, v3
	v_and_b32_e32 v3, 0xffffffc0, v3
	v_sub_u32_e32 v19, v0, v3
	v_ashrrev_i32_e32 v3, 31, v13
	v_lshrrev_b32_e32 v3, 22, v3
	v_add_u32_e32 v3, v13, v3
	v_and_b32_e32 v20, 0xfffffc00, v3
	v_lshlrev_b32_e32 v0, 4, v19
	v_sub_u32_e32 v22, v13, v20
	v_lshl_add_u32 v0, v4, 10, v0
	v_ashrrev_i32_e32 v5, 10, v3
	v_cmp_lt_i32_e32 vcc, 15, v22
	v_sub_u32_e32 v11, v13, v0
	v_addc_co_u32_e64 v3, s[26:27], 0, v5, vcc
	v_sub_u32_e32 v21, v3, v4
	v_cmp_lt_i32_e64 s[26:27], 15, v11
	s_and_saveexec_b64 s[38:39], s[26:27]
	s_cbranch_execz .LBB2_1438
; %bb.1435:                             ;   in Loop: Header=BB2_1339 Depth=2
	s_trap 2
	ds_read_b64 v[4:5], v0
	v_add_u32_e32 v10, v0, v12
	v_ashrrev_i32_e32 v3, 31, v10
	s_mov_b64 s[56:57], 0
.LBB2_1436:                             ;   Parent Loop BB2_47 Depth=1
                                        ;     Parent Loop BB2_1339 Depth=2
                                        ; =>    This Inner Loop Header: Depth=3
	s_waitcnt lgkmcnt(0)
	v_add_co_u32_e64 v24, s[26:27], v4, v10
	v_addc_co_u32_e64 v25, s[26:27], v5, v3, s[26:27]
	global_load_dwordx4 v[40:43], v[24:25], off glc slc
	v_add_co_u32_e64 v10, s[26:27], v10, v1
	v_sub_u32_e32 v11, v11, v26
	v_addc_co_u32_e64 v3, s[26:27], v3, v60, s[26:27]
	v_cmp_gt_i32_e64 s[26:27], 16, v11
	v_sub_u32_e32 v21, v21, v54
	s_or_b64 s[56:57], s[26:27], s[56:57]
	s_waitcnt vmcnt(0)
	global_store_dwordx4 v[24:25], v[40:43], off glc slc
	s_andn2_b64 exec, exec, s[56:57]
	s_cbranch_execnz .LBB2_1436
; %bb.1437:                             ;   in Loop: Header=BB2_1339 Depth=2
	s_or_b64 exec, exec, s[56:57]
	v_accvgpr_read_b32 v25, a21
	v_accvgpr_read_b32 v24, a20
	v_mov_b32_e32 v43, 1
.LBB2_1438:                             ;   in Loop: Header=BB2_1339 Depth=2
	s_or_b64 exec, exec, s[38:39]
	v_and_b32_e32 v0, 14, v13
	v_cndmask_b32_e32 v17, v22, v0, vcc
	v_cmp_ne_u32_e64 s[26:27], 0, v17
	s_mov_b64 s[38:39], 0
	v_mov_b32_e32 v11, 0
                                        ; implicit-def: $vgpr18
                                        ; implicit-def: $vgpr3
	s_and_saveexec_b64 s[56:57], s[26:27]
	s_cbranch_execz .LBB2_1440
; %bb.1439:                             ;   in Loop: Header=BB2_1339 Depth=2
	v_sub_u32_e32 v0, v22, v0
	v_cndmask_b32_e32 v0, 0, v0, vcc
	v_cmp_lt_i32_e32 vcc, 0, v21
	v_add3_u32 v11, v20, v12, v0
	v_cndmask_b32_e32 v0, 0, v54, vcc
	v_sub_u32_e32 v0, v0, v21
	v_lshl_add_u32 v18, v0, 6, v19
	v_ashrrev_i32_e32 v0, 31, v18
	v_lshrrev_b32_e32 v0, 26, v0
	v_add_u32_e32 v0, v18, v0
	s_mov_b64 s[38:39], exec
	v_ashrrev_i32_e32 v3, 6, v0
.LBB2_1440:                             ;   in Loop: Header=BB2_1339 Depth=2
	s_or_b64 exec, exec, s[56:57]
	s_and_b64 s[38:39], s[38:39], exec
.LBB2_1441:                             ;   in Loop: Header=BB2_1339 Depth=2
	s_or_b64 exec, exec, s[36:37]
	s_and_saveexec_b64 s[26:27], s[38:39]
	s_cbranch_execnz .LBB2_1408
.LBB2_1442:                             ;   in Loop: Header=BB2_1339 Depth=2
	s_or_b64 exec, exec, s[26:27]
	s_and_saveexec_b64 s[26:27], s[10:11]
	s_cbranch_execnz .LBB2_1418
.LBB2_1443:                             ;   in Loop: Header=BB2_1339 Depth=2
	s_or_b64 exec, exec, s[26:27]
	s_and_saveexec_b64 s[26:27], s[24:25]
	s_xor_b64 s[36:37], exec, s[26:27]
	s_cbranch_execz .LBB2_1454
.LBB2_1444:                             ;   in Loop: Header=BB2_1339 Depth=2
	v_and_b32_e32 v0, 16, v62
	v_cmp_lt_i32_e32 vcc, 0, v16
	v_cmp_ne_u32_e64 s[26:27], 0, v0
	s_and_b64 vcc, s[26:27], vcc
	s_and_saveexec_b64 s[26:27], vcc
	s_cbranch_execz .LBB2_1446
; %bb.1445:                             ;   in Loop: Header=BB2_1339 Depth=2
	s_waitcnt vmcnt(0) lgkmcnt(0)
	buffer_wbinvl1_vol
.LBB2_1446:                             ;   in Loop: Header=BB2_1339 Depth=2
	s_or_b64 exec, exec, s[26:27]
	s_andn2_saveexec_b64 s[26:27], s[36:37]
	s_cbranch_execz .LBB2_1473
	s_branch .LBB2_1455
.LBB2_1447:                             ;   in Loop: Header=BB2_1339 Depth=2
	s_or_b64 exec, exec, s[58:59]
	s_and_saveexec_b64 vcc, s[60:61]
	s_xor_b64 vcc, exec, vcc
	s_cbranch_execz .LBB2_1449
; %bb.1448:                             ;   in Loop: Header=BB2_1339 Depth=2
	ds_write_b32 v0, v43
	s_trap 2
.LBB2_1449:                             ;   in Loop: Header=BB2_1339 Depth=2
	s_or_b64 exec, exec, s[56:57]
	;;#ASMSTART
	s_wakeup
	;;#ASMEND
.LBB2_1450:                             ;   in Loop: Header=BB2_1339 Depth=2
	s_or_b64 exec, exec, s[38:39]
.LBB2_1451:                             ;   in Loop: Header=BB2_1339 Depth=2
	s_andn2_saveexec_b64 vcc, s[36:37]
	s_cbranch_execz .LBB2_1453
; %bb.1452:                             ;   in Loop: Header=BB2_1339 Depth=2
	s_waitcnt vmcnt(0) lgkmcnt(0)
	buffer_wbinvl1_vol
	s_barrier
.LBB2_1453:                             ;   in Loop: Header=BB2_1339 Depth=2
	s_or_b64 exec, exec, vcc
	s_or_b64 exec, exec, s[26:27]
	s_and_saveexec_b64 s[26:27], s[24:25]
	s_xor_b64 s[36:37], exec, s[26:27]
	s_cbranch_execnz .LBB2_1444
.LBB2_1454:                             ;   in Loop: Header=BB2_1339 Depth=2
	s_andn2_saveexec_b64 s[26:27], s[36:37]
	s_cbranch_execz .LBB2_1473
.LBB2_1455:                             ;   in Loop: Header=BB2_1339 Depth=2
	s_and_saveexec_b64 vcc, s[48:49]
	s_xor_b64 s[36:37], exec, vcc
	s_cbranch_execz .LBB2_1470
; %bb.1456:                             ;   in Loop: Header=BB2_1339 Depth=2
	s_and_saveexec_b64 s[38:39], s[16:17]
	s_cbranch_execz .LBB2_1469
; %bb.1457:                             ;   in Loop: Header=BB2_1339 Depth=2
	s_mov_b64 s[58:59], exec
	v_mbcnt_lo_u32_b32 v0, s58, 0
	v_mbcnt_hi_u32_b32 v0, s59, v0
	v_cmp_eq_u32_e32 vcc, 0, v0
	;;#ASMSTART
	s_waitcnt lgkmcnt(0) vmcnt(0)
	;;#ASMEND
	s_and_saveexec_b64 s[56:57], vcc
	s_cbranch_execz .LBB2_1459
; %bb.1458:                             ;   in Loop: Header=BB2_1339 Depth=2
	s_bcnt1_i32_b64 vcc_lo, s[58:59]
	v_mov_b32_e32 v4, vcc_lo
	v_mov_b32_e32 v5, v52
	ds_add_u64 v0, v[4:5]
	s_trap 2
.LBB2_1459:                             ;   in Loop: Header=BB2_1339 Depth=2
	s_or_b64 exec, exec, s[56:57]
	s_trap 2
	ds_read_b64 v[4:5], v0
	v_add_co_u32_e32 v48, vcc, v48, v54
	v_addc_co_u32_e32 v49, vcc, 0, v49, vcc
	s_waitcnt lgkmcnt(0)
	v_cmp_lt_u64_e32 vcc, v[4:5], v[48:49]
	s_and_saveexec_b64 s[56:57], vcc
	s_cbranch_execz .LBB2_1468
; %bb.1460:                             ;   in Loop: Header=BB2_1339 Depth=2
	s_mov_b32 s68, 0
	s_mov_b64 s[58:59], 0
                                        ; implicit-def: $sgpr60_sgpr61
                                        ; implicit-def: $sgpr62_sgpr63
	s_branch .LBB2_1462
.LBB2_1461:                             ;   in Loop: Header=BB2_1462 Depth=3
	s_or_b64 exec, exec, s[66:67]
	s_and_b64 vcc, exec, vcc
	s_or_b64 s[58:59], vcc, s[58:59]
	s_andn2_b64 vcc, s[60:61], exec
	s_and_b64 s[60:61], s[62:63], exec
	s_or_b64 s[60:61], vcc, s[60:61]
	s_andn2_b64 exec, exec, s[58:59]
	s_cbranch_execz .LBB2_1466
.LBB2_1462:                             ;   Parent Loop BB2_47 Depth=1
                                        ;     Parent Loop BB2_1339 Depth=2
                                        ; =>    This Inner Loop Header: Depth=3
	s_add_i32 s68, s68, 1
	s_cmpk_lg_i32 s68, 0x2710
	s_cselect_b64 s[64:65], -1, 0
	s_and_b64 vcc, exec, s[64:65]
                                        ; implicit-def: $sgpr66_sgpr67
	s_cbranch_vccnz .LBB2_1464
; %bb.1463:                             ;   in Loop: Header=BB2_1462 Depth=3
	s_trap 2
	ds_read_b64 v[4:5], v0
	s_andn2_b64 s[64:65], s[64:65], exec
	s_mov_b32 s68, 0
	s_mov_b64 s[66:67], -1
	s_waitcnt vmcnt(0) lgkmcnt(0)
	flat_load_dword v0, v[4:5] glc
	s_waitcnt vmcnt(0) lgkmcnt(0)
	buffer_invl2
	buffer_wbinvl1_vol
	v_cmp_eq_u32_e32 vcc, 0, v0
	s_and_b64 vcc, vcc, exec
	s_or_b64 s[64:65], s[64:65], vcc
.LBB2_1464:                             ;   in Loop: Header=BB2_1462 Depth=3
	s_andn2_b64 s[62:63], s[62:63], exec
	s_and_b64 s[66:67], s[66:67], exec
	s_mov_b64 vcc, -1
	s_or_b64 s[62:63], s[62:63], s[66:67]
	s_and_saveexec_b64 s[66:67], s[64:65]
	s_cbranch_execz .LBB2_1461
; %bb.1465:                             ;   in Loop: Header=BB2_1462 Depth=3
	s_sleep 1
	s_trap 2
	ds_read_b64 v[4:5], v0
	s_andn2_b64 s[62:63], s[62:63], exec
	s_waitcnt lgkmcnt(0)
	v_cmp_ge_u64_e32 vcc, v[4:5], v[48:49]
	s_orn2_b64 vcc, vcc, exec
	s_branch .LBB2_1461
.LBB2_1466:                             ;   in Loop: Header=BB2_1339 Depth=2
	s_or_b64 exec, exec, s[58:59]
	s_and_saveexec_b64 vcc, s[60:61]
	s_xor_b64 vcc, exec, vcc
	s_cbranch_execz .LBB2_1468
; %bb.1467:                             ;   in Loop: Header=BB2_1339 Depth=2
	ds_write_b32 v0, v43
	s_trap 2
.LBB2_1468:                             ;   in Loop: Header=BB2_1339 Depth=2
	s_or_b64 exec, exec, s[56:57]
	;;#ASMSTART
	s_wakeup
	;;#ASMEND
.LBB2_1469:                             ;   in Loop: Header=BB2_1339 Depth=2
	s_or_b64 exec, exec, s[38:39]
.LBB2_1470:                             ;   in Loop: Header=BB2_1339 Depth=2
	s_andn2_saveexec_b64 vcc, s[36:37]
	s_cbranch_execz .LBB2_1472
; %bb.1471:                             ;   in Loop: Header=BB2_1339 Depth=2
	;;#ASMSTART
	s_waitcnt lgkmcnt(0) vmcnt(0)
	;;#ASMEND
	s_barrier
.LBB2_1472:                             ;   in Loop: Header=BB2_1339 Depth=2
	s_or_b64 exec, exec, vcc
.LBB2_1473:                             ;   in Loop: Header=BB2_1339 Depth=2
	s_or_b64 exec, exec, s[26:27]
	v_and_b32_e32 v0, 32, v62
	v_cmp_ne_u32_e32 vcc, 0, v0
	s_and_saveexec_b64 s[26:27], vcc
	s_cbranch_execz .LBB2_1338
; %bb.1474:                             ;   in Loop: Header=BB2_1339 Depth=2
	v_add_co_u32_e32 v32, vcc, 2, v32
	v_addc_co_u32_e32 v33, vcc, 0, v33, vcc
	flat_store_dwordx2 v[34:35], v[32:33]
	s_branch .LBB2_1338
.LBB2_1475:                             ;   in Loop: Header=BB2_47 Depth=1
	s_or_b64 exec, exec, s[30:31]
.LBB2_1476:                             ;   in Loop: Header=BB2_47 Depth=1
	s_or_b64 exec, exec, s[28:29]
	v_cmp_gt_i32_e32 vcc, 2, v3
	s_and_saveexec_b64 s[28:29], vcc
	s_cbranch_execz .LBB2_46
; %bb.1477:                             ;   in Loop: Header=BB2_47 Depth=1
	v_cmp_eq_u32_e64 s[26:27], 0, v3
	s_mov_b64 s[30:31], 0
	s_branch .LBB2_1479
.LBB2_1478:                             ;   in Loop: Header=BB2_1479 Depth=2
	s_or_b64 exec, exec, s[26:27]
	v_add_u32_e32 v2, v15, v2
	s_mov_b64 s[26:27], 0
	s_andn2_b64 exec, exec, s[30:31]
	s_cbranch_execz .LBB2_45
.LBB2_1479:                             ;   Parent Loop BB2_47 Depth=1
                                        ; =>  This Loop Header: Depth=2
                                        ;       Child Loop BB2_1485 Depth 3
                                        ;       Child Loop BB2_1509 Depth 3
	;; [unrolled: 1-line block ×3, first 2 shown]
	v_and_b32_e32 v0, 4, v62
	s_mov_b64 s[36:37], -1
	v_cmp_ne_u32_e32 vcc, 0, v0
	s_and_saveexec_b64 s[34:35], vcc
	s_cbranch_execz .LBB2_1491
; %bb.1480:                             ;   in Loop: Header=BB2_1479 Depth=2
	v_add_co_u32_e32 v4, vcc, 2, v32
	v_addc_co_u32_e32 v5, vcc, 0, v33, vcc
	v_cmp_lt_u64_e32 vcc, v[50:51], v[4:5]
	v_mov_b32_e32 v0, 1
	s_and_saveexec_b64 s[36:37], vcc
	s_cbranch_execz .LBB2_1490
; %bb.1481:                             ;   in Loop: Header=BB2_1479 Depth=2
	s_mov_b64 s[38:39], 0
	v_mov_b32_e32 v3, 0
                                        ; implicit-def: $sgpr56_sgpr57
	s_branch .LBB2_1485
.LBB2_1482:                             ;   in Loop: Header=BB2_1485 Depth=3
	s_or_b64 exec, exec, s[64:65]
	v_mov_b32_e32 v0, 0
	s_orn2_b64 s[62:63], s[62:63], exec
.LBB2_1483:                             ;   in Loop: Header=BB2_1485 Depth=3
	s_or_b64 exec, exec, s[60:61]
	s_andn2_b64 vcc, s[56:57], exec
	s_and_b64 s[56:57], s[62:63], exec
	s_or_b64 s[56:57], vcc, s[56:57]
	v_mov_b32_e32 v3, v0
.LBB2_1484:                             ;   in Loop: Header=BB2_1485 Depth=3
	s_or_b64 exec, exec, s[58:59]
	s_waitcnt vmcnt(0) lgkmcnt(0)
	v_cmp_ge_u64_e32 vcc, v[50:51], v[4:5]
	s_xor_b64 s[58:59], s[56:57], -1
	s_or_b64 vcc, s[58:59], vcc
	s_and_b64 vcc, exec, vcc
	s_or_b64 s[38:39], vcc, s[38:39]
	s_andn2_b64 exec, exec, s[38:39]
	s_cbranch_execz .LBB2_1489
.LBB2_1485:                             ;   Parent Loop BB2_47 Depth=1
                                        ;     Parent Loop BB2_1479 Depth=2
                                        ; =>    This Inner Loop Header: Depth=3
	s_sleep 1
	flat_load_dwordx2 v[50:51], v[34:35] glc
	v_and_b32_e32 v0, 64, v62
	v_cmp_eq_u32_e32 vcc, 0, v0
	s_andn2_b64 s[56:57], s[56:57], exec
	s_and_saveexec_b64 s[58:59], vcc
	s_cbranch_execz .LBB2_1484
; %bb.1486:                             ;   in Loop: Header=BB2_1485 Depth=3
	v_add_u32_e32 v0, 1, v3
	v_cmp_lt_i32_e32 vcc, s83, v3
	s_mov_b64 s[62:63], -1
	s_and_saveexec_b64 s[60:61], vcc
	s_cbranch_execz .LBB2_1483
; %bb.1487:                             ;   in Loop: Header=BB2_1485 Depth=3
	s_trap 2
	ds_read_b64 v[8:9], v0
	s_waitcnt vmcnt(0) lgkmcnt(0)
	flat_load_dword v0, v[8:9] glc
	s_waitcnt vmcnt(0) lgkmcnt(0)
	buffer_invl2
	buffer_wbinvl1_vol
	v_cmp_ne_u32_e32 vcc, 0, v0
	s_and_saveexec_b64 s[64:65], vcc
	s_cbranch_execz .LBB2_1482
; %bb.1488:                             ;   in Loop: Header=BB2_1485 Depth=3
	v_or_b32_e32 v62, 64, v62
	s_xor_b64 s[62:63], exec, -1
	ds_write_b32 v0, v0
	s_trap 2
	s_branch .LBB2_1482
.LBB2_1489:                             ;   in Loop: Header=BB2_1479 Depth=2
	s_or_b64 exec, exec, s[38:39]
	v_and_b32_e32 v0, 4, v62
.LBB2_1490:                             ;   in Loop: Header=BB2_1479 Depth=2
	s_or_b64 exec, exec, s[36:37]
	v_cmp_eq_u32_e32 vcc, 0, v0
	s_orn2_b64 s[36:37], vcc, exec
	;;#ASMSTART
	s_wakeup
	;;#ASMEND
.LBB2_1491:                             ;   in Loop: Header=BB2_1479 Depth=2
	s_or_b64 exec, exec, s[34:35]
	s_xor_b64 s[26:27], s[26:27], -1
	s_and_b64 s[26:27], exec, s[26:27]
	s_or_b64 s[30:31], s[26:27], s[30:31]
	s_xor_b64 s[26:27], s[36:37], -1
	s_and_saveexec_b64 s[34:35], s[26:27]
	s_cbranch_execz .LBB2_1501
; %bb.1492:                             ;   in Loop: Header=BB2_1479 Depth=2
	v_and_b32_e32 v0, 0x100, v62
	v_cmp_ne_u32_e32 vcc, 0, v0
	v_and_b32_e32 v3, 7, v32
	s_mov_b64 s[26:27], -1
                                        ; implicit-def: $vgpr4_vgpr5
	s_and_saveexec_b64 s[36:37], vcc
	s_cbranch_execz .LBB2_1496
; %bb.1493:                             ;   in Loop: Header=BB2_1479 Depth=2
	v_accvgpr_read_b32 v4, a12
	v_accvgpr_read_b32 v5, a13
	v_mad_u64_u32 v[8:9], s[26:27], v3, 24, v[4:5]
	flat_load_dword v0, v[8:9]
                                        ; implicit-def: $vgpr4_vgpr5
	s_waitcnt vmcnt(0) lgkmcnt(0)
	v_cmp_ne_u32_e32 vcc, 1, v0
	v_cmp_eq_u32_e64 s[26:27], 1, v0
	s_and_saveexec_b64 s[38:39], s[26:27]
	s_cbranch_execz .LBB2_1495
; %bb.1494:                             ;   in Loop: Header=BB2_1479 Depth=2
	flat_load_dword v4, v[8:9] offset:4 glc
	s_waitcnt vmcnt(0) lgkmcnt(0)
	v_ashrrev_i32_e32 v5, 31, v4
	v_lshrrev_b64 v[4:5], 1, v[4:5]
.LBB2_1495:                             ;   in Loop: Header=BB2_1479 Depth=2
	s_or_b64 exec, exec, s[38:39]
	s_orn2_b64 s[26:27], vcc, exec
.LBB2_1496:                             ;   in Loop: Header=BB2_1479 Depth=2
	s_or_b64 exec, exec, s[36:37]
	s_and_saveexec_b64 vcc, s[26:27]
; %bb.1497:                             ;   in Loop: Header=BB2_1479 Depth=2
	v_mad_i64_i32 v[4:5], s[26:27], v3, v30, 0
; %bb.1498:                             ;   in Loop: Header=BB2_1479 Depth=2
	s_or_b64 exec, exec, vcc
	v_lshlrev_b64 v[4:5], 1, v[4:5]
	v_add_co_u32_e32 v4, vcc, v36, v4
	v_addc_co_u32_e32 v5, vcc, v37, v5, vcc
	ds_write_b64 v0, v[4:5] offset:720
	v_and_b32_e32 v0, 0x2000, v62
	v_cmp_ne_u32_e32 vcc, 0, v0
	s_and_saveexec_b64 s[26:27], vcc
	s_cbranch_execz .LBB2_1500
; %bb.1499:                             ;   in Loop: Header=BB2_1479 Depth=2
	ds_read_b64 v[4:5], v0 offset:584
	s_waitcnt lgkmcnt(0)
	v_add_co_u32_e32 v4, vcc, 1, v4
	v_addc_co_u32_e32 v5, vcc, 0, v5, vcc
	ds_write_b64 v0, v[4:5] offset:584
.LBB2_1500:                             ;   in Loop: Header=BB2_1479 Depth=2
	s_or_b64 exec, exec, s[26:27]
	v_add_co_u32_e32 v32, vcc, 2, v32
	v_addc_co_u32_e32 v33, vcc, 0, v33, vcc
.LBB2_1501:                             ;   in Loop: Header=BB2_1479 Depth=2
	s_or_b64 exec, exec, s[34:35]
	s_and_saveexec_b64 s[26:27], s[10:11]
	s_cbranch_execz .LBB2_1520
; %bb.1502:                             ;   in Loop: Header=BB2_1479 Depth=2
	s_and_saveexec_b64 vcc, s[48:49]
	s_xor_b64 s[34:35], exec, vcc
	s_cbranch_execz .LBB2_1517
; %bb.1503:                             ;   in Loop: Header=BB2_1479 Depth=2
	s_and_saveexec_b64 s[36:37], s[16:17]
	s_cbranch_execz .LBB2_1516
; %bb.1504:                             ;   in Loop: Header=BB2_1479 Depth=2
	s_mov_b64 s[56:57], exec
	v_mbcnt_lo_u32_b32 v0, s56, 0
	v_mbcnt_hi_u32_b32 v0, s57, v0
	v_cmp_eq_u32_e32 vcc, 0, v0
	s_waitcnt vmcnt(0) lgkmcnt(0)
	buffer_wbinvl1_vol
	s_and_saveexec_b64 s[38:39], vcc
	s_cbranch_execz .LBB2_1506
; %bb.1505:                             ;   in Loop: Header=BB2_1479 Depth=2
	s_bcnt1_i32_b64 vcc_lo, s[56:57]
	v_mov_b32_e32 v4, vcc_lo
	v_mov_b32_e32 v5, v52
	ds_add_u64 v0, v[4:5]
	s_trap 2
.LBB2_1506:                             ;   in Loop: Header=BB2_1479 Depth=2
	s_or_b64 exec, exec, s[38:39]
	s_trap 2
	ds_read_b64 v[4:5], v0
	v_add_co_u32_e32 v48, vcc, v48, v54
	v_addc_co_u32_e32 v49, vcc, 0, v49, vcc
	s_waitcnt lgkmcnt(0)
	v_cmp_lt_u64_e32 vcc, v[4:5], v[48:49]
	s_and_saveexec_b64 s[38:39], vcc
	s_cbranch_execz .LBB2_1515
; %bb.1507:                             ;   in Loop: Header=BB2_1479 Depth=2
	s_mov_b32 s46, 0
	s_mov_b64 s[56:57], 0
                                        ; implicit-def: $sgpr58_sgpr59
                                        ; implicit-def: $sgpr60_sgpr61
	s_branch .LBB2_1509
.LBB2_1508:                             ;   in Loop: Header=BB2_1509 Depth=3
	s_or_b64 exec, exec, s[64:65]
	s_and_b64 vcc, exec, vcc
	s_or_b64 s[56:57], vcc, s[56:57]
	s_andn2_b64 vcc, s[58:59], exec
	s_and_b64 s[58:59], s[60:61], exec
	s_or_b64 s[58:59], vcc, s[58:59]
	s_andn2_b64 exec, exec, s[56:57]
	s_cbranch_execz .LBB2_1513
.LBB2_1509:                             ;   Parent Loop BB2_47 Depth=1
                                        ;     Parent Loop BB2_1479 Depth=2
                                        ; =>    This Inner Loop Header: Depth=3
	s_add_i32 s46, s46, 1
	s_cmpk_lg_i32 s46, 0x2710
	s_cselect_b64 s[62:63], -1, 0
	s_and_b64 vcc, exec, s[62:63]
                                        ; implicit-def: $sgpr64_sgpr65
	s_cbranch_vccnz .LBB2_1511
; %bb.1510:                             ;   in Loop: Header=BB2_1509 Depth=3
	s_trap 2
	ds_read_b64 v[4:5], v0
	s_andn2_b64 s[62:63], s[62:63], exec
	s_mov_b32 s46, 0
	s_mov_b64 s[64:65], -1
	s_waitcnt lgkmcnt(0)
	flat_load_dword v0, v[4:5] glc
	s_waitcnt vmcnt(0) lgkmcnt(0)
	buffer_invl2
	buffer_wbinvl1_vol
	v_cmp_eq_u32_e32 vcc, 0, v0
	s_and_b64 vcc, vcc, exec
	s_or_b64 s[62:63], s[62:63], vcc
.LBB2_1511:                             ;   in Loop: Header=BB2_1509 Depth=3
	s_andn2_b64 s[60:61], s[60:61], exec
	s_and_b64 s[64:65], s[64:65], exec
	s_mov_b64 vcc, -1
	s_or_b64 s[60:61], s[60:61], s[64:65]
	s_and_saveexec_b64 s[64:65], s[62:63]
	s_cbranch_execz .LBB2_1508
; %bb.1512:                             ;   in Loop: Header=BB2_1509 Depth=3
	s_sleep 1
	s_trap 2
	ds_read_b64 v[4:5], v0
	s_andn2_b64 s[60:61], s[60:61], exec
	s_waitcnt lgkmcnt(0)
	v_cmp_ge_u64_e32 vcc, v[4:5], v[48:49]
	s_orn2_b64 vcc, vcc, exec
	s_branch .LBB2_1508
.LBB2_1513:                             ;   in Loop: Header=BB2_1479 Depth=2
	s_or_b64 exec, exec, s[56:57]
	s_and_saveexec_b64 vcc, s[58:59]
	s_xor_b64 vcc, exec, vcc
	s_cbranch_execz .LBB2_1515
; %bb.1514:                             ;   in Loop: Header=BB2_1479 Depth=2
	ds_write_b32 v0, v43
	s_trap 2
.LBB2_1515:                             ;   in Loop: Header=BB2_1479 Depth=2
	s_or_b64 exec, exec, s[38:39]
	;;#ASMSTART
	s_wakeup
	;;#ASMEND
.LBB2_1516:                             ;   in Loop: Header=BB2_1479 Depth=2
	s_or_b64 exec, exec, s[36:37]
.LBB2_1517:                             ;   in Loop: Header=BB2_1479 Depth=2
	s_andn2_saveexec_b64 vcc, s[34:35]
	s_cbranch_execz .LBB2_1519
; %bb.1518:                             ;   in Loop: Header=BB2_1479 Depth=2
	s_waitcnt vmcnt(0) lgkmcnt(0)
	buffer_wbinvl1_vol
	s_barrier
.LBB2_1519:                             ;   in Loop: Header=BB2_1479 Depth=2
	s_or_b64 exec, exec, vcc
.LBB2_1520:                             ;   in Loop: Header=BB2_1479 Depth=2
	s_or_b64 exec, exec, s[26:27]
	v_sub_u32_e32 v0, v14, v2
	v_min_i32_e32 v15, v15, v0
	s_and_saveexec_b64 s[26:27], s[24:25]
	s_xor_b64 s[26:27], exec, s[26:27]
	s_cbranch_execz .LBB2_1524
; %bb.1521:                             ;   in Loop: Header=BB2_1479 Depth=2
	s_trap 2
	ds_read_b32 v0, v0
	v_cmp_lt_i32_e32 vcc, 0, v15
	v_and_b32_e32 v3, 16, v62
	s_waitcnt lgkmcnt(0)
	v_readfirstlane_b32 s34, v0
	s_cmp_eq_u32 s34, 0
	s_cselect_b64 s[34:35], -1, 0
	s_and_b64 s[34:35], vcc, s[34:35]
	v_cmp_ne_u32_e32 vcc, 0, v3
	s_and_b64 s[34:35], vcc, s[34:35]
	s_and_saveexec_b64 vcc, s[34:35]
	s_cbranch_execz .LBB2_1523
; %bb.1522:                             ;   in Loop: Header=BB2_1479 Depth=2
	s_waitcnt vmcnt(0)
	buffer_wbinvl1_vol
.LBB2_1523:                             ;   in Loop: Header=BB2_1479 Depth=2
	s_or_b64 exec, exec, vcc
.LBB2_1524:                             ;   in Loop: Header=BB2_1479 Depth=2
	s_andn2_saveexec_b64 s[26:27], s[26:27]
	s_cbranch_execz .LBB2_1543
; %bb.1525:                             ;   in Loop: Header=BB2_1479 Depth=2
	s_and_saveexec_b64 vcc, s[48:49]
	s_xor_b64 s[34:35], exec, vcc
	s_cbranch_execz .LBB2_1540
; %bb.1526:                             ;   in Loop: Header=BB2_1479 Depth=2
	s_and_saveexec_b64 s[36:37], s[16:17]
	s_cbranch_execz .LBB2_1539
; %bb.1527:                             ;   in Loop: Header=BB2_1479 Depth=2
	s_mov_b64 s[56:57], exec
	v_mbcnt_lo_u32_b32 v0, s56, 0
	v_mbcnt_hi_u32_b32 v0, s57, v0
	v_cmp_eq_u32_e32 vcc, 0, v0
	;;#ASMSTART
	s_waitcnt lgkmcnt(0) vmcnt(0)
	;;#ASMEND
	s_and_saveexec_b64 s[38:39], vcc
	s_cbranch_execz .LBB2_1529
; %bb.1528:                             ;   in Loop: Header=BB2_1479 Depth=2
	s_bcnt1_i32_b64 vcc_lo, s[56:57]
	v_mov_b32_e32 v4, vcc_lo
	v_mov_b32_e32 v5, v52
	ds_add_u64 v0, v[4:5]
	s_trap 2
.LBB2_1529:                             ;   in Loop: Header=BB2_1479 Depth=2
	s_or_b64 exec, exec, s[38:39]
	s_trap 2
	ds_read_b64 v[4:5], v0
	v_add_co_u32_e32 v48, vcc, v48, v54
	v_addc_co_u32_e32 v49, vcc, 0, v49, vcc
	s_waitcnt lgkmcnt(0)
	v_cmp_lt_u64_e32 vcc, v[4:5], v[48:49]
	s_and_saveexec_b64 s[38:39], vcc
	s_cbranch_execz .LBB2_1538
; %bb.1530:                             ;   in Loop: Header=BB2_1479 Depth=2
	s_mov_b32 s46, 0
	s_mov_b64 s[56:57], 0
                                        ; implicit-def: $sgpr58_sgpr59
                                        ; implicit-def: $sgpr60_sgpr61
	s_branch .LBB2_1532
.LBB2_1531:                             ;   in Loop: Header=BB2_1532 Depth=3
	s_or_b64 exec, exec, s[64:65]
	s_and_b64 vcc, exec, vcc
	s_or_b64 s[56:57], vcc, s[56:57]
	s_andn2_b64 vcc, s[58:59], exec
	s_and_b64 s[58:59], s[60:61], exec
	s_or_b64 s[58:59], vcc, s[58:59]
	s_andn2_b64 exec, exec, s[56:57]
	s_cbranch_execz .LBB2_1536
.LBB2_1532:                             ;   Parent Loop BB2_47 Depth=1
                                        ;     Parent Loop BB2_1479 Depth=2
                                        ; =>    This Inner Loop Header: Depth=3
	s_add_i32 s46, s46, 1
	s_cmpk_lg_i32 s46, 0x2710
	s_cselect_b64 s[62:63], -1, 0
	s_and_b64 vcc, exec, s[62:63]
                                        ; implicit-def: $sgpr64_sgpr65
	s_cbranch_vccnz .LBB2_1534
; %bb.1533:                             ;   in Loop: Header=BB2_1532 Depth=3
	s_trap 2
	ds_read_b64 v[4:5], v0
	s_andn2_b64 s[62:63], s[62:63], exec
	s_mov_b32 s46, 0
	s_mov_b64 s[64:65], -1
	s_waitcnt vmcnt(0) lgkmcnt(0)
	flat_load_dword v0, v[4:5] glc
	s_waitcnt vmcnt(0) lgkmcnt(0)
	buffer_invl2
	buffer_wbinvl1_vol
	v_cmp_eq_u32_e32 vcc, 0, v0
	s_and_b64 vcc, vcc, exec
	s_or_b64 s[62:63], s[62:63], vcc
.LBB2_1534:                             ;   in Loop: Header=BB2_1532 Depth=3
	s_andn2_b64 s[60:61], s[60:61], exec
	s_and_b64 s[64:65], s[64:65], exec
	s_mov_b64 vcc, -1
	s_or_b64 s[60:61], s[60:61], s[64:65]
	s_and_saveexec_b64 s[64:65], s[62:63]
	s_cbranch_execz .LBB2_1531
; %bb.1535:                             ;   in Loop: Header=BB2_1532 Depth=3
	s_sleep 1
	s_trap 2
	ds_read_b64 v[4:5], v0
	s_andn2_b64 s[60:61], s[60:61], exec
	s_waitcnt lgkmcnt(0)
	v_cmp_ge_u64_e32 vcc, v[4:5], v[48:49]
	s_orn2_b64 vcc, vcc, exec
	s_branch .LBB2_1531
.LBB2_1536:                             ;   in Loop: Header=BB2_1479 Depth=2
	s_or_b64 exec, exec, s[56:57]
	s_and_saveexec_b64 vcc, s[58:59]
	s_xor_b64 vcc, exec, vcc
	s_cbranch_execz .LBB2_1538
; %bb.1537:                             ;   in Loop: Header=BB2_1479 Depth=2
	ds_write_b32 v0, v43
	s_trap 2
.LBB2_1538:                             ;   in Loop: Header=BB2_1479 Depth=2
	s_or_b64 exec, exec, s[38:39]
	;;#ASMSTART
	s_wakeup
	;;#ASMEND
.LBB2_1539:                             ;   in Loop: Header=BB2_1479 Depth=2
	s_or_b64 exec, exec, s[36:37]
.LBB2_1540:                             ;   in Loop: Header=BB2_1479 Depth=2
	s_andn2_saveexec_b64 vcc, s[34:35]
	s_cbranch_execz .LBB2_1542
; %bb.1541:                             ;   in Loop: Header=BB2_1479 Depth=2
	;;#ASMSTART
	s_waitcnt lgkmcnt(0) vmcnt(0)
	;;#ASMEND
	s_barrier
.LBB2_1542:                             ;   in Loop: Header=BB2_1479 Depth=2
	s_or_b64 exec, exec, vcc
.LBB2_1543:                             ;   in Loop: Header=BB2_1479 Depth=2
	s_or_b64 exec, exec, s[26:27]
	v_and_b32_e32 v0, 32, v62
	v_cmp_ne_u32_e32 vcc, 0, v0
	s_and_saveexec_b64 s[26:27], vcc
	s_cbranch_execz .LBB2_1478
; %bb.1544:                             ;   in Loop: Header=BB2_1479 Depth=2
	v_add_co_u32_e32 v32, vcc, 2, v32
	v_addc_co_u32_e32 v33, vcc, 0, v33, vcc
	flat_store_dwordx2 v[34:35], v[32:33]
	s_branch .LBB2_1478
.LBB2_1545:
	s_or_b64 exec, exec, s[44:45]
	v_accvgpr_read_b32 v21, a11
	v_accvgpr_read_b32 v18, a0
	;; [unrolled: 1-line block ×5, first 2 shown]
.LBB2_1546:
	s_or_b64 exec, exec, s[42:43]
	v_and_b32_e32 v0, 0x800, v62
	v_cmp_eq_u32_e32 vcc, 0, v0
	s_and_saveexec_b64 s[4:5], vcc
	s_cbranch_execz .LBB2_1581
; %bb.1547:
	v_and_b32_e32 v0, 48, v62
	v_cmp_ne_u32_e32 vcc, 0, v0
	s_and_saveexec_b64 s[6:7], vcc
	s_cbranch_execz .LBB2_1549
; %bb.1548:
	flat_store_dwordx2 v[20:21], v[32:33] offset:104
.LBB2_1549:
	s_or_b64 exec, exec, s[6:7]
	s_movk_i32 s6, 0x88
	v_and_b32_e32 v0, 0x88, v62
	v_cmp_eq_u32_e32 vcc, s6, v0
	s_and_saveexec_b64 s[6:7], vcc
	s_cbranch_execz .LBB2_1561
; %bb.1550:
	v_add_u32_e32 v0, 6, v32
	v_accvgpr_read_b32 v2, a12
	v_and_b32_e32 v0, 7, v0
	v_accvgpr_read_b32 v3, a13
	v_mad_u64_u32 v[0:1], s[10:11], v0, 24, v[2:3]
	v_add_co_u32_e32 v2, vcc, 8, v0
	v_addc_co_u32_e32 v3, vcc, 0, v1, vcc
	s_mov_b64 s[10:11], 0
	v_mov_b32_e32 v0, 0
	s_movk_i32 s24, 0x270e
                                        ; implicit-def: $sgpr12_sgpr13
	s_branch .LBB2_1555
.LBB2_1551:                             ;   in Loop: Header=BB2_1555 Depth=1
	s_or_b64 exec, exec, s[22:23]
	v_mov_b32_e32 v1, 0
	s_orn2_b64 s[20:21], s[20:21], exec
.LBB2_1552:                             ;   in Loop: Header=BB2_1555 Depth=1
	s_or_b64 exec, exec, s[18:19]
	s_and_b64 s[18:19], s[20:21], exec
	v_mov_b32_e32 v0, v1
.LBB2_1553:                             ;   in Loop: Header=BB2_1555 Depth=1
	s_or_b64 exec, exec, s[16:17]
	s_xor_b64 s[16:17], s[18:19], -1
	s_andn2_b64 s[12:13], s[12:13], exec
	s_and_b64 s[16:17], s[16:17], exec
	s_or_b64 s[12:13], s[12:13], s[16:17]
.LBB2_1554:                             ;   in Loop: Header=BB2_1555 Depth=1
	s_or_b64 exec, exec, s[14:15]
	s_and_b64 s[14:15], exec, s[12:13]
	s_or_b64 s[10:11], s[14:15], s[10:11]
	s_andn2_b64 exec, exec, s[10:11]
	s_cbranch_execz .LBB2_1560
.LBB2_1555:                             ; =>This Inner Loop Header: Depth=1
	flat_load_dwordx2 v[4:5], v[2:3] glc
	s_waitcnt vmcnt(0)
	s_or_b64 s[12:13], s[12:13], exec
	s_waitcnt lgkmcnt(0)
	v_cmp_ne_u64_e32 vcc, -1, v[4:5]
	s_and_saveexec_b64 s[14:15], vcc
	s_cbranch_execz .LBB2_1554
; %bb.1556:                             ;   in Loop: Header=BB2_1555 Depth=1
	v_and_b32_e32 v1, 64, v62
	v_cmp_eq_u32_e32 vcc, 0, v1
	s_mov_b64 s[18:19], 0
	s_and_saveexec_b64 s[16:17], vcc
	s_cbranch_execz .LBB2_1553
; %bb.1557:                             ;   in Loop: Header=BB2_1555 Depth=1
	v_add_u32_e32 v1, 1, v0
	v_cmp_lt_i32_e32 vcc, s24, v0
	s_mov_b64 s[20:21], -1
	s_and_saveexec_b64 s[18:19], vcc
	s_cbranch_execz .LBB2_1552
; %bb.1558:                             ;   in Loop: Header=BB2_1555 Depth=1
	s_trap 2
	ds_read_b64 v[0:1], v0
	s_waitcnt lgkmcnt(0)
	flat_load_dword v0, v[0:1] glc
	s_waitcnt vmcnt(0) lgkmcnt(0)
	buffer_invl2
	buffer_wbinvl1_vol
	v_cmp_ne_u32_e32 vcc, 0, v0
	s_and_saveexec_b64 s[22:23], vcc
	s_cbranch_execz .LBB2_1551
; %bb.1559:                             ;   in Loop: Header=BB2_1555 Depth=1
	v_or_b32_e32 v62, 64, v62
	s_xor_b64 s[20:21], exec, -1
	ds_write_b32 v0, v0
	s_trap 2
	s_branch .LBB2_1551
.LBB2_1560:
	s_or_b64 exec, exec, s[10:11]
.LBB2_1561:
	s_or_b64 exec, exec, s[6:7]
	v_and_b32_e32 v0, 0x2000, v62
	v_cmp_ne_u32_e32 vcc, 0, v0
	s_and_saveexec_b64 s[6:7], vcc
	s_cbranch_execz .LBB2_1563
; %bb.1562:
	s_trap 2
	ds_read_b64 v[0:1], v0
	v_accvgpr_read_b32 v2, a8
	v_accvgpr_read_b32 v3, a9
	s_waitcnt lgkmcnt(0)
	flat_store_dwordx2 v[2:3], v[0:1] offset:16
.LBB2_1563:
	s_or_b64 exec, exec, s[6:7]
	v_cmp_ne_u32_e32 vcc, 64, v18
	s_and_b64 exec, exec, vcc
	s_cbranch_execz .LBB2_1581
; %bb.1564:
	v_cmp_ne_u32_sdwa s[6:7], v19, v18 src0_sel:WORD_0 src1_sel:DWORD
	s_and_saveexec_b64 s[10:11], s[6:7]
	s_xor_b64 s[6:7], exec, s[10:11]
	s_cbranch_execz .LBB2_1579
; %bb.1565:
	v_and_b32_e32 v0, 63, v31
	v_cmp_eq_u32_e32 vcc, 0, v0
	s_and_saveexec_b64 s[10:11], vcc
	s_cbranch_execz .LBB2_1578
; %bb.1566:
	s_mov_b64 s[14:15], exec
	v_mbcnt_lo_u32_b32 v0, s14, 0
	v_mbcnt_hi_u32_b32 v0, s15, v0
	v_cmp_eq_u32_e32 vcc, 0, v0
	s_waitcnt vmcnt(0) lgkmcnt(0)
	buffer_wbinvl1_vol
	s_and_saveexec_b64 s[12:13], vcc
	s_cbranch_execz .LBB2_1568
; %bb.1567:
	s_bcnt1_i32_b64 s14, s[14:15]
	v_mov_b32_e32 v0, s14
	v_mov_b32_e32 v1, 0
	ds_add_u64 v0, v[0:1]
	s_trap 2
.LBB2_1568:
	s_or_b64 exec, exec, s[12:13]
	v_ashrrev_i32_e32 v0, 31, v18
	v_lshrrev_b32_e32 v0, 26, v0
	v_add_u32_e32 v0, v18, v0
	v_ashrrev_i32_e32 v0, 6, v0
	s_trap 2
	ds_read_b64 v[2:3], v0
	v_ashrrev_i32_e32 v1, 31, v0
	v_add_co_u32_e32 v0, vcc, v48, v0
	v_addc_co_u32_e32 v1, vcc, v49, v1, vcc
	s_waitcnt lgkmcnt(0)
	v_cmp_lt_u64_e32 vcc, v[2:3], v[0:1]
	s_and_saveexec_b64 s[12:13], vcc
	s_cbranch_execz .LBB2_1577
; %bb.1569:
	s_mov_b32 s26, 0
	s_mov_b64 s[14:15], 0
                                        ; implicit-def: $sgpr16_sgpr17
                                        ; implicit-def: $sgpr18_sgpr19
	s_branch .LBB2_1571
.LBB2_1570:                             ;   in Loop: Header=BB2_1571 Depth=1
	s_or_b64 exec, exec, s[24:25]
	s_and_b64 s[20:21], exec, s[22:23]
	s_or_b64 s[14:15], s[20:21], s[14:15]
	s_andn2_b64 s[16:17], s[16:17], exec
	s_and_b64 s[20:21], s[18:19], exec
	s_or_b64 s[16:17], s[16:17], s[20:21]
	s_andn2_b64 exec, exec, s[14:15]
	s_cbranch_execz .LBB2_1575
.LBB2_1571:                             ; =>This Inner Loop Header: Depth=1
	s_add_i32 s26, s26, 1
	s_cmpk_lg_i32 s26, 0x2710
	s_cselect_b64 s[20:21], -1, 0
	s_and_b64 vcc, exec, s[20:21]
                                        ; implicit-def: $sgpr24_sgpr25
	s_cbranch_vccnz .LBB2_1573
; %bb.1572:                             ;   in Loop: Header=BB2_1571 Depth=1
	s_trap 2
	ds_read_b64 v[2:3], v0
	s_andn2_b64 s[20:21], s[20:21], exec
	s_mov_b32 s26, 0
	s_mov_b64 s[24:25], -1
	s_waitcnt lgkmcnt(0)
	flat_load_dword v2, v[2:3] glc
	s_waitcnt vmcnt(0) lgkmcnt(0)
	buffer_invl2
	buffer_wbinvl1_vol
	v_cmp_eq_u32_e32 vcc, 0, v2
	s_and_b64 s[22:23], vcc, exec
	s_or_b64 s[20:21], s[20:21], s[22:23]
.LBB2_1573:                             ;   in Loop: Header=BB2_1571 Depth=1
	s_andn2_b64 s[18:19], s[18:19], exec
	s_and_b64 s[24:25], s[24:25], exec
	s_mov_b64 s[22:23], -1
	s_or_b64 s[18:19], s[18:19], s[24:25]
	s_and_saveexec_b64 s[24:25], s[20:21]
	s_cbranch_execz .LBB2_1570
; %bb.1574:                             ;   in Loop: Header=BB2_1571 Depth=1
	s_sleep 1
	s_trap 2
	ds_read_b64 v[2:3], v0
	s_andn2_b64 s[18:19], s[18:19], exec
	s_waitcnt lgkmcnt(0)
	v_cmp_ge_u64_e32 vcc, v[2:3], v[0:1]
	s_orn2_b64 s[22:23], vcc, exec
	s_branch .LBB2_1570
.LBB2_1575:
	s_or_b64 exec, exec, s[14:15]
	s_and_saveexec_b64 s[14:15], s[16:17]
	s_xor_b64 s[14:15], exec, s[14:15]
	s_cbranch_execz .LBB2_1577
; %bb.1576:
	v_mov_b32_e32 v0, 1
	ds_write_b32 v0, v0
	s_trap 2
.LBB2_1577:
	s_or_b64 exec, exec, s[12:13]
	;;#ASMSTART
	s_wakeup
	;;#ASMEND
.LBB2_1578:
	s_or_b64 exec, exec, s[10:11]
.LBB2_1579:
	s_andn2_saveexec_b64 s[6:7], s[6:7]
	s_cbranch_execz .LBB2_1581
; %bb.1580:
	s_waitcnt vmcnt(0) lgkmcnt(0)
	buffer_wbinvl1_vol
	s_barrier
.LBB2_1581:
	s_or_b64 exec, exec, s[4:5]
.LBB2_1582:
	s_andn2_saveexec_b64 s[26:27], s[40:41]
	s_cbranch_execz .LBB2_1584
; %bb.1583:
	s_getpc_b64 s[4:5]
	s_add_u32 s4, s4, __PRETTY_FUNCTION__._ZN10PrimitivesI12hip_bfloat1610FuncMinMaxIS0_E12FanSymmetricILi1EELi0E11ProtoSimpleILi2ELi2ELi0ELi1ELi0ELi0EELi0ELb0ELi0ELi0ELi0EEC2EiiPKiS9_PKvPvmhhhP15ncclDevWorkCollP14ncclDevWorkP2pii@rel32@lo+4
	s_addc_u32 s5, s5, __PRETTY_FUNCTION__._ZN10PrimitivesI12hip_bfloat1610FuncMinMaxIS0_E12FanSymmetricILi1EELi0E11ProtoSimpleILi2ELi2ELi0ELi1ELi0ELi0EELi0ELb0ELi0ELi0ELi0EEC2EiiPKiS9_PKvPvmhhhP15ncclDevWorkCollP14ncclDevWorkP2pii@rel32@hi+12
	v_mov_b32_e32 v0, s4
	v_mov_b32_e32 v1, s5
	s_getpc_b64 s[6:7]
	s_add_u32 s6, s6, __assert_fail@rel32@lo+4
	s_addc_u32 s7, s7, __assert_fail@rel32@hi+12
	s_swappc_b64 s[30:31], s[6:7]
	; divergent unreachable
.LBB2_1584:
	s_or_b64 exec, exec, s[26:27]
	buffer_load_dword a39, off, s[0:3], s33 ; 4-byte Folded Reload
	buffer_load_dword a38, off, s[0:3], s33 offset:4 ; 4-byte Folded Reload
	buffer_load_dword a36, off, s[0:3], s33 offset:8 ; 4-byte Folded Reload
	;; [unrolled: 1-line block ×9, first 2 shown]
	s_waitcnt lgkmcnt(0)
	buffer_load_dword v59, off, s[0:3], s33 offset:40 ; 4-byte Folded Reload
	buffer_load_dword v58, off, s[0:3], s33 offset:44 ; 4-byte Folded Reload
	;; [unrolled: 1-line block ×12, first 2 shown]
	v_readlane_b32 s30, v63, 56
	v_readlane_b32 s31, v63, 57
	;; [unrolled: 1-line block ×59, first 2 shown]
	s_or_saveexec_b64 s[6:7], -1
	buffer_load_dword v63, off, s[0:3], s33 offset:88 ; 4-byte Folded Reload
	s_mov_b64 exec, s[6:7]
	s_addk_i32 s32, 0xe800
	s_mov_b32 s33, s4
	s_waitcnt vmcnt(0)
	s_setpc_b64 s[30:31]
.Lfunc_end2:
	.size	_ZN12_GLOBAL__N_17runRingI12hip_bfloat1610FuncMinMaxIS1_E11ProtoSimpleILi2ELi2ELi0ELi1ELi0ELi0EELi0ELi0ELi1ELi0EEEviiP15ncclDevWorkColl, .Lfunc_end2-_ZN12_GLOBAL__N_17runRingI12hip_bfloat1610FuncMinMaxIS1_E11ProtoSimpleILi2ELi2ELi0ELi1ELi0ELi0EELi0ELi0ELi1ELi0EEEviiP15ncclDevWorkColl
                                        ; -- End function
	.section	.AMDGPU.csdata,"",@progbits
; Function info:
; codeLenInByte = 47604
; NumSgprs: 94
; NumVgprs: 64
; NumAgprs: 40
; TotalNumVgprs: 104
; ScratchSize: 160
; MemoryBound: 1
	.text
	.p2align	2                               ; -- Begin function _Z51ncclDevFunc_AllReduce_RING_SIMPLE_MinMax_bf16_0_0_1v
	.type	_Z51ncclDevFunc_AllReduce_RING_SIMPLE_MinMax_bf16_0_0_1v,@function
_Z51ncclDevFunc_AllReduce_RING_SIMPLE_MinMax_bf16_0_0_1v: ; @_Z51ncclDevFunc_AllReduce_RING_SIMPLE_MinMax_bf16_0_0_1v
; %bb.0:
	s_waitcnt vmcnt(0) expcnt(0) lgkmcnt(0)
	s_mov_b32 s4, s33
	s_mov_b32 s33, s32
	s_or_saveexec_b64 s[6:7], -1
	buffer_store_dword v43, off, s[0:3], s33 offset:16 ; 4-byte Folded Spill
	buffer_store_dword v44, off, s[0:3], s33 offset:20 ; 4-byte Folded Spill
	s_mov_b64 exec, s[6:7]
	v_writelane_b32 v44, s4, 2
	s_addk_i32 s32, 0x800
	buffer_store_dword v40, off, s[0:3], s33 offset:12 ; 4-byte Folded Spill
	buffer_store_dword v41, off, s[0:3], s33 offset:8 ; 4-byte Folded Spill
	;; [unrolled: 1-line block ×3, first 2 shown]
	buffer_store_dword v63, off, s[0:3], s33 ; 4-byte Folded Spill
	v_writelane_b32 v43, s34, 0
	v_writelane_b32 v43, s35, 1
	;; [unrolled: 1-line block ×66, first 2 shown]
	s_trap 2
	ds_read_b32 v0, v0
	v_mov_b32_e32 v40, v31
	v_and_b32_e32 v41, 0x3ff, v40
	s_mov_b32 s92, s12
	s_mov_b64 s[90:91], s[8:9]
	s_waitcnt lgkmcnt(0)
	v_cmp_lt_i32_e32 vcc, v41, v0
	s_and_saveexec_b64 s[4:5], vcc
	s_cbranch_execz .LBB3_5
; %bb.1:
	s_load_dword s6, s[90:91], 0x0
	v_mov_b32_e32 v1, 0
	s_mov_b32 s10, 0
	v_mov_b32_e32 v4, v41
                                        ; implicit-def: $vgpr2
	s_waitcnt lgkmcnt(0)
	s_cmp_lt_u32 s92, s6
	s_cselect_b32 s6, 12, 18
	s_add_u32 s6, s90, s6
	s_addc_u32 s7, s91, 0
	global_load_ushort v1, v1, s[6:7]
	s_trap 2
	ds_read_b32 v3, v0
	s_mov_b64 s[6:7], 0
	s_waitcnt vmcnt(0) lgkmcnt(0)
	v_mul_lo_u32 v3, v3, v1
	s_branch .LBB3_3
.LBB3_2:                                ;   in Loop: Header=BB3_3 Depth=1
	s_or_b64 exec, exec, s[8:9]
	v_add_u32_e32 v4, v4, v1
	v_cmp_ge_i32_e32 vcc, v4, v0
	s_or_b64 s[6:7], vcc, s[6:7]
	v_add_u32_e32 v2, v2, v3
	s_andn2_b64 exec, exec, s[6:7]
	s_cbranch_execz .LBB3_5
.LBB3_3:                                ; =>This Inner Loop Header: Depth=1
	ds_read_b32 v5, v2
	s_waitcnt lgkmcnt(0)
	v_and_b32_e32 v5, 0x1000000, v5
	v_cmp_ne_u32_e32 vcc, 0, v5
	s_and_saveexec_b64 s[8:9], vcc
	s_cbranch_execz .LBB3_2
; %bb.4:                                ;   in Loop: Header=BB3_3 Depth=1
	ds_read_b64 v[6:7], v2 offset:104
	s_waitcnt lgkmcnt(0)
	flat_load_ushort v5, v[6:7]
	v_mov_b32_e32 v7, s10
	s_waitcnt vmcnt(0) lgkmcnt(0)
	v_and_b32_e32 v6, 0xffff, v5
	ds_write_b64 v2, v[6:7] offset:104
	s_branch .LBB3_2
.LBB3_5:
	s_or_b64 exec, exec, s[4:5]
	s_waitcnt lgkmcnt(0)
	s_barrier
	s_trap 2
	ds_read_b32 v0, v0
	s_waitcnt lgkmcnt(0)
	v_cmp_gt_i32_e32 vcc, 1, v0
	s_cbranch_vccnz .LBB3_13
; %bb.6:
	s_mov_b32 s93, 0
	s_mov_b64 s[94:95], src_shared_base
	v_mov_b32_e32 v42, 6
	s_branch .LBB3_8
.LBB3_7:                                ;   in Loop: Header=BB3_8 Depth=1
	s_or_b64 exec, exec, s[96:97]
	s_trap 2
	ds_read_b32 v0, v0
	s_add_i32 s93, s93, 1
	s_waitcnt lgkmcnt(0)
	v_cmp_lt_i32_e32 vcc, s93, v0
	s_cbranch_vccz .LBB3_13
.LBB3_8:                                ; =>This Inner Loop Header: Depth=1
	s_trap 2
	ds_read_b32 v0, v0
	s_cmp_eq_u32 s93, 0
	s_cbranch_scc1 .LBB3_11
; %bb.9:                                ;   in Loop: Header=BB3_8 Depth=1
	s_trap 2
	s_waitcnt lgkmcnt(0)
	ds_read_b32 v1, v0
	s_waitcnt lgkmcnt(0)
	v_xor_b32_e32 v1, v1, v0
	v_and_b32_e32 v1, 0xff0000, v1
	v_cmp_eq_u32_e32 vcc, 0, v1
	s_cbranch_vccnz .LBB3_11
; %bb.10:                               ;   in Loop: Header=BB3_8 Depth=1
	s_barrier
	ds_read_b32 v0, v0
.LBB3_11:                               ;   in Loop: Header=BB3_8 Depth=1
	s_waitcnt lgkmcnt(0)
	v_lshlrev_b32_sdwa v1, v42, v0 dst_sel:DWORD dst_unused:UNUSED_PAD src0_sel:DWORD src1_sel:BYTE_2
	v_cmp_lt_u32_e32 vcc, v41, v1
	s_and_saveexec_b64 s[96:97], vcc
	s_cbranch_execz .LBB3_7
; %bb.12:                               ;   in Loop: Header=BB3_8 Depth=1
	s_mov_b64 s[8:9], s[90:91]
	s_mov_b32 s12, s92
	v_mov_b32_e32 v31, v40
	v_mov_b32_e32 v0, v41
	;; [unrolled: 1-line block ×3, first 2 shown]
	s_getpc_b64 s[4:5]
	s_add_u32 s4, s4, _ZN12_GLOBAL__N_17runRingI12hip_bfloat1610FuncMinMaxIS1_E11ProtoSimpleILi2ELi2ELi0ELi1ELi0ELi0EELi0ELi0ELi1ELi0EEEviiP15ncclDevWorkColl@rel32@lo+4
	s_addc_u32 s5, s5, _ZN12_GLOBAL__N_17runRingI12hip_bfloat1610FuncMinMaxIS1_E11ProtoSimpleILi2ELi2ELi0ELi1ELi0ELi0EELi0ELi0ELi1ELi0EEEviiP15ncclDevWorkColl@rel32@hi+12
	s_swappc_b64 s[30:31], s[4:5]
	s_branch .LBB3_7
.LBB3_13:
	buffer_load_dword v63, off, s[0:3], s33 ; 4-byte Folded Reload
	buffer_load_dword v42, off, s[0:3], s33 offset:4 ; 4-byte Folded Reload
	buffer_load_dword v41, off, s[0:3], s33 offset:8 ; 4-byte Folded Reload
	;; [unrolled: 1-line block ×3, first 2 shown]
	v_readlane_b32 s30, v44, 0
	v_readlane_b32 s31, v44, 1
	v_readlane_b32 s97, v43, 63
	v_readlane_b32 s96, v43, 62
	v_readlane_b32 s95, v43, 61
	v_readlane_b32 s94, v43, 60
	v_readlane_b32 s93, v43, 59
	v_readlane_b32 s92, v43, 58
	v_readlane_b32 s91, v43, 57
	v_readlane_b32 s90, v43, 56
	v_readlane_b32 s89, v43, 55
	v_readlane_b32 s88, v43, 54
	v_readlane_b32 s87, v43, 53
	v_readlane_b32 s86, v43, 52
	v_readlane_b32 s85, v43, 51
	v_readlane_b32 s84, v43, 50
	v_readlane_b32 s83, v43, 49
	v_readlane_b32 s82, v43, 48
	v_readlane_b32 s81, v43, 47
	v_readlane_b32 s80, v43, 46
	v_readlane_b32 s79, v43, 45
	v_readlane_b32 s78, v43, 44
	v_readlane_b32 s77, v43, 43
	v_readlane_b32 s76, v43, 42
	v_readlane_b32 s75, v43, 41
	v_readlane_b32 s74, v43, 40
	v_readlane_b32 s73, v43, 39
	v_readlane_b32 s72, v43, 38
	v_readlane_b32 s71, v43, 37
	v_readlane_b32 s70, v43, 36
	v_readlane_b32 s69, v43, 35
	v_readlane_b32 s68, v43, 34
	v_readlane_b32 s67, v43, 33
	v_readlane_b32 s66, v43, 32
	v_readlane_b32 s65, v43, 31
	v_readlane_b32 s64, v43, 30
	v_readlane_b32 s63, v43, 29
	v_readlane_b32 s62, v43, 28
	v_readlane_b32 s61, v43, 27
	v_readlane_b32 s60, v43, 26
	v_readlane_b32 s59, v43, 25
	v_readlane_b32 s58, v43, 24
	v_readlane_b32 s57, v43, 23
	v_readlane_b32 s56, v43, 22
	v_readlane_b32 s55, v43, 21
	v_readlane_b32 s54, v43, 20
	v_readlane_b32 s53, v43, 19
	v_readlane_b32 s52, v43, 18
	v_readlane_b32 s51, v43, 17
	v_readlane_b32 s50, v43, 16
	v_readlane_b32 s49, v43, 15
	v_readlane_b32 s48, v43, 14
	v_readlane_b32 s47, v43, 13
	v_readlane_b32 s46, v43, 12
	v_readlane_b32 s45, v43, 11
	v_readlane_b32 s44, v43, 10
	v_readlane_b32 s43, v43, 9
	v_readlane_b32 s42, v43, 8
	v_readlane_b32 s41, v43, 7
	v_readlane_b32 s40, v43, 6
	v_readlane_b32 s39, v43, 5
	v_readlane_b32 s38, v43, 4
	v_readlane_b32 s37, v43, 3
	v_readlane_b32 s36, v43, 2
	v_readlane_b32 s35, v43, 1
	v_readlane_b32 s34, v43, 0
	v_readlane_b32 s4, v44, 2
	s_or_saveexec_b64 s[6:7], -1
	buffer_load_dword v43, off, s[0:3], s33 offset:16 ; 4-byte Folded Reload
	buffer_load_dword v44, off, s[0:3], s33 offset:20 ; 4-byte Folded Reload
	s_mov_b64 exec, s[6:7]
	s_addk_i32 s32, 0xf800
	s_mov_b32 s33, s4
	s_waitcnt vmcnt(0)
	s_setpc_b64 s[30:31]
.Lfunc_end3:
	.size	_Z51ncclDevFunc_AllReduce_RING_SIMPLE_MinMax_bf16_0_0_1v, .Lfunc_end3-_Z51ncclDevFunc_AllReduce_RING_SIMPLE_MinMax_bf16_0_0_1v
                                        ; -- End function
	.section	.AMDGPU.csdata,"",@progbits
; Function info:
; codeLenInByte = 1680
; NumSgprs: 102
; NumVgprs: 64
; NumAgprs: 40
; TotalNumVgprs: 104
; ScratchSize: 192
; MemoryBound: 0
	.text
	.p2align	2                               ; -- Begin function _ZN12_GLOBAL__N_17runRingI12hip_bfloat1610FuncMinMaxIS1_E11ProtoSimpleILi2ELi2ELi0ELi1ELi0ELi0EELi0ELi0ELi1ELi1EEEviiP15ncclDevWorkColl
	.type	_ZN12_GLOBAL__N_17runRingI12hip_bfloat1610FuncMinMaxIS1_E11ProtoSimpleILi2ELi2ELi0ELi1ELi0ELi0EELi0ELi0ELi1ELi1EEEviiP15ncclDevWorkColl,@function
_ZN12_GLOBAL__N_17runRingI12hip_bfloat1610FuncMinMaxIS1_E11ProtoSimpleILi2ELi2ELi0ELi1ELi0ELi0EELi0ELi0ELi1ELi1EEEviiP15ncclDevWorkColl: ; @_ZN12_GLOBAL__N_17runRingI12hip_bfloat1610FuncMinMaxIS1_E11ProtoSimpleILi2ELi2ELi0ELi1ELi0ELi0EELi0ELi0ELi1ELi1EEEviiP15ncclDevWorkColl
; %bb.0:
	s_waitcnt vmcnt(0) expcnt(0) lgkmcnt(0)
	s_mov_b32 s4, s33
	s_mov_b32 s33, s32
	s_or_saveexec_b64 s[6:7], -1
	buffer_store_dword v63, off, s[0:3], s33 offset:320 ; 4-byte Folded Spill
	s_mov_b64 exec, s[6:7]
	v_mov_b32_e32 v4, s4
	buffer_store_dword v4, off, s[0:3], s33 offset:324 ; 4-byte Folded Spill
	s_addk_i32 s32, 0x5400
	buffer_store_dword v40, off, s[0:3], s33 offset:184 ; 4-byte Folded Spill
	buffer_store_dword v41, off, s[0:3], s33 offset:180 ; 4-byte Folded Spill
	;; [unrolled: 1-line block ×46, first 2 shown]
	buffer_store_dword a63, off, s[0:3], s33 ; 4-byte Folded Spill
	v_writelane_b32 v63, s34, 0
	v_writelane_b32 v63, s35, 1
	;; [unrolled: 1-line block ×64, first 2 shown]
	s_trap 2
	flat_load_dword v6, v[2:3]
	ds_read_b32 v7, v0
	v_mov_b32_e32 v18, v1
                                        ; implicit-def: $vgpr4_vgpr5
                                        ; implicit-def: $vgpr8_vgpr9
                                        ; kill: killed $vgpr8_vgpr9
                                        ; implicit-def: $vgpr20_vgpr21
	s_waitcnt lgkmcnt(0)
	v_readfirstlane_b32 s76, v7
	s_waitcnt vmcnt(0)
	v_cmp_ne_u32_sdwa s[4:5], v6, v7 src0_sel:BYTE_0 src1_sel:DWORD
	s_and_saveexec_b64 s[6:7], s[4:5]
	s_xor_b64 s[4:5], exec, s[6:7]
	s_cbranch_execz .LBB4_6
; %bb.1:
	v_not_b32_sdwa v1, v6 dst_sel:DWORD dst_unused:UNUSED_PAD src0_sel:BYTE_0
	v_cmp_ne_u32_sdwa s[6:7], v6, v7 src0_sel:BYTE_1 src1_sel:DWORD
                                        ; implicit-def: $vgpr4_vgpr5
                                        ; implicit-def: $vgpr8_vgpr9
                                        ; kill: killed $vgpr8_vgpr9
                                        ; implicit-def: $vgpr20_vgpr21
	s_and_saveexec_b64 s[10:11], s[6:7]
	s_xor_b64 s[6:7], exec, s[10:11]
	s_cbranch_execz .LBB4_3
; %bb.2:
	flat_load_dwordx4 v[8:11], v[2:3] offset:72
	flat_load_dwordx2 v[4:5], v[2:3] offset:96
	v_add_u32_e32 v1, v7, v1
	v_ashrrev_i32_e32 v6, 31, v1
	s_waitcnt vmcnt(0) lgkmcnt(0)
	v_mul_lo_u32 v6, v10, v6
	v_mad_u64_u32 v[8:9], s[10:11], v10, v1, v[8:9]
	v_mul_lo_u32 v1, v11, v1
	v_add3_u32 v9, v1, v9, v6
	v_lshrrev_b64 v[4:5], 13, v[4:5]
	buffer_store_dword v8, off, s[0:3], s33 offset:264 ; 4-byte Folded Spill
	s_nop 0
	buffer_store_dword v9, off, s[0:3], s33 offset:268 ; 4-byte Folded Spill
	v_pk_mov_b32 v[20:21], v[10:11], v[10:11] op_sel:[0,1]
                                        ; implicit-def: $vgpr6
                                        ; implicit-def: $vgpr1
.LBB4_3:
	s_andn2_saveexec_b64 s[6:7], s[6:7]
	s_cbranch_execz .LBB4_5
; %bb.4:
	flat_load_dwordx4 v[8:11], v[2:3] offset:72
	flat_load_dwordx4 v[20:23], v[2:3] offset:88
	v_add_u32_sdwa v1, v6, v1 dst_sel:DWORD dst_unused:UNUSED_PAD src0_sel:BYTE_1 src1_sel:DWORD
	v_ashrrev_i32_e32 v4, 31, v1
	s_waitcnt vmcnt(0) lgkmcnt(0)
	v_mul_lo_u32 v4, v10, v4
	v_mad_u64_u32 v[6:7], s[10:11], v10, v1, v[8:9]
	v_mul_lo_u32 v1, v11, v1
	v_add3_u32 v7, v1, v7, v4
	v_lshrrev_b32_e32 v4, 2, v23
	buffer_store_dword v6, off, s[0:3], s33 offset:264 ; 4-byte Folded Spill
	s_nop 0
	buffer_store_dword v7, off, s[0:3], s33 offset:268 ; 4-byte Folded Spill
.LBB4_5:
	s_or_b64 exec, exec, s[6:7]
.LBB4_6:
	s_andn2_saveexec_b64 s[4:5], s[4:5]
	s_cbranch_execz .LBB4_8
; %bb.7:
	flat_load_dwordx2 v[4:5], v[2:3] offset:96
	flat_load_dwordx2 v[20:21], v[2:3] offset:72
	v_pk_mov_b32 v[6:7], 0, 0
	buffer_store_dword v6, off, s[0:3], s33 offset:264 ; 4-byte Folded Spill
	s_nop 0
	buffer_store_dword v7, off, s[0:3], s33 offset:268 ; 4-byte Folded Spill
	s_waitcnt vmcnt(0) lgkmcnt(0)
	v_lshlrev_b64 v[4:5], 8, v[4:5]
.LBB4_8:
	s_or_b64 exec, exec, s[4:5]
	s_trap 2
	ds_read_b64 v[6:7], v0
	s_waitcnt lgkmcnt(0)
	v_cmp_ne_u32_e32 vcc, -1, v6
	v_cndmask_b32_e64 v5, 0, 1, vcc
	v_cmp_ne_u32_e32 vcc, -1, v7
	v_addc_co_u32_e64 v1, s[4:5], 0, v5, vcc
	v_lshlrev_b32_e32 v6, 1, v1
	v_cmp_le_i32_e64 s[4:5], v6, v18
	s_and_saveexec_b64 s[6:7], s[4:5]
	s_xor_b64 s[38:39], exec, s[6:7]
	s_cbranch_execz .LBB4_2481
; %bb.9:
	flat_load_dwordx2 v[6:7], v[2:3] offset:104
	flat_load_dwordx4 v[10:13], v[2:3] offset:16
	flat_load_ushort v15, v[2:3] offset:8
	flat_load_dword v14, v[2:3] offset:4
	s_trap 2
	s_load_dword s4, s[8:9], 0x0
	v_mov_b32_e32 v8, 0
	v_mov_b32_e32 v62, 4
	s_waitcnt lgkmcnt(0)
	s_cmp_lt_u32 s12, s4
	s_cselect_b32 s4, 12, 18
	s_add_u32 s4, s8, s4
	s_addc_u32 s5, s9, 0
	global_load_ushort v19, v8, s[4:5]
	ds_read_b32 v8, v0
	v_cmp_ge_i32_e64 s[4:5], v0, v5
	s_waitcnt lgkmcnt(0)
	v_readfirstlane_b32 s18, v8
	s_and_saveexec_b64 s[6:7], s[4:5]
	s_cbranch_execz .LBB4_19
; %bb.10:
	v_cmp_le_u32_e64 s[4:5], v1, v0
                                        ; implicit-def: $vgpr62
	s_and_saveexec_b64 s[10:11], s[4:5]
	s_xor_b64 s[4:5], exec, s[10:11]
	s_cbranch_execz .LBB4_16
; %bb.11:
	v_cndmask_b32_e64 v8, 0, 1, vcc
	v_sub_u32_e32 v8, v18, v8
	v_cmp_ge_u32_e32 vcc, v0, v8
                                        ; implicit-def: $sgpr12
	s_and_saveexec_b64 s[10:11], vcc
	s_xor_b64 s[10:11], exec, s[10:11]
; %bb.12:
	s_mov_b32 s12, 16
                                        ; implicit-def: $vgpr1
; %bb.13:
	s_or_saveexec_b64 s[10:11], s[10:11]
	v_mov_b32_e32 v62, s12
	s_xor_b64 exec, exec, s[10:11]
; %bb.14:
	v_sub_u32_e32 v1, v18, v1
	v_cmp_ge_i32_e32 vcc, v0, v1
	v_cndmask_b32_e64 v1, 0, 1, vcc
	v_lshlrev_b32_e32 v62, 5, v1
; %bb.15:
	s_or_b64 exec, exec, s[10:11]
.LBB4_16:
	s_andn2_saveexec_b64 s[4:5], s[4:5]
; %bb.17:
	v_mov_b32_e32 v62, 8
; %bb.18:
	s_or_b64 exec, exec, s[4:5]
.LBB4_19:
	s_or_b64 exec, exec, s[6:7]
	v_and_b32_e32 v1, 36, v62
	v_cmp_ne_u32_e32 vcc, 0, v1
	v_mov_b32_e32 v8, -1
	s_and_saveexec_b64 s[4:5], vcc
	s_cbranch_execz .LBB4_21
; %bb.20:
	s_trap 2
	ds_read_b32 v8, v0
.LBB4_21:
	s_or_b64 exec, exec, s[4:5]
	v_and_b32_e32 v1, 24, v62
	v_cmp_ne_u32_e64 s[4:5], 0, v1
	s_and_saveexec_b64 s[6:7], s[4:5]
	s_cbranch_execz .LBB4_23
; %bb.22:
	s_trap 2
	s_waitcnt lgkmcnt(0)
	ds_read_b32 v8, v0
.LBB4_23:
	s_or_b64 exec, exec, s[6:7]
	s_waitcnt vmcnt(0)
	v_lshrrev_b64 v[14:15], 31, v[14:15]
	v_pk_mov_b32 v[22:23], 0, 0
	v_and_b32_e32 v1, 3, v14
	s_waitcnt lgkmcnt(0)
	v_ashrrev_i32_e32 v9, 31, v8
	v_pk_mov_b32 v[48:49], v[22:23], v[22:23] op_sel:[0,1]
                                        ; implicit-def: $vgpr14_vgpr15
                                        ; kill: killed $vgpr14_vgpr15
                                        ; implicit-def: $vgpr38
                                        ; implicit-def: $vgpr44_vgpr45
                                        ; implicit-def: $vgpr52_vgpr53
                                        ; implicit-def: $vgpr60_vgpr61
                                        ; implicit-def: $vgpr46_vgpr47
	s_and_saveexec_b64 s[4:5], vcc
	s_cbranch_execz .LBB4_33
; %bb.24:
	s_trap 2
	ds_read_b64 v[14:15], v0
	v_lshlrev_b64 v[16:17], 3, v[8:9]
	s_movk_i32 s6, 0xa8
	s_waitcnt lgkmcnt(0)
	v_add_co_u32_e32 v14, vcc, v14, v16
	v_addc_co_u32_e32 v15, vcc, v15, v17, vcc
	flat_load_dwordx2 v[14:15], v[14:15]
	v_and_b32_e32 v16, 0xffff, v1
	s_waitcnt vmcnt(0) lgkmcnt(0)
	v_mad_u64_u32 v[14:15], s[6:7], v16, s6, v[14:15]
	flat_load_dword v16, v[14:15] offset:640
	v_add_co_u32_e32 v22, vcc, 0x1f8, v14
	v_addc_co_u32_e32 v23, vcc, 0, v15, vcc
                                        ; implicit-def: $vgpr14_vgpr15
                                        ; kill: killed $vgpr14_vgpr15
	s_waitcnt vmcnt(0) lgkmcnt(0)
	v_cmp_eq_u32_e32 vcc, 1, v16
	s_and_saveexec_b64 s[6:7], vcc
	s_cbranch_execz .LBB4_26
; %bb.25:
	flat_load_dwordx2 v[16:17], v[22:23] offset:144
	v_or_b32_e32 v62, 0x2000, v62
	s_waitcnt vmcnt(0) lgkmcnt(0)
	flat_load_dwordx2 v[14:15], v[16:17]
	s_trap 2
	s_waitcnt vmcnt(0) lgkmcnt(0)
	ds_write_b64 v0, v[14:15]
	flat_load_dwordx2 v[14:15], v[16:17] offset:8
	s_waitcnt vmcnt(0) lgkmcnt(0)
	ds_write_b64 v0, v[14:15]
	buffer_store_dword v16, off, s[0:3], s33 offset:312 ; 4-byte Folded Spill
	s_nop 0
	buffer_store_dword v17, off, s[0:3], s33 offset:316 ; 4-byte Folded Spill
	flat_load_dwordx2 v[14:15], v[16:17] offset:16
	s_waitcnt vmcnt(0) lgkmcnt(0)
	ds_write_b64 v0, v[14:15]
.LBB4_26:
	s_or_b64 exec, exec, s[6:7]
	flat_load_dwordx2 v[14:15], v[22:23] offset:104
	v_and_b32_e32 v16, 32, v62
                                        ; implicit-def: $vgpr46_vgpr47
	s_waitcnt vmcnt(0) lgkmcnt(0)
	v_add_co_u32_e32 v14, vcc, 3, v14
	v_addc_co_u32_e32 v45, vcc, 0, v15, vcc
	v_and_b32_e32 v44, -4, v14
	v_cmp_ne_u32_e32 vcc, 0, v16
	s_and_saveexec_b64 s[6:7], vcc
	s_cbranch_execz .LBB4_28
; %bb.27:
	flat_load_dwordx2 v[46:47], v[22:23] offset:56
	s_waitcnt vmcnt(0) lgkmcnt(0)
	flat_store_dwordx2 v[46:47], v[44:45]
.LBB4_28:
	s_or_b64 exec, exec, s[6:7]
	v_and_b32_e32 v14, 4, v62
	v_cmp_ne_u32_e32 vcc, 0, v14
	v_pk_mov_b32 v[48:49], 0, 0
                                        ; implicit-def: $vgpr38
                                        ; implicit-def: $vgpr52_vgpr53
                                        ; implicit-def: $vgpr60_vgpr61
	s_and_saveexec_b64 s[6:7], vcc
	s_cbranch_execz .LBB4_32
; %bb.29:
	v_and_b32_e32 v14, 0x800, v62
	v_cmp_eq_u32_e32 vcc, 0, v14
	s_and_saveexec_b64 s[10:11], vcc
	s_cbranch_execz .LBB4_31
; %bb.30:
	s_trap 2
	ds_write_b64 v0, v[22:23]
.LBB4_31:
	s_or_b64 exec, exec, s[10:11]
	flat_load_dwordx2 v[46:47], v[22:23] offset:48
	v_or_b32_e32 v15, 0x100, v62
	s_waitcnt vmcnt(0) lgkmcnt(0)
	flat_load_dwordx2 v[60:61], v[46:47] glc
	flat_load_dword v14, v[22:23] offset:72
	flat_load_dwordx2 v[48:49], v[22:23] offset:96
	flat_load_dwordx2 v[52:53], v[22:23] offset:16
	s_waitcnt vmcnt(0) lgkmcnt(0)
	v_ashrrev_i32_e32 v38, 1, v14
	v_cmp_eq_u64_e32 vcc, 0, v[48:49]
	v_cndmask_b32_e32 v62, v15, v62, vcc
.LBB4_32:
	s_or_b64 exec, exec, s[6:7]
.LBB4_33:
	s_or_b64 exec, exec, s[4:5]
	v_and_b32_e32 v14, 24, v62
	v_cmp_ne_u32_e32 vcc, 0, v14
                                        ; implicit-def: $agpr18_agpr19
	s_and_saveexec_b64 s[4:5], vcc
	s_cbranch_execz .LBB4_41
; %bb.34:
	s_trap 2
	ds_read_b64 v[14:15], v0
	v_lshlrev_b64 v[8:9], 3, v[8:9]
	v_and_b32_e32 v1, 0xffff, v1
	s_movk_i32 s6, 0xa8
                                        ; implicit-def: $agpr18_agpr19
	s_waitcnt lgkmcnt(0)
	v_add_co_u32_e32 v8, vcc, v14, v8
	v_addc_co_u32_e32 v9, vcc, v15, v9, vcc
	flat_load_dwordx2 v[8:9], v[8:9]
	s_waitcnt vmcnt(0) lgkmcnt(0)
	v_mad_u64_u32 v[22:23], s[6:7], v1, s6, v[8:9]
	flat_load_dwordx4 v[48:51], v[22:23] offset:96
	v_or_b32_e32 v1, 0x100, v62
	s_waitcnt vmcnt(0) lgkmcnt(0)
	v_cmp_eq_u64_e32 vcc, 0, v[48:49]
	v_cndmask_b32_e32 v62, v1, v62, vcc
	v_and_b32_e32 v1, 16, v62
	v_cmp_ne_u32_e32 vcc, 0, v1
	s_and_saveexec_b64 s[6:7], vcc
	s_cbranch_execz .LBB4_36
; %bb.35:
	flat_load_dwordx2 a[18:19], v[22:23] offset:120
	flat_load_dwordx2 v[46:47], v[22:23] offset:48
	;; [unrolled: 1-line block ×3, first 2 shown]
.LBB4_36:
	s_or_b64 exec, exec, s[6:7]
	v_add_co_u32_e32 v1, vcc, 3, v50
	v_addc_co_u32_e32 v45, vcc, 0, v51, vcc
	v_and_b32_e32 v44, -4, v1
	v_and_b32_e32 v1, 8, v62
	v_cmp_ne_u32_e32 vcc, 0, v1
	s_and_saveexec_b64 s[6:7], vcc
	s_cbranch_execz .LBB4_40
; %bb.37:
	v_and_b32_e32 v1, 0x800, v62
	v_cmp_eq_u32_e32 vcc, 0, v1
	s_and_saveexec_b64 s[10:11], vcc
	s_cbranch_execz .LBB4_39
; %bb.38:
	s_trap 2
	ds_write_b64 v0, v[22:23]
.LBB4_39:
	s_or_b64 exec, exec, s[10:11]
	s_waitcnt vmcnt(0) lgkmcnt(0)
	flat_load_dwordx2 v[46:47], v[22:23] offset:56
	s_waitcnt vmcnt(0) lgkmcnt(0)
	flat_load_dwordx2 v[60:61], v[46:47] glc
	flat_load_dword v1, v[22:23] offset:72
	flat_load_dwordx2 v[52:53], v[22:23] offset:16
	s_waitcnt vmcnt(0) lgkmcnt(0)
	v_ashrrev_i32_e32 v38, 1, v1
.LBB4_40:
	s_or_b64 exec, exec, s[6:7]
.LBB4_41:
	s_or_b64 exec, exec, s[4:5]
	v_cmp_eq_u32_e64 s[4:5], 0, v0
	s_and_saveexec_b64 s[6:7], s[4:5]
	s_cbranch_execz .LBB4_43
; %bb.42:
	flat_load_dwordx2 v[8:9], v[2:3] offset:32
	ds_write2_b64 v0, v[12:13], v[10:11] offset1:1
	s_trap 2
	s_waitcnt vmcnt(0) lgkmcnt(0)
	ds_write_b64 v0, v[8:9]
	ds_write_b64 v0, v[6:7]
.LBB4_43:
	s_or_b64 exec, exec, s[6:7]
	s_mov_b64 s[42:43], 0
	v_cmp_lt_i64_e32 vcc, 0, v[20:21]
	v_pk_mov_b32 v[40:41], 0, 0
	s_and_saveexec_b64 s[40:41], vcc
	s_cbranch_execz .LBB4_2445
; %bb.44:
	buffer_store_dword v22, off, s[0:3], s33 offset:292 ; 4-byte Folded Spill
	s_nop 0
	buffer_store_dword v23, off, s[0:3], s33 offset:296 ; 4-byte Folded Spill
	flat_load_dword v2, v[2:3] offset:4
	v_mov_b32_e32 v42, 0
	v_and_b32_e32 v10, 0x1fffff00, v4
	v_mov_b32_e32 v11, v42
	v_and_b32_e32 v1, 63, v31
	v_lshrrev_b32_e32 v28, 6, v18
	v_ashrrev_i32_e32 v3, 31, v0
	v_mov_b32_e32 v4, 0xfffffe00
	v_accvgpr_write_b32 a61, v11
	v_mad_i64_i32 v[54:55], s[16:17], v10, s76, 0
	s_ashr_i32 s19, s18, 31
	v_accvgpr_write_b32 a60, v10
	v_cmp_eq_u32_e64 s[16:17], 0, v1
	v_lshrrev_b32_e32 v1, 26, v3
	v_lshl_add_u32 v10, v28, 9, v4
	s_movk_i32 s20, 0x200
	v_mov_b32_e32 v9, 0xfffff800
	s_lshr_b32 s19, s19, 29
	v_add_u32_e32 v1, v0, v1
	v_ashrrev_i32_e32 v11, 31, v10
	v_lshlrev_b32_e32 v39, 10, v28
	v_lshl_add_u32 v4, v28, 11, v9
	s_add_i32 s24, s18, s19
	v_ashrrev_i32_e32 v9, 6, v1
	v_and_b32_e32 v1, 0xffffffc0, v1
	v_add_co_u32_e64 v14, s[18:19], s20, v10
	v_accvgpr_write_b32 a25, v11
	s_ashr_i32 s77, s76, 31
	v_cmp_ge_i32_e32 vcc, v0, v18
	v_lshlrev_b32_e32 v50, 4, v0
	s_movk_i32 s78, 0x400
	v_add_u32_e32 v12, 0xfffffc00, v39
	s_ashr_i32 s25, s24, 4
	v_accvgpr_write_b32 a24, v10
	v_addc_co_u32_e64 v10, s[18:19], 0, v11, s[18:19]
	v_sub_u32_e32 v0, v0, v1
	v_sub_u32_e32 v1, 0, v9
	v_lshlrev_b32_e32 v51, 7, v28
	v_ashrrev_i32_e32 v13, 31, v12
	s_add_u32 s80, s76, -1
	v_accvgpr_write_b32 a36, v1
	v_add_co_u32_e64 v1, s[18:19], s78, v12
	s_movk_i32 s21, 0x80
	s_waitcnt vmcnt(0) lgkmcnt(0)
	v_accvgpr_read_b32 v6, a18
	v_add_u32_e32 v16, 0xffffff80, v51
	v_accvgpr_write_b32 a37, v1
	v_addc_co_u32_e64 v1, s[18:19], 0, v13, s[18:19]
	s_addc_u32 s81, s77, -1
	s_add_i32 s82, s76, s76
	s_not_b32 s26, s76
	v_accvgpr_read_b32 v7, a19
	v_ashrrev_i32_e32 v17, 31, v16
	v_accvgpr_write_b32 a38, v1
	v_add_co_u32_e64 v1, s[18:19], s21, v16
	s_cmp_gt_i32 s76, 0
	v_cmp_eq_u64_e64 s[12:13], 0, v[6:7]
	v_cmp_ne_u64_e64 s[14:15], 0, v[6:7]
	v_lshrrev_b32_e64 v6, 6, s33
	v_accvgpr_write_b32 a39, v1
	v_addc_co_u32_e64 v1, s[18:19], 0, v17, s[18:19]
	s_cselect_b32 s26, s26, -1
	s_ashr_i32 s24, s24, 31
	v_add_u32_e32 v6, 0xe0, v6
	v_cmp_gt_i32_e64 s[18:19], 1, v0
	v_cmp_lt_i32_e64 s[20:21], v0, v5
	v_cmp_le_i32_e64 s[22:23], v0, v5
	v_accvgpr_write_b32 a35, v0
	v_lshlrev_b32_e32 v0, 4, v0
	s_lshr_b32 s24, s24, 28
	s_movk_i32 s79, 0x800
	v_add_u32_e32 v3, 16, v6
	v_accvgpr_write_b32 a34, v10
	v_lshl_add_u32 v10, v9, 11, v0
	s_add_i32 s25, s25, s24
	v_and_b32_e32 v0, 1, v2
	v_accvgpr_write_b32 a21, v3
	v_ashrrev_i32_e32 v3, 31, v4
	s_add_i32 s83, s26, s82
	s_ashr_i32 s85, s25, 4
	v_cmp_eq_u32_e64 s[24:25], 1, v0
	v_add_co_u32_e64 v0, s[26:27], s79, v4
	v_lshrrev_b32_e64 v8, 6, s33
	v_accvgpr_write_b32 a41, v0
	v_addc_co_u32_e64 v0, s[26:27], 0, v3, s[26:27]
	v_add_u32_e32 v8, 0xc0, v8
	s_ashr_i32 s84, s83, 31
	v_accvgpr_write_b32 a43, v0
	v_add_u32_e32 v0, 16, v6
	s_cmp_gt_i32 s76, 2
	v_accvgpr_write_b32 a44, v0
	v_add_u32_e32 v0, 16, v8
	s_cselect_b64 s[46:47], -1, 0
	s_xor_b64 s[48:49], s[24:25], -1
	v_accvgpr_write_b32 a45, v0
	v_add_u32_e32 v0, 16, v6
	s_add_i32 s26, s76, 1
	buffer_store_dword v31, off, s[0:3], s33 offset:300 ; 4-byte Folded Spill
	s_trap 2
	buffer_store_dword v0, off, s[0:3], s33 offset:288 ; 4-byte Folded Spill
	v_add_u32_e32 v0, 16, v8
	s_cmp_le_i32 s76, s26
	v_accvgpr_write_b32 a2, v0
	s_cselect_b32 s27, s76, 0
	v_mov_b32_e32 v0, 0xffffff00
	s_sub_i32 s86, s26, s27
	v_lshl_add_u32 v0, v28, 8, v0
	s_movk_i32 s26, 0x100
	v_accvgpr_write_b32 a40, v1
	v_ashrrev_i32_e32 v1, 31, v0
	v_accvgpr_write_b32 a48, v0
	v_add_co_u32_e64 v0, s[26:27], s26, v0
	v_accvgpr_write_b32 a50, v0
	v_accvgpr_write_b32 a49, v1
	v_addc_co_u32_e64 v0, s[26:27], 0, v1, s[26:27]
	v_ashrrev_i32_e32 v1, 31, v38
	v_accvgpr_write_b32 a53, v1
	v_ashrrev_i32_e32 v1, 31, v50
	v_accvgpr_write_b32 a55, v1
	;; [unrolled: 2-line block ×3, first 2 shown]
	v_accvgpr_write_b32 a57, v1
	v_pk_mov_b32 v[0:1], 0, 0
	v_accvgpr_write_b32 a12, v48
	v_accvgpr_write_b32 a16, v52
	;; [unrolled: 1-line block ×3, first 2 shown]
	v_cmp_eq_u32_e64 s[6:7], 64, v18
	v_cmp_ne_u32_e64 s[10:11], 64, v18
	v_cmp_ne_u32_sdwa s[44:45], v19, v18 src0_sel:WORD_0 src1_sel:DWORD
	v_add_u32_e32 v7, 16, v8
	v_accvgpr_write_b32 a32, v14
	v_accvgpr_write_b32 a28, v12
	;; [unrolled: 1-line block ×6, first 2 shown]
	s_ashr_i32 s87, s86, 31
	s_add_i32 s88, s76, -2
	s_xor_b64 s[50:51], vcc, -1
	s_movk_i32 s89, 0x270e
	s_movk_i32 s90, 0x108
	s_mov_b32 s91, 0x7f800000
	s_movk_i32 s92, 0x7fff
	s_mov_b32 s93, 0xffff0000
	v_accvgpr_write_b32 a42, v10
	v_pk_mov_b32 v[40:41], v[0:1], v[0:1] op_sel:[0,1]
	v_accvgpr_write_b32 a13, v49
	v_accvgpr_write_b32 a14, v38
	v_accvgpr_write_b32 a17, v53
	v_accvgpr_write_b32 a20, v50
	v_accvgpr_write_b32 a23, v55
	v_accvgpr_write_b32 a3, v39
	v_accvgpr_write_b32 a15, v51
	buffer_store_dword v19, off, s[0:3], s33 offset:304 ; 4-byte Folded Spill
	buffer_store_dword v18, off, s[0:3], s33 offset:308 ; 4-byte Folded Spill
	;; [unrolled: 1-line block ×3, first 2 shown]
	s_nop 0
	buffer_store_dword v21, off, s[0:3], s33 offset:276 ; 4-byte Folded Spill
	buffer_store_dword v22, off, s[0:3], s33 offset:280 ; 4-byte Folded Spill
	;; [unrolled: 1-line block ×3, first 2 shown]
	s_branch .LBB4_47
.LBB4_45:                               ;   in Loop: Header=BB4_47 Depth=1
	s_or_b64 exec, exec, s[30:31]
.LBB4_46:                               ;   in Loop: Header=BB4_47 Depth=1
	s_or_b64 exec, exec, s[28:29]
	buffer_load_dword v20, off, s[0:3], s33 offset:272 ; 4-byte Folded Reload
	buffer_load_dword v21, off, s[0:3], s33 offset:276 ; 4-byte Folded Reload
	;; [unrolled: 1-line block ×4, first 2 shown]
	v_accvgpr_read_b32 v0, a58
	v_accvgpr_read_b32 v1, a59
	v_add_co_u32_e32 v0, vcc, v0, v54
	v_addc_co_u32_e32 v1, vcc, v1, v55, vcc
	s_waitcnt vmcnt(0)
	v_cmp_ge_i64_e32 vcc, v[0:1], v[20:21]
	s_or_b64 s[42:43], vcc, s[42:43]
	s_andn2_b64 exec, exec, s[42:43]
	s_cbranch_execz .LBB4_2444
.LBB4_47:                               ; =>This Loop Header: Depth=1
                                        ;     Child Loop BB4_57 Depth 2
                                        ;       Child Loop BB4_65 Depth 3
                                        ;       Child Loop BB4_89 Depth 3
	;; [unrolled: 1-line block ×9, first 2 shown]
                                        ;     Child Loop BB4_230 Depth 2
                                        ;       Child Loop BB4_236 Depth 3
                                        ;       Child Loop BB4_260 Depth 3
	;; [unrolled: 1-line block ×3, first 2 shown]
                                        ;     Child Loop BB4_302 Depth 2
                                        ;       Child Loop BB4_305 Depth 3
                                        ;         Child Loop BB4_313 Depth 4
                                        ;         Child Loop BB4_341 Depth 4
	;; [unrolled: 1-line block ×5, first 2 shown]
                                        ;           Child Loop BB4_587 Depth 5
                                        ;           Child Loop BB4_624 Depth 5
                                        ;         Child Loop BB4_701 Depth 4
                                        ;         Child Loop BB4_736 Depth 4
                                        ;           Child Loop BB4_737 Depth 5
                                        ;           Child Loop BB4_746 Depth 5
                                        ;         Child Loop BB4_768 Depth 4
                                        ;         Child Loop BB4_791 Depth 4
                                        ;       Child Loop BB4_810 Depth 3
                                        ;         Child Loop BB4_816 Depth 4
                                        ;         Child Loop BB4_856 Depth 4
	;; [unrolled: 1-line block ×3, first 2 shown]
                                        ;     Child Loop BB4_886 Depth 2
                                        ;       Child Loop BB4_894 Depth 3
                                        ;       Child Loop BB4_922 Depth 3
	;; [unrolled: 1-line block ×5, first 2 shown]
                                        ;         Child Loop BB4_1574 Depth 4
                                        ;         Child Loop BB4_1611 Depth 4
                                        ;       Child Loop BB4_1688 Depth 3
                                        ;       Child Loop BB4_1723 Depth 3
                                        ;         Child Loop BB4_1724 Depth 4
                                        ;         Child Loop BB4_1733 Depth 4
                                        ;       Child Loop BB4_963 Depth 3
                                        ;       Child Loop BB4_1171 Depth 3
                                        ;         Child Loop BB4_1172 Depth 4
                                        ;         Child Loop BB4_1207 Depth 4
	;; [unrolled: 1-line block ×4, first 2 shown]
                                        ;       Child Loop BB4_1283 Depth 3
                                        ;       Child Loop BB4_1291 Depth 3
                                        ;       Child Loop BB4_1328 Depth 3
                                        ;         Child Loop BB4_1329 Depth 4
                                        ;         Child Loop BB4_1336 Depth 4
	;; [unrolled: 1-line block ×4, first 2 shown]
                                        ;       Child Loop BB4_1356 Depth 3
                                        ;       Child Loop BB4_1755 Depth 3
	;; [unrolled: 1-line block ×3, first 2 shown]
                                        ;     Child Loop BB4_1796 Depth 2
                                        ;       Child Loop BB4_1802 Depth 3
                                        ;       Child Loop BB4_1830 Depth 3
	;; [unrolled: 1-line block ×3, first 2 shown]
                                        ;     Child Loop BB4_1872 Depth 2
                                        ;       Child Loop BB4_1875 Depth 3
                                        ;         Child Loop BB4_1883 Depth 4
                                        ;         Child Loop BB4_1911 Depth 4
	;; [unrolled: 1-line block ×4, first 2 shown]
                                        ;           Child Loop BB4_1954 Depth 5
                                        ;           Child Loop BB4_1959 Depth 5
                                        ;         Child Loop BB4_1967 Depth 4
                                        ;         Child Loop BB4_1972 Depth 4
                                        ;           Child Loop BB4_1974 Depth 5
                                        ;           Child Loop BB4_1979 Depth 5
                                        ;         Child Loop BB4_1985 Depth 4
                                        ;         Child Loop BB4_1993 Depth 4
	;; [unrolled: 1-line block ×3, first 2 shown]
                                        ;           Child Loop BB4_2005 Depth 5
                                        ;           Child Loop BB4_2010 Depth 5
                                        ;         Child Loop BB4_2015 Depth 4
                                        ;         Child Loop BB4_2028 Depth 4
	;; [unrolled: 1-line block ×7, first 2 shown]
                                        ;       Child Loop BB4_2128 Depth 3
                                        ;         Child Loop BB4_2134 Depth 4
                                        ;         Child Loop BB4_2162 Depth 4
	;; [unrolled: 1-line block ×3, first 2 shown]
                                        ;     Child Loop BB4_2207 Depth 2
                                        ;       Child Loop BB4_2215 Depth 3
                                        ;       Child Loop BB4_2239 Depth 3
	;; [unrolled: 1-line block ×9, first 2 shown]
                                        ;     Child Loop BB4_2378 Depth 2
                                        ;       Child Loop BB4_2384 Depth 3
                                        ;       Child Loop BB4_2408 Depth 3
	;; [unrolled: 1-line block ×3, first 2 shown]
	v_sub_co_u32_e32 v2, vcc, v20, v0
	v_subb_co_u32_e32 v3, vcc, v21, v1, vcc
	v_accvgpr_write_b32 a59, v1
	v_accvgpr_write_b32 a63, v3
	;; [unrolled: 1-line block ×4, first 2 shown]
	v_cmp_lt_i64_e32 vcc, v[2:3], v[54:55]
	s_and_saveexec_b64 s[28:29], vcc
	s_cbranch_execz .LBB4_53
; %bb.48:                               ;   in Loop: Header=BB4_47 Depth=1
	v_accvgpr_read_b32 v2, a62
	v_mov_b32_e32 v1, s81
	v_accvgpr_read_b32 v3, a63
	v_add_co_u32_e32 v0, vcc, s80, v2
	v_addc_co_u32_e32 v4, vcc, v1, v3, vcc
	v_or_b32_e32 v43, s77, v4
	v_cmp_ne_u64_e32 vcc, 0, v[42:43]
                                        ; implicit-def: $vgpr2_vgpr3
	s_and_saveexec_b64 s[26:27], vcc
	s_xor_b64 s[30:31], exec, s[26:27]
	s_cbranch_execz .LBB4_50
; %bb.49:                               ;   in Loop: Header=BB4_47 Depth=1
	s_add_u32 s26, s76, s77
	s_mov_b32 s34, s77
	s_mov_b32 s35, s77
	s_addc_u32 s27, s77, s77
	s_xor_b64 s[36:37], s[26:27], s[34:35]
	v_cvt_f32_u32_e32 v1, s36
	v_cvt_f32_u32_e32 v2, s37
	s_sub_u32 s26, 0, s36
	s_subb_u32 s27, 0, s37
	v_mac_f32_e32 v1, 0x4f800000, v2
	v_rcp_f32_e32 v1, v1
	v_mul_f32_e32 v1, 0x5f7ffffc, v1
	v_mul_f32_e32 v2, 0x2f800000, v1
	v_trunc_f32_e32 v2, v2
	v_mac_f32_e32 v1, 0xcf800000, v2
	v_cvt_u32_f32_e32 v2, v2
	v_cvt_u32_f32_e32 v1, v1
	v_mul_lo_u32 v3, s26, v2
	v_mul_hi_u32 v6, s26, v1
	v_mul_lo_u32 v5, s27, v1
	v_add_u32_e32 v3, v6, v3
	v_mul_lo_u32 v8, s26, v1
	v_add_u32_e32 v3, v3, v5
	v_mul_lo_u32 v6, v1, v3
	v_mul_hi_u32 v9, v1, v8
	v_mul_hi_u32 v5, v1, v3
	v_add_co_u32_e32 v6, vcc, v9, v6
	v_addc_co_u32_e32 v5, vcc, 0, v5, vcc
	v_mul_hi_u32 v10, v2, v8
	v_mul_lo_u32 v8, v2, v8
	v_add_co_u32_e32 v6, vcc, v6, v8
	v_mul_hi_u32 v9, v2, v3
	v_addc_co_u32_e32 v5, vcc, v5, v10, vcc
	v_addc_co_u32_e32 v6, vcc, 0, v9, vcc
	v_mul_lo_u32 v3, v2, v3
	v_add_co_u32_e32 v3, vcc, v5, v3
	v_addc_co_u32_e32 v5, vcc, 0, v6, vcc
	v_add_co_u32_e32 v1, vcc, v1, v3
	v_addc_co_u32_e32 v2, vcc, v2, v5, vcc
	v_mul_lo_u32 v3, s26, v2
	v_mul_hi_u32 v5, s26, v1
	v_add_u32_e32 v3, v5, v3
	v_mul_lo_u32 v5, s27, v1
	v_add_u32_e32 v3, v3, v5
	v_mul_lo_u32 v6, s26, v1
	v_mul_hi_u32 v8, v2, v6
	v_mul_lo_u32 v9, v2, v6
	v_mul_lo_u32 v11, v1, v3
	v_mul_hi_u32 v6, v1, v6
	v_mul_hi_u32 v10, v1, v3
	v_add_co_u32_e32 v6, vcc, v6, v11
	v_addc_co_u32_e32 v10, vcc, 0, v10, vcc
	v_add_co_u32_e32 v6, vcc, v6, v9
	v_mul_hi_u32 v5, v2, v3
	v_addc_co_u32_e32 v6, vcc, v10, v8, vcc
	v_addc_co_u32_e32 v5, vcc, 0, v5, vcc
	v_mul_lo_u32 v3, v2, v3
	v_add_co_u32_e32 v3, vcc, v6, v3
	v_addc_co_u32_e32 v5, vcc, 0, v5, vcc
	v_add_co_u32_e32 v3, vcc, v1, v3
	v_addc_co_u32_e32 v2, vcc, v2, v5, vcc
	v_ashrrev_i32_e32 v5, 31, v4
	v_add_co_u32_e32 v0, vcc, v0, v5
	v_addc_co_u32_e32 v1, vcc, v4, v5, vcc
	v_xor_b32_e32 v6, v0, v5
	v_xor_b32_e32 v4, v1, v5
	v_mad_u64_u32 v[0:1], s[26:27], v6, v2, 0
	v_mul_hi_u32 v8, v6, v3
	v_add_co_u32_e32 v8, vcc, v8, v0
	v_addc_co_u32_e32 v9, vcc, 0, v1, vcc
	v_mad_u64_u32 v[0:1], s[26:27], v4, v2, 0
	v_mad_u64_u32 v[2:3], s[26:27], v4, v3, 0
	v_add_co_u32_e32 v2, vcc, v8, v2
	v_addc_co_u32_e32 v2, vcc, v9, v3, vcc
	v_addc_co_u32_e32 v1, vcc, 0, v1, vcc
	v_add_co_u32_e32 v2, vcc, v2, v0
	v_addc_co_u32_e32 v3, vcc, 0, v1, vcc
	v_mul_lo_u32 v8, s37, v2
	v_mul_lo_u32 v9, s36, v3
	v_mad_u64_u32 v[0:1], s[26:27], s36, v2, 0
	v_add3_u32 v1, v1, v9, v8
	v_sub_u32_e32 v8, v4, v1
	v_mov_b32_e32 v9, s37
	v_sub_co_u32_e32 v0, vcc, v6, v0
	v_subb_co_u32_e64 v6, s[26:27], v8, v9, vcc
	v_subrev_co_u32_e64 v8, s[26:27], s36, v0
	v_subbrev_co_u32_e64 v6, s[26:27], 0, v6, s[26:27]
	v_cmp_le_u32_e64 s[26:27], s37, v6
	v_cndmask_b32_e64 v9, 0, -1, s[26:27]
	v_cmp_le_u32_e64 s[26:27], s36, v8
	v_cndmask_b32_e64 v8, 0, -1, s[26:27]
	v_cmp_eq_u32_e64 s[26:27], s37, v6
	v_cndmask_b32_e64 v6, v9, v8, s[26:27]
	v_add_co_u32_e64 v8, s[26:27], 2, v2
	v_subb_co_u32_e32 v1, vcc, v4, v1, vcc
	v_addc_co_u32_e64 v9, s[26:27], 0, v3, s[26:27]
	v_cmp_le_u32_e32 vcc, s37, v1
	v_add_co_u32_e64 v10, s[26:27], 1, v2
	v_cndmask_b32_e64 v4, 0, -1, vcc
	v_cmp_le_u32_e32 vcc, s36, v0
	v_addc_co_u32_e64 v11, s[26:27], 0, v3, s[26:27]
	v_cndmask_b32_e64 v0, 0, -1, vcc
	v_cmp_eq_u32_e32 vcc, s37, v1
	v_cmp_ne_u32_e64 s[26:27], 0, v6
	v_cndmask_b32_e32 v0, v4, v0, vcc
	v_cmp_ne_u32_e32 vcc, 0, v0
	v_cndmask_b32_e64 v1, v10, v8, s[26:27]
	v_cndmask_b32_e64 v6, v11, v9, s[26:27]
	v_cndmask_b32_e32 v1, v2, v1, vcc
	v_xor_b32_e32 v2, s34, v5
	v_cndmask_b32_e32 v0, v3, v6, vcc
	v_xor_b32_e32 v3, s35, v5
	v_xor_b32_e32 v1, v1, v2
	v_xor_b32_e32 v0, v0, v3
	v_sub_co_u32_e32 v2, vcc, v1, v2
	v_subb_co_u32_e32 v3, vcc, v0, v3, vcc
                                        ; implicit-def: $vgpr0
.LBB4_50:                               ;   in Loop: Header=BB4_47 Depth=1
	s_andn2_saveexec_b64 s[26:27], s[30:31]
	s_cbranch_execz .LBB4_52
; %bb.51:                               ;   in Loop: Header=BB4_47 Depth=1
	v_cvt_f32_u32_e32 v1, s76
	s_sub_i32 vcc_lo, 0, s76
	v_rcp_iflag_f32_e32 v1, v1
	v_mul_f32_e32 v1, 0x4f7ffffe, v1
	v_cvt_u32_f32_e32 v1, v1
	v_mul_lo_u32 v2, vcc_lo, v1
	v_mul_hi_u32 v2, v1, v2
	v_add_u32_e32 v1, v1, v2
	v_mul_hi_u32 v1, v0, v1
	v_mul_lo_u32 v2, v1, s76
	v_sub_u32_e32 v0, v0, v2
	v_add_u32_e32 v3, 1, v1
	v_subrev_u32_e32 v2, s76, v0
	v_cmp_le_u32_e32 vcc, s76, v0
	v_cndmask_b32_e32 v0, v0, v2, vcc
	v_cndmask_b32_e32 v1, v1, v3, vcc
	v_add_u32_e32 v2, 1, v1
	v_cmp_le_u32_e32 vcc, s76, v0
	v_cndmask_b32_e32 v2, v1, v2, vcc
	v_mov_b32_e32 v3, v42
.LBB4_52:                               ;   in Loop: Header=BB4_47 Depth=1
	s_or_b64 exec, exec, s[26:27]
	v_add_co_u32_e32 v0, vcc, 7, v2
	v_addc_co_u32_e32 v1, vcc, 0, v3, vcc
	v_and_b32_e32 v0, -8, v0
	v_accvgpr_write_b32 a61, v1
	v_accvgpr_write_b32 a60, v0
.LBB4_53:                               ;   in Loop: Header=BB4_47 Depth=1
	s_or_b64 exec, exec, s[28:29]
	v_accvgpr_read_b32 v8, a60
	v_accvgpr_read_b32 v9, a61
	v_mul_lo_u32 v0, v9, s83
	v_mul_lo_u32 v1, v8, s84
	v_mad_u64_u32 v[4:5], s[26:27], v8, s83, 0
	v_add3_u32 v5, v5, v1, v0
	buffer_load_dword v0, off, s[0:3], s33 offset:264 ; 4-byte Folded Reload
	buffer_load_dword v1, off, s[0:3], s33 offset:268 ; 4-byte Folded Reload
	v_accvgpr_read_b32 v2, a58
	v_accvgpr_read_b32 v3, a59
	v_accvgpr_write_b32 a31, v17
	v_accvgpr_write_b32 a30, v16
	v_mov_b32_e32 v16, 0
	s_waitcnt vmcnt(0)
	v_add_co_u32_e32 v0, vcc, v2, v0
	s_waitcnt vmcnt(0)
	v_addc_co_u32_e32 v1, vcc, v3, v1, vcc
	v_accvgpr_write_b32 a9, v1
	v_accvgpr_write_b32 a8, v0
	v_accvgpr_read_b32 v0, a62
	v_accvgpr_read_b32 v1, a63
	v_sub_co_u32_e32 v0, vcc, v0, v4
	v_subb_co_u32_e32 v1, vcc, v1, v5, vcc
	v_cmp_lt_i64_e32 vcc, v[8:9], v[0:1]
	v_cndmask_b32_e32 v0, v0, v8, vcc
	v_max_i32_e32 v24, 0, v0
	v_add_u32_e32 v1, 31, v24
	v_lshrrev_b32_e32 v1, 1, v1
	v_and_b32_e32 v1, 0x3ffffff0, v1
	v_cmp_lt_i32_e32 vcc, 0, v0
	v_max_i32_e32 v2, s85, v1
	s_and_b64 s[26:27], s[50:51], vcc
	v_mov_b32_e32 v0, 0
	s_and_saveexec_b64 s[28:29], s[26:27]
	s_cbranch_execz .LBB4_226
; %bb.54:                               ;   in Loop: Header=BB4_47 Depth=1
	s_mov_b32 s66, 1
	s_mov_b64 s[34:35], -1
	s_mov_b64 s[30:31], 0
	v_mov_b32_e32 v16, 0
	s_waitcnt lgkmcnt(0)
	v_lshlrev_b64 v[18:19], 1, v[4:5]
	s_branch .LBB4_57
.LBB4_55:                               ;   in Loop: Header=BB4_57 Depth=2
	s_or_b64 exec, exec, vcc
	v_add_co_u32_e32 v44, vcc, 2, v44
	v_addc_co_u32_e32 v45, vcc, 0, v45, vcc
	flat_store_dwordx2 v[46:47], v[44:45]
.LBB4_56:                               ;   in Loop: Header=BB4_57 Depth=2
	s_or_b64 exec, exec, s[26:27]
	v_add_u32_e32 v16, v2, v16
	v_cmp_ge_i32_e32 vcc, v16, v24
	s_xor_b64 s[26:27], s[34:35], -1
	s_or_b64 s[26:27], s[26:27], vcc
	s_and_b64 s[26:27], exec, s[26:27]
	s_or_b64 s[30:31], s[26:27], s[30:31]
	s_mov_b64 s[34:35], 0
	v_mov_b32_e32 v0, s66
	s_mov_b32 s66, 2
	s_andn2_b64 exec, exec, s[30:31]
	s_cbranch_execz .LBB4_225
.LBB4_57:                               ;   Parent Loop BB4_47 Depth=1
                                        ; =>  This Loop Header: Depth=2
                                        ;       Child Loop BB4_65 Depth 3
                                        ;       Child Loop BB4_89 Depth 3
	;; [unrolled: 1-line block ×9, first 2 shown]
	s_and_saveexec_b64 s[26:27], s[4:5]
	s_cbranch_execz .LBB4_59
; %bb.58:                               ;   in Loop: Header=BB4_57 Depth=2
	s_trap 2
	ds_read_b64 v[0:1], v0
	v_accvgpr_read_b32 v4, a8
	v_accvgpr_read_b32 v5, a9
	v_lshlrev_b64 v[4:5], 1, v[4:5]
	v_ashrrev_i32_e32 v17, 31, v16
	s_waitcnt lgkmcnt(0)
	v_add_co_u32_e32 v0, vcc, v0, v4
	v_addc_co_u32_e32 v1, vcc, v1, v5, vcc
	v_add_co_u32_e32 v3, vcc, v0, v18
	v_addc_co_u32_e32 v4, vcc, v1, v19, vcc
	v_lshlrev_b64 v[0:1], 1, v[16:17]
	v_add_co_u32_e32 v0, vcc, v3, v0
	v_addc_co_u32_e32 v1, vcc, v4, v1, vcc
	v_mov_b32_e32 v43, v42
	ds_write_b64 v0, v[0:1]
	ds_write_b64 v0, v[42:43]
.LBB4_59:                               ;   in Loop: Header=BB4_57 Depth=2
	s_or_b64 exec, exec, s[26:27]
	v_and_b32_e32 v0, 8, v62
	v_cmp_ne_u32_e32 vcc, 0, v0
	s_mov_b64 s[36:37], -1
	s_and_saveexec_b64 s[26:27], vcc
	s_cbranch_execz .LBB4_71
; %bb.60:                               ;   in Loop: Header=BB4_57 Depth=2
	v_add_co_u32_e32 v0, vcc, 8, v60
	v_addc_co_u32_e32 v1, vcc, 0, v61, vcc
	v_add_co_u32_e32 v4, vcc, 2, v44
	v_addc_co_u32_e32 v5, vcc, 0, v45, vcc
	v_cmp_lt_u64_e32 vcc, v[0:1], v[4:5]
	v_mov_b32_e32 v0, 1
	s_and_saveexec_b64 s[36:37], vcc
	s_cbranch_execz .LBB4_70
; %bb.61:                               ;   in Loop: Header=BB4_57 Depth=2
	s_mov_b64 s[52:53], 0
	v_mov_b32_e32 v0, 0
                                        ; implicit-def: $sgpr54_sgpr55
	s_branch .LBB4_65
.LBB4_62:                               ;   in Loop: Header=BB4_65 Depth=3
	s_or_b64 exec, exec, s[62:63]
	v_mov_b32_e32 v1, 0
	s_orn2_b64 s[60:61], s[60:61], exec
.LBB4_63:                               ;   in Loop: Header=BB4_65 Depth=3
	s_or_b64 exec, exec, s[58:59]
	s_andn2_b64 vcc, s[54:55], exec
	s_and_b64 s[54:55], s[60:61], exec
	s_or_b64 s[54:55], vcc, s[54:55]
	v_mov_b32_e32 v0, v1
.LBB4_64:                               ;   in Loop: Header=BB4_65 Depth=3
	s_or_b64 exec, exec, s[56:57]
	s_waitcnt vmcnt(0) lgkmcnt(0)
	v_add_co_u32_e32 v8, vcc, 8, v60
	v_addc_co_u32_e32 v9, vcc, 0, v61, vcc
	v_cmp_ge_u64_e32 vcc, v[8:9], v[4:5]
	s_xor_b64 s[56:57], s[54:55], -1
	s_or_b64 vcc, s[56:57], vcc
	s_and_b64 vcc, exec, vcc
	s_or_b64 s[52:53], vcc, s[52:53]
	s_andn2_b64 exec, exec, s[52:53]
	s_cbranch_execz .LBB4_69
.LBB4_65:                               ;   Parent Loop BB4_47 Depth=1
                                        ;     Parent Loop BB4_57 Depth=2
                                        ; =>    This Inner Loop Header: Depth=3
	s_sleep 1
	flat_load_dwordx2 v[60:61], v[46:47] glc
	v_and_b32_e32 v1, 64, v62
	v_cmp_eq_u32_e32 vcc, 0, v1
	s_andn2_b64 s[54:55], s[54:55], exec
	s_and_saveexec_b64 s[56:57], vcc
	s_cbranch_execz .LBB4_64
; %bb.66:                               ;   in Loop: Header=BB4_65 Depth=3
	v_add_u32_e32 v1, 1, v0
	v_cmp_lt_i32_e32 vcc, s89, v0
	s_mov_b64 s[60:61], -1
	s_and_saveexec_b64 s[58:59], vcc
	s_cbranch_execz .LBB4_63
; %bb.67:                               ;   in Loop: Header=BB4_65 Depth=3
	s_trap 2
	ds_read_b64 v[0:1], v0
	s_waitcnt vmcnt(0) lgkmcnt(0)
	flat_load_dword v0, v[0:1] glc
	s_waitcnt vmcnt(0) lgkmcnt(0)
	buffer_invl2
	buffer_wbinvl1_vol
	v_cmp_ne_u32_e32 vcc, 0, v0
	s_and_saveexec_b64 s[62:63], vcc
	s_cbranch_execz .LBB4_62
; %bb.68:                               ;   in Loop: Header=BB4_65 Depth=3
	v_or_b32_e32 v62, 64, v62
	s_xor_b64 s[60:61], exec, -1
	ds_write_b32 v0, v0
	s_trap 2
	s_branch .LBB4_62
.LBB4_69:                               ;   in Loop: Header=BB4_57 Depth=2
	s_or_b64 exec, exec, s[52:53]
	v_and_b32_e32 v0, 8, v62
.LBB4_70:                               ;   in Loop: Header=BB4_57 Depth=2
	s_or_b64 exec, exec, s[36:37]
	v_cmp_eq_u32_e32 vcc, 0, v0
	s_orn2_b64 s[36:37], vcc, exec
	;;#ASMSTART
	s_wakeup
	;;#ASMEND
.LBB4_71:                               ;   in Loop: Header=BB4_57 Depth=2
	s_or_b64 exec, exec, s[26:27]
	v_sub_u32_e32 v0, v24, v16
	s_xor_b64 s[26:27], s[36:37], -1
	v_min_i32_e32 v2, v2, v0
	s_and_saveexec_b64 s[36:37], s[26:27]
	s_cbranch_execz .LBB4_81
; %bb.72:                               ;   in Loop: Header=BB4_57 Depth=2
	v_and_b32_e32 v0, 0x100, v62
	v_cmp_ne_u32_e32 vcc, 0, v0
	v_and_b32_e32 v0, 7, v44
	s_mov_b64 s[26:27], -1
                                        ; implicit-def: $vgpr4_vgpr5
	s_and_saveexec_b64 s[52:53], vcc
	s_cbranch_execz .LBB4_76
; %bb.73:                               ;   in Loop: Header=BB4_57 Depth=2
	v_mad_u64_u32 v[8:9], s[26:27], v0, 24, v[48:49]
	flat_load_dword v1, v[8:9]
	v_ashrrev_i32_e32 v3, 31, v2
	v_lshlrev_b64 v[4:5], 1, v[2:3]
	flat_store_dwordx2 v[8:9], v[4:5] offset:8
                                        ; implicit-def: $vgpr4_vgpr5
	s_waitcnt vmcnt(0) lgkmcnt(0)
	v_cmp_ne_u32_e32 vcc, 1, v1
	v_cmp_eq_u32_e64 s[26:27], 1, v1
	s_and_saveexec_b64 s[54:55], s[26:27]
	s_cbranch_execz .LBB4_75
; %bb.74:                               ;   in Loop: Header=BB4_57 Depth=2
	flat_load_dword v4, v[8:9] offset:4 glc
	s_waitcnt vmcnt(0) lgkmcnt(0)
	v_ashrrev_i32_e32 v5, 31, v4
	v_lshrrev_b64 v[4:5], 1, v[4:5]
.LBB4_75:                               ;   in Loop: Header=BB4_57 Depth=2
	s_or_b64 exec, exec, s[54:55]
	s_orn2_b64 s[26:27], vcc, exec
.LBB4_76:                               ;   in Loop: Header=BB4_57 Depth=2
	s_or_b64 exec, exec, s[52:53]
	s_and_saveexec_b64 vcc, s[26:27]
; %bb.77:                               ;   in Loop: Header=BB4_57 Depth=2
	v_mad_i64_i32 v[4:5], s[26:27], v0, v38, 0
; %bb.78:                               ;   in Loop: Header=BB4_57 Depth=2
	s_or_b64 exec, exec, vcc
	v_lshlrev_b64 v[0:1], 1, v[4:5]
	v_add_co_u32_e32 v0, vcc, v52, v0
	v_addc_co_u32_e32 v1, vcc, v53, v1, vcc
	ds_write_b64 v0, v[0:1] offset:784
	v_and_b32_e32 v0, 0x2000, v62
	v_cmp_ne_u32_e32 vcc, 0, v0
	s_and_saveexec_b64 s[26:27], vcc
	s_cbranch_execz .LBB4_80
; %bb.79:                               ;   in Loop: Header=BB4_57 Depth=2
	ds_read_b64 v[0:1], v0 offset:584
	s_waitcnt lgkmcnt(0)
	v_add_co_u32_e32 v0, vcc, 1, v0
	v_addc_co_u32_e32 v1, vcc, 0, v1, vcc
	ds_write_b64 v0, v[0:1] offset:584
.LBB4_80:                               ;   in Loop: Header=BB4_57 Depth=2
	s_or_b64 exec, exec, s[26:27]
	v_add_co_u32_e32 v44, vcc, 2, v44
	v_addc_co_u32_e32 v45, vcc, 0, v45, vcc
.LBB4_81:                               ;   in Loop: Header=BB4_57 Depth=2
	s_or_b64 exec, exec, s[36:37]
	s_and_saveexec_b64 s[26:27], s[10:11]
	s_cbranch_execz .LBB4_100
; %bb.82:                               ;   in Loop: Header=BB4_57 Depth=2
	s_and_saveexec_b64 vcc, s[44:45]
	s_xor_b64 s[36:37], exec, vcc
	s_cbranch_execz .LBB4_97
; %bb.83:                               ;   in Loop: Header=BB4_57 Depth=2
	s_and_saveexec_b64 s[52:53], s[16:17]
	s_cbranch_execz .LBB4_96
; %bb.84:                               ;   in Loop: Header=BB4_57 Depth=2
	s_mov_b64 s[56:57], exec
	v_mbcnt_lo_u32_b32 v0, s56, 0
	v_mbcnt_hi_u32_b32 v0, s57, v0
	v_cmp_eq_u32_e32 vcc, 0, v0
	s_waitcnt vmcnt(0) lgkmcnt(0)
	buffer_wbinvl1_vol
	s_and_saveexec_b64 s[54:55], vcc
	s_cbranch_execz .LBB4_86
; %bb.85:                               ;   in Loop: Header=BB4_57 Depth=2
	s_bcnt1_i32_b64 vcc_lo, s[56:57]
	v_mov_b32_e32 v0, vcc_lo
	v_mov_b32_e32 v1, v42
	ds_add_u64 v0, v[0:1]
	s_trap 2
.LBB4_86:                               ;   in Loop: Header=BB4_57 Depth=2
	s_or_b64 exec, exec, s[54:55]
	s_trap 2
	ds_read_b64 v[0:1], v0
	v_add_co_u32_e32 v40, vcc, v40, v28
	v_addc_co_u32_e32 v41, vcc, 0, v41, vcc
	s_waitcnt lgkmcnt(0)
	v_cmp_lt_u64_e32 vcc, v[0:1], v[40:41]
	s_and_saveexec_b64 s[54:55], vcc
	s_cbranch_execz .LBB4_95
; %bb.87:                               ;   in Loop: Header=BB4_57 Depth=2
	s_mov_b32 s67, 0
	s_mov_b64 s[56:57], 0
                                        ; implicit-def: $sgpr58_sgpr59
                                        ; implicit-def: $sgpr60_sgpr61
	s_branch .LBB4_89
.LBB4_88:                               ;   in Loop: Header=BB4_89 Depth=3
	s_or_b64 exec, exec, s[64:65]
	s_and_b64 vcc, exec, vcc
	s_or_b64 s[56:57], vcc, s[56:57]
	s_andn2_b64 vcc, s[58:59], exec
	s_and_b64 s[58:59], s[60:61], exec
	s_or_b64 s[58:59], vcc, s[58:59]
	s_andn2_b64 exec, exec, s[56:57]
	s_cbranch_execz .LBB4_93
.LBB4_89:                               ;   Parent Loop BB4_47 Depth=1
                                        ;     Parent Loop BB4_57 Depth=2
                                        ; =>    This Inner Loop Header: Depth=3
	s_add_i32 s67, s67, 1
	s_cmpk_lg_i32 s67, 0x2710
	s_cselect_b64 s[62:63], -1, 0
	s_and_b64 vcc, exec, s[62:63]
                                        ; implicit-def: $sgpr64_sgpr65
	s_cbranch_vccnz .LBB4_91
; %bb.90:                               ;   in Loop: Header=BB4_89 Depth=3
	s_trap 2
	ds_read_b64 v[0:1], v0
	s_andn2_b64 s[62:63], s[62:63], exec
	s_mov_b32 s67, 0
	s_mov_b64 s[64:65], -1
	s_waitcnt lgkmcnt(0)
	flat_load_dword v0, v[0:1] glc
	s_waitcnt vmcnt(0) lgkmcnt(0)
	buffer_invl2
	buffer_wbinvl1_vol
	v_cmp_eq_u32_e32 vcc, 0, v0
	s_and_b64 vcc, vcc, exec
	s_or_b64 s[62:63], s[62:63], vcc
.LBB4_91:                               ;   in Loop: Header=BB4_89 Depth=3
	s_andn2_b64 s[60:61], s[60:61], exec
	s_and_b64 s[64:65], s[64:65], exec
	s_mov_b64 vcc, -1
	s_or_b64 s[60:61], s[60:61], s[64:65]
	s_and_saveexec_b64 s[64:65], s[62:63]
	s_cbranch_execz .LBB4_88
; %bb.92:                               ;   in Loop: Header=BB4_89 Depth=3
	s_sleep 1
	s_trap 2
	ds_read_b64 v[0:1], v0
	s_andn2_b64 s[60:61], s[60:61], exec
	s_waitcnt lgkmcnt(0)
	v_cmp_ge_u64_e32 vcc, v[0:1], v[40:41]
	s_orn2_b64 vcc, vcc, exec
	s_branch .LBB4_88
.LBB4_93:                               ;   in Loop: Header=BB4_57 Depth=2
	s_or_b64 exec, exec, s[56:57]
	s_and_saveexec_b64 vcc, s[58:59]
	s_xor_b64 vcc, exec, vcc
	s_cbranch_execz .LBB4_95
; %bb.94:                               ;   in Loop: Header=BB4_57 Depth=2
	v_mov_b32_e32 v0, 1
	ds_write_b32 v0, v0
	s_trap 2
.LBB4_95:                               ;   in Loop: Header=BB4_57 Depth=2
	s_or_b64 exec, exec, s[54:55]
	;;#ASMSTART
	s_wakeup
	;;#ASMEND
.LBB4_96:                               ;   in Loop: Header=BB4_57 Depth=2
	s_or_b64 exec, exec, s[52:53]
.LBB4_97:                               ;   in Loop: Header=BB4_57 Depth=2
	s_andn2_saveexec_b64 vcc, s[36:37]
	s_cbranch_execz .LBB4_99
; %bb.98:                               ;   in Loop: Header=BB4_57 Depth=2
	s_waitcnt vmcnt(0) lgkmcnt(0)
	buffer_wbinvl1_vol
	s_barrier
.LBB4_99:                               ;   in Loop: Header=BB4_57 Depth=2
	s_or_b64 exec, exec, vcc
.LBB4_100:                              ;   in Loop: Header=BB4_57 Depth=2
	s_or_b64 exec, exec, s[26:27]
	s_trap 2
	ds_read_b32 v0, v0
	v_and_b32_e32 v1, 0x4000, v62
	v_cmp_ne_u32_e32 vcc, 0, v1
	s_xor_b64 s[26:27], s[6:7], -1
	s_and_b64 vcc, s[26:27], vcc
	s_and_saveexec_b64 s[26:27], vcc
	s_cbranch_execz .LBB4_119
; %bb.101:                              ;   in Loop: Header=BB4_57 Depth=2
	s_and_saveexec_b64 vcc, s[44:45]
	s_xor_b64 s[36:37], exec, vcc
	s_cbranch_execz .LBB4_116
; %bb.102:                              ;   in Loop: Header=BB4_57 Depth=2
	s_and_saveexec_b64 s[52:53], s[16:17]
	s_cbranch_execz .LBB4_115
; %bb.103:                              ;   in Loop: Header=BB4_57 Depth=2
	s_mov_b64 s[56:57], exec
	v_mbcnt_lo_u32_b32 v1, s56, 0
	v_mbcnt_hi_u32_b32 v1, s57, v1
	v_cmp_eq_u32_e32 vcc, 0, v1
	s_waitcnt vmcnt(0) lgkmcnt(0)
	buffer_wbinvl1_vol
	s_and_saveexec_b64 s[54:55], vcc
	s_cbranch_execz .LBB4_105
; %bb.104:                              ;   in Loop: Header=BB4_57 Depth=2
	s_bcnt1_i32_b64 vcc_lo, s[56:57]
	v_mov_b32_e32 v4, vcc_lo
	v_mov_b32_e32 v5, v42
	ds_add_u64 v0, v[4:5]
	s_trap 2
.LBB4_105:                              ;   in Loop: Header=BB4_57 Depth=2
	s_or_b64 exec, exec, s[54:55]
	s_trap 2
	ds_read_b64 v[4:5], v0
	v_add_co_u32_e32 v40, vcc, v40, v28
	v_addc_co_u32_e32 v41, vcc, 0, v41, vcc
	s_waitcnt lgkmcnt(0)
	v_cmp_lt_u64_e32 vcc, v[4:5], v[40:41]
	s_and_saveexec_b64 s[54:55], vcc
	s_cbranch_execz .LBB4_114
; %bb.106:                              ;   in Loop: Header=BB4_57 Depth=2
	s_mov_b32 s67, 0
	s_mov_b64 s[56:57], 0
                                        ; implicit-def: $sgpr58_sgpr59
                                        ; implicit-def: $sgpr60_sgpr61
	s_branch .LBB4_108
.LBB4_107:                              ;   in Loop: Header=BB4_108 Depth=3
	s_or_b64 exec, exec, s[64:65]
	s_and_b64 vcc, exec, vcc
	s_or_b64 s[56:57], vcc, s[56:57]
	s_andn2_b64 vcc, s[58:59], exec
	s_and_b64 s[58:59], s[60:61], exec
	s_or_b64 s[58:59], vcc, s[58:59]
	s_andn2_b64 exec, exec, s[56:57]
	s_cbranch_execz .LBB4_112
.LBB4_108:                              ;   Parent Loop BB4_47 Depth=1
                                        ;     Parent Loop BB4_57 Depth=2
                                        ; =>    This Inner Loop Header: Depth=3
	s_add_i32 s67, s67, 1
	s_cmpk_lg_i32 s67, 0x2710
	s_cselect_b64 s[62:63], -1, 0
	s_and_b64 vcc, exec, s[62:63]
                                        ; implicit-def: $sgpr64_sgpr65
	s_cbranch_vccnz .LBB4_110
; %bb.109:                              ;   in Loop: Header=BB4_108 Depth=3
	s_trap 2
	ds_read_b64 v[4:5], v0
	s_andn2_b64 s[62:63], s[62:63], exec
	s_mov_b32 s67, 0
	s_mov_b64 s[64:65], -1
	s_waitcnt lgkmcnt(0)
	flat_load_dword v1, v[4:5] glc
	s_waitcnt vmcnt(0) lgkmcnt(0)
	buffer_invl2
	buffer_wbinvl1_vol
	v_cmp_eq_u32_e32 vcc, 0, v1
	s_and_b64 vcc, vcc, exec
	s_or_b64 s[62:63], s[62:63], vcc
.LBB4_110:                              ;   in Loop: Header=BB4_108 Depth=3
	s_andn2_b64 s[60:61], s[60:61], exec
	s_and_b64 s[64:65], s[64:65], exec
	s_mov_b64 vcc, -1
	s_or_b64 s[60:61], s[60:61], s[64:65]
	s_and_saveexec_b64 s[64:65], s[62:63]
	s_cbranch_execz .LBB4_107
; %bb.111:                              ;   in Loop: Header=BB4_108 Depth=3
	s_sleep 1
	s_trap 2
	ds_read_b64 v[4:5], v0
	s_andn2_b64 s[60:61], s[60:61], exec
	s_waitcnt lgkmcnt(0)
	v_cmp_ge_u64_e32 vcc, v[4:5], v[40:41]
	s_orn2_b64 vcc, vcc, exec
	s_branch .LBB4_107
.LBB4_112:                              ;   in Loop: Header=BB4_57 Depth=2
	s_or_b64 exec, exec, s[56:57]
	s_and_saveexec_b64 vcc, s[58:59]
	s_xor_b64 vcc, exec, vcc
	s_cbranch_execz .LBB4_114
; %bb.113:                              ;   in Loop: Header=BB4_57 Depth=2
	v_mov_b32_e32 v1, 1
	ds_write_b32 v0, v1
	s_trap 2
.LBB4_114:                              ;   in Loop: Header=BB4_57 Depth=2
	s_or_b64 exec, exec, s[54:55]
	;;#ASMSTART
	s_wakeup
	;;#ASMEND
.LBB4_115:                              ;   in Loop: Header=BB4_57 Depth=2
	s_or_b64 exec, exec, s[52:53]
.LBB4_116:                              ;   in Loop: Header=BB4_57 Depth=2
	s_andn2_saveexec_b64 vcc, s[36:37]
	s_cbranch_execz .LBB4_118
; %bb.117:                              ;   in Loop: Header=BB4_57 Depth=2
	s_waitcnt vmcnt(0) lgkmcnt(0)
	buffer_wbinvl1_vol
	s_barrier
.LBB4_118:                              ;   in Loop: Header=BB4_57 Depth=2
	s_or_b64 exec, exec, vcc
.LBB4_119:                              ;   in Loop: Header=BB4_57 Depth=2
	s_or_b64 exec, exec, s[26:27]
	s_trap 2
	s_waitcnt lgkmcnt(0)
	ds_read_b64 v[4:5], v0
	v_mov_b32_e32 v17, 0
	s_waitcnt lgkmcnt(0)
	v_readfirstlane_b32 s26, v4
	v_readfirstlane_b32 s27, v5
	s_cmp_eq_u64 s[26:27], 0
	s_cselect_b64 s[26:27], -1, 0
	s_or_b64 s[26:27], s[26:27], s[26:27]
	s_and_b64 vcc, exec, s[26:27]
	s_cbranch_vccnz .LBB4_180
; %bb.120:                              ;   in Loop: Header=BB4_57 Depth=2
	s_mov_b64 s[26:27], -1
	s_and_saveexec_b64 s[36:37], s[18:19]
	s_cbranch_execz .LBB4_122
; %bb.121:                              ;   in Loop: Header=BB4_57 Depth=2
	ds_read_b32 v1, v0 offset:720
	s_waitcnt lgkmcnt(0)
	v_and_b32_e32 v1, 15, v1
	v_cmp_eq_u32_e32 vcc, 0, v1
	s_orn2_b64 s[26:27], vcc, exec
.LBB4_122:                              ;   in Loop: Header=BB4_57 Depth=2
	s_or_b64 exec, exec, s[36:37]
	s_and_saveexec_b64 s[36:37], s[20:21]
	s_cbranch_execz .LBB4_124
; %bb.123:                              ;   in Loop: Header=BB4_57 Depth=2
	ds_read_b32 v1, v0 offset:784
	s_waitcnt lgkmcnt(0)
	v_and_b32_e32 v1, 15, v1
	v_cmp_eq_u32_e32 vcc, 0, v1
	s_and_b64 vcc, s[26:27], vcc
	s_andn2_b64 s[26:27], s[26:27], exec
	s_and_b64 vcc, vcc, exec
	s_or_b64 s[26:27], s[26:27], vcc
.LBB4_124:                              ;   in Loop: Header=BB4_57 Depth=2
	s_or_b64 exec, exec, s[36:37]
	s_xor_b64 s[26:27], s[26:27], -1
	v_cmp_eq_u32_e32 vcc, 0, v0
	v_cndmask_b32_e64 v0, 0, 1, s[26:27]
	;;#ASMSTART
	;;#ASMEND
	s_trap 2
	ds_read_b64 v[20:21], v0
	v_cndmask_b32_e32 v17, 0, v2, vcc
	v_lshlrev_b32_e32 v25, 1, v17
	s_mov_b64 s[26:27], -1
	v_cmp_ne_u32_e32 vcc, 0, v0
	s_cbranch_vccz .LBB4_135
; %bb.125:                              ;   in Loop: Header=BB4_57 Depth=2
	s_mov_b64 s[36:37], -1
	s_mov_b32 s52, 0
	s_cbranch_execnz .LBB4_136
.LBB4_126:                              ;   in Loop: Header=BB4_57 Depth=2
	v_ashrrev_i32_e32 v0, 31, v25
	v_lshrrev_b32_e32 v0, 22, v0
	v_add_u32_e32 v0, v25, v0
	v_ashrrev_i32_e32 v1, 10, v0
	v_and_b32_e32 v0, 0xfffffc00, v0
	v_sub_u32_e32 v26, v25, v0
	v_cmp_lt_i32_e64 s[26:27], 15, v26
	v_accvgpr_read_b32 v3, a36
	v_addc_co_u32_e64 v3, vcc, v1, v3, s[26:27]
	s_waitcnt lgkmcnt(0)
	v_add_co_u32_e32 v4, vcc, v20, v50
	v_accvgpr_read_b32 v1, a55
	v_sub_u32_e32 v6, v25, v50
	v_addc_co_u32_e32 v5, vcc, v21, v1, vcc
	v_cmp_lt_i32_e32 vcc, 15, v6
	s_mov_b64 s[54:55], 0
                                        ; implicit-def: $vgpr8_vgpr9
	s_and_saveexec_b64 s[52:53], vcc
	s_cbranch_execz .LBB4_138
; %bb.127:                              ;   in Loop: Header=BB4_57 Depth=2
	s_trap 2
	ds_read_b64 v[8:9], v0
	v_accvgpr_read_b32 v1, a55
	s_mov_b64 s[58:59], 0
                                        ; implicit-def: $sgpr56_sgpr57
	s_waitcnt lgkmcnt(0)
	v_add_co_u32_e32 v22, vcc, v8, v50
	v_addc_co_u32_e32 v23, vcc, v9, v1, vcc
                                        ; implicit-def: $vgpr8_vgpr9
	s_branch .LBB4_129
.LBB4_128:                              ;   in Loop: Header=BB4_129 Depth=3
	s_or_b64 exec, exec, s[60:61]
	v_cmp_gt_i32_e32 vcc, 16, v6
	s_or_b64 s[54:55], vcc, s[54:55]
	s_andn2_b64 vcc, s[56:57], exec
	s_and_b64 s[56:57], s[58:59], exec
	s_or_b64 s[56:57], vcc, s[56:57]
	s_andn2_b64 exec, exec, s[54:55]
	s_cbranch_execz .LBB4_137
.LBB4_129:                              ;   Parent Loop BB4_47 Depth=1
                                        ;     Parent Loop BB4_57 Depth=2
                                        ; =>    This Inner Loop Header: Depth=3
	global_load_dwordx4 v[12:15], v[22:23], off glc slc
	s_and_saveexec_b64 s[60:61], s[58:59]
	s_cbranch_execz .LBB4_131
; %bb.130:                              ;   in Loop: Header=BB4_129 Depth=3
	v_accvgpr_read_b32 v1, a37
	v_add_co_u32_e32 v30, vcc, v4, v1
	v_accvgpr_read_b32 v1, a38
	v_addc_co_u32_e32 v31, vcc, v5, v1, vcc
	global_store_dwordx4 v[4:5], v[8:11], off glc slc
	v_pk_mov_b32 v[4:5], v[30:31], v[30:31] op_sel:[0,1]
.LBB4_131:                              ;   in Loop: Header=BB4_129 Depth=3
	s_or_b64 exec, exec, s[60:61]
	v_accvgpr_read_b32 v1, a37
	v_add_co_u32_e32 v22, vcc, v22, v1
	v_accvgpr_read_b32 v1, a38
	v_sub_u32_e32 v6, v6, v39
	v_addc_co_u32_e32 v23, vcc, v23, v1, vcc
	v_cmp_lt_i32_e64 s[58:59], 15, v6
	s_and_saveexec_b64 s[60:61], s[58:59]
	s_cbranch_execz .LBB4_133
; %bb.132:                              ;   in Loop: Header=BB4_129 Depth=3
	global_load_dwordx4 v[8:11], v[22:23], off glc slc
	v_add_co_u32_e32 v22, vcc, 0x400, v22
	v_addc_co_u32_e32 v23, vcc, 0, v23, vcc
.LBB4_133:                              ;   in Loop: Header=BB4_129 Depth=3
	s_or_b64 exec, exec, s[60:61]
	s_waitcnt vmcnt(0)
	global_store_dwordx4 v[4:5], v[12:15], off glc slc
	v_add_co_u32_e32 v4, vcc, 0x400, v4
	v_sub_u32_e32 v3, v3, v28
	v_addc_co_u32_e32 v5, vcc, 0, v5, vcc
	s_and_saveexec_b64 s[60:61], s[58:59]
	s_cbranch_execz .LBB4_128
; %bb.134:                              ;   in Loop: Header=BB4_129 Depth=3
	v_accvgpr_read_b32 v12, a28
	v_add_co_u32_e32 v4, vcc, v4, v12
	v_accvgpr_read_b32 v1, a33
	v_addc_co_u32_e32 v5, vcc, v5, v1, vcc
	v_add_co_u32_e32 v22, vcc, v22, v12
	v_addc_co_u32_e32 v23, vcc, v23, v1, vcc
	v_sub_u32_e32 v6, v6, v39
	v_sub_u32_e32 v3, v3, v28
	s_branch .LBB4_128
.LBB4_135:                              ;   in Loop: Header=BB4_57 Depth=2
	s_mov_b64 s[36:37], 0
                                        ; implicit-def: $sgpr52
	s_andn2_b64 vcc, exec, s[26:27]
	s_cbranch_vccz .LBB4_126
.LBB4_136:                              ;   in Loop: Header=BB4_57 Depth=2
	v_mov_b32_e32 v6, s52
	v_accvgpr_read_b32 v12, a35
	v_accvgpr_read_b32 v1, a29
	s_and_saveexec_b64 s[26:27], s[36:37]
	s_cbranch_execnz .LBB4_157
	s_branch .LBB4_179
.LBB4_137:                              ;   in Loop: Header=BB4_57 Depth=2
	s_or_b64 exec, exec, s[54:55]
	s_and_b64 s[54:55], s[56:57], exec
.LBB4_138:                              ;   in Loop: Header=BB4_57 Depth=2
	s_or_b64 exec, exec, s[52:53]
	s_and_saveexec_b64 vcc, s[54:55]
	s_cbranch_execz .LBB4_140
; %bb.139:                              ;   in Loop: Header=BB4_57 Depth=2
	global_store_dwordx4 v[4:5], v[8:11], off glc slc
.LBB4_140:                              ;   in Loop: Header=BB4_57 Depth=2
	s_or_b64 exec, exec, vcc
	v_and_b32_e32 v4, 14, v25
	v_cndmask_b32_e64 v27, v26, v4, s[26:27]
	v_cmp_ne_u32_e32 vcc, 0, v27
                                        ; implicit-def: $vgpr25
                                        ; implicit-def: $vgpr6
                                        ; implicit-def: $vgpr12
                                        ; implicit-def: $vgpr1
	s_and_saveexec_b64 s[52:53], vcc
	s_cbranch_execz .LBB4_156
; %bb.141:                              ;   in Loop: Header=BB4_57 Depth=2
	v_sub_u32_e32 v1, v26, v4
	v_cndmask_b32_e64 v1, 0, v1, s[26:27]
	v_cmp_lt_i32_e32 vcc, 0, v3
	v_add_u32_e32 v26, v1, v0
	v_cndmask_b32_e32 v0, 0, v28, vcc
	v_sub_u32_e32 v0, v0, v3
	v_accvgpr_read_b32 v1, a35
	v_lshl_add_u32 v0, v0, 6, v1
	v_ashrrev_i32_e32 v1, 31, v0
	v_lshrrev_b32_e32 v1, 26, v1
	v_add_u32_e32 v1, v0, v1
	v_ashrrev_i32_e32 v3, 6, v1
	v_and_b32_e32 v1, 0xffffffc0, v1
	v_sub_u32_e32 v29, v0, v1
	v_lshlrev_b32_e32 v0, 4, v29
	v_lshl_add_u32 v1, v3, 10, v0
	v_add_u32_e32 v0, v1, v26
	v_sub_u32_e32 v6, v27, v1
	v_ashrrev_i32_e32 v1, 31, v27
	v_lshrrev_b32_e32 v1, 22, v1
	v_add_u32_e32 v1, v27, v1
	v_and_b32_e32 v30, 0xfffffc00, v1
	v_sub_u32_e32 v32, v27, v30
	v_ashrrev_i32_e32 v4, 10, v1
	v_cmp_lt_i32_e64 s[26:27], 15, v32
	v_addc_co_u32_e64 v1, vcc, 0, v4, s[26:27]
	v_sub_u32_e32 v31, v1, v3
	v_ashrrev_i32_e32 v3, 31, v0
	v_add_co_u32_e32 v4, vcc, v0, v20
	v_addc_co_u32_e32 v5, vcc, v3, v21, vcc
	v_cmp_lt_i32_e32 vcc, 15, v6
	s_mov_b64 s[56:57], 0
                                        ; implicit-def: $vgpr8_vgpr9
	s_and_saveexec_b64 s[54:55], vcc
	s_cbranch_execz .LBB4_151
; %bb.142:                              ;   in Loop: Header=BB4_57 Depth=2
	s_trap 2
	ds_read_b64 v[8:9], v0
	s_mov_b64 s[60:61], 0
                                        ; implicit-def: $sgpr58_sgpr59
	s_waitcnt lgkmcnt(0)
	v_add_co_u32_e32 v22, vcc, v8, v0
	v_addc_co_u32_e32 v23, vcc, v9, v3, vcc
                                        ; implicit-def: $vgpr8_vgpr9
	s_branch .LBB4_144
.LBB4_143:                              ;   in Loop: Header=BB4_144 Depth=3
	s_or_b64 exec, exec, s[62:63]
	v_cmp_gt_i32_e32 vcc, 16, v6
	s_or_b64 s[56:57], vcc, s[56:57]
	s_andn2_b64 vcc, s[58:59], exec
	s_and_b64 s[58:59], s[60:61], exec
	s_or_b64 s[58:59], vcc, s[58:59]
	s_andn2_b64 exec, exec, s[56:57]
	s_cbranch_execz .LBB4_150
.LBB4_144:                              ;   Parent Loop BB4_47 Depth=1
                                        ;     Parent Loop BB4_57 Depth=2
                                        ; =>    This Inner Loop Header: Depth=3
	global_load_dwordx4 v[12:15], v[22:23], off glc slc
	s_and_saveexec_b64 s[62:63], s[60:61]
	s_cbranch_execz .LBB4_146
; %bb.145:                              ;   in Loop: Header=BB4_144 Depth=3
	v_accvgpr_read_b32 v0, a37
	v_add_co_u32_e32 v0, vcc, v4, v0
	v_accvgpr_read_b32 v1, a38
	v_addc_co_u32_e32 v1, vcc, v5, v1, vcc
	global_store_dwordx4 v[4:5], v[8:11], off glc slc
	v_pk_mov_b32 v[4:5], v[0:1], v[0:1] op_sel:[0,1]
.LBB4_146:                              ;   in Loop: Header=BB4_144 Depth=3
	s_or_b64 exec, exec, s[62:63]
	v_accvgpr_read_b32 v0, a37
	v_add_co_u32_e32 v22, vcc, v22, v0
	v_accvgpr_read_b32 v0, a38
	v_sub_u32_e32 v6, v6, v39
	v_addc_co_u32_e32 v23, vcc, v23, v0, vcc
	v_cmp_lt_i32_e64 s[60:61], 15, v6
	s_and_saveexec_b64 s[62:63], s[60:61]
	s_cbranch_execz .LBB4_148
; %bb.147:                              ;   in Loop: Header=BB4_144 Depth=3
	global_load_dwordx4 v[8:11], v[22:23], off glc slc
	v_add_co_u32_e32 v22, vcc, 0x400, v22
	v_addc_co_u32_e32 v23, vcc, 0, v23, vcc
.LBB4_148:                              ;   in Loop: Header=BB4_144 Depth=3
	s_or_b64 exec, exec, s[62:63]
	s_waitcnt vmcnt(0)
	global_store_dwordx4 v[4:5], v[12:15], off glc slc
	v_add_co_u32_e32 v4, vcc, 0x400, v4
	v_sub_u32_e32 v31, v31, v28
	v_addc_co_u32_e32 v5, vcc, 0, v5, vcc
	s_and_saveexec_b64 s[62:63], s[60:61]
	s_cbranch_execz .LBB4_143
; %bb.149:                              ;   in Loop: Header=BB4_144 Depth=3
	v_accvgpr_read_b32 v0, a28
	v_add_co_u32_e32 v4, vcc, v4, v0
	v_accvgpr_read_b32 v1, a33
	v_addc_co_u32_e32 v5, vcc, v5, v1, vcc
	v_add_co_u32_e32 v22, vcc, v22, v0
	v_addc_co_u32_e32 v23, vcc, v23, v1, vcc
	v_sub_u32_e32 v6, v6, v39
	v_sub_u32_e32 v31, v31, v28
	s_branch .LBB4_143
.LBB4_150:                              ;   in Loop: Header=BB4_57 Depth=2
	s_or_b64 exec, exec, s[56:57]
	s_and_b64 s[56:57], s[58:59], exec
.LBB4_151:                              ;   in Loop: Header=BB4_57 Depth=2
	s_or_b64 exec, exec, s[54:55]
	s_and_saveexec_b64 vcc, s[56:57]
	s_cbranch_execz .LBB4_153
; %bb.152:                              ;   in Loop: Header=BB4_57 Depth=2
	global_store_dwordx4 v[4:5], v[8:11], off glc slc
.LBB4_153:                              ;   in Loop: Header=BB4_57 Depth=2
	s_or_b64 exec, exec, vcc
	v_and_b32_e32 v0, 14, v27
	v_cndmask_b32_e64 v25, v32, v0, s[26:27]
	v_cmp_ne_u32_e32 vcc, 0, v25
	s_mov_b64 s[54:55], s[36:37]
                                        ; implicit-def: $vgpr6
                                        ; implicit-def: $vgpr12
                                        ; implicit-def: $vgpr1
	s_and_saveexec_b64 s[56:57], vcc
	s_cbranch_execz .LBB4_155
; %bb.154:                              ;   in Loop: Header=BB4_57 Depth=2
	v_sub_u32_e32 v0, v32, v0
	v_cndmask_b32_e64 v0, 0, v0, s[26:27]
	v_cmp_lt_i32_e32 vcc, 0, v31
	v_add3_u32 v6, v30, v26, v0
	v_cndmask_b32_e32 v0, 0, v28, vcc
	v_sub_u32_e32 v0, v0, v31
	v_lshl_add_u32 v0, v0, 6, v29
	v_ashrrev_i32_e32 v1, 31, v0
	v_lshrrev_b32_e32 v1, 26, v1
	v_add_u32_e32 v3, v0, v1
	v_ashrrev_i32_e32 v1, 6, v3
	v_and_b32_e32 v3, 0xffffffc0, v3
	v_sub_u32_e32 v12, v0, v3
	s_or_b64 s[54:55], s[36:37], exec
.LBB4_155:                              ;   in Loop: Header=BB4_57 Depth=2
	s_or_b64 exec, exec, s[56:57]
	s_andn2_b64 s[26:27], s[36:37], exec
	s_and_b64 vcc, s[54:55], exec
	s_or_b64 s[36:37], s[26:27], vcc
.LBB4_156:                              ;   in Loop: Header=BB4_57 Depth=2
	s_or_b64 exec, exec, s[52:53]
	s_and_saveexec_b64 s[26:27], s[36:37]
	s_cbranch_execz .LBB4_179
.LBB4_157:                              ;   in Loop: Header=BB4_57 Depth=2
	v_lshlrev_b32_e32 v0, 9, v1
	v_lshlrev_b32_e32 v3, 1, v12
	v_add3_u32 v0, v6, v3, v0
	v_ashrrev_i32_e32 v3, 31, v25
	v_lshrrev_b32_e32 v3, 23, v3
	v_add_u32_e32 v3, v25, v3
	v_ashrrev_i32_e32 v13, 9, v3
	v_ashrrev_i32_e32 v3, 31, v0
	s_waitcnt lgkmcnt(0)
	v_add_co_u32_e32 v4, vcc, v20, v0
	v_sub_u32_e32 v10, v13, v1
	v_addc_co_u32_e32 v5, vcc, v21, v3, vcc
	v_cmp_lt_i32_e32 vcc, 0, v10
	s_mov_b64 s[52:53], 0
                                        ; implicit-def: $vgpr14
                                        ; implicit-def: $vgpr15
                                        ; implicit-def: $vgpr22
                                        ; implicit-def: $vgpr23
	s_and_saveexec_b64 s[36:37], vcc
	s_cbranch_execz .LBB4_165
; %bb.158:                              ;   in Loop: Header=BB4_57 Depth=2
	s_trap 2
	ds_read_b64 v[8:9], v0
	s_mov_b64 s[56:57], 0
                                        ; implicit-def: $sgpr54_sgpr55
                                        ; implicit-def: $vgpr14
                                        ; implicit-def: $vgpr15
                                        ; implicit-def: $vgpr22
                                        ; implicit-def: $vgpr23
	s_waitcnt lgkmcnt(0)
	v_add_co_u32_e32 v8, vcc, v8, v0
	v_addc_co_u32_e32 v9, vcc, v9, v3, vcc
	s_branch .LBB4_160
.LBB4_159:                              ;   in Loop: Header=BB4_160 Depth=3
	s_or_b64 exec, exec, s[58:59]
	s_waitcnt vmcnt(0) lgkmcnt(0)
	flat_store_short v[4:5], v0 glc slc
	flat_store_short v[4:5], v1 offset:128 glc slc
	flat_store_short v[4:5], v3 offset:256 glc slc
	;; [unrolled: 1-line block ×3, first 2 shown]
	v_add_co_u32_e32 v0, vcc, v4, v10
	v_addc_co_u32_e32 v1, vcc, v5, v11, vcc
	v_add_co_u32_e32 v4, vcc, 0x200, v0
	v_addc_co_u32_e32 v5, vcc, 0, v1, vcc
	;; [unrolled: 2-line block ×3, first 2 shown]
	v_sub_u32_e32 v10, v27, v29
	v_cmp_gt_i32_e32 vcc, 1, v10
	s_or_b64 s[52:53], vcc, s[52:53]
	s_andn2_b64 vcc, s[54:55], exec
	s_and_b64 s[54:55], s[56:57], exec
	s_or_b64 s[54:55], vcc, s[54:55]
	s_andn2_b64 exec, exec, s[52:53]
	s_cbranch_execz .LBB4_164
.LBB4_160:                              ;   Parent Loop BB4_47 Depth=1
                                        ;     Parent Loop BB4_57 Depth=2
                                        ; =>    This Inner Loop Header: Depth=3
	flat_load_ushort v0, v[8:9] glc slc
	flat_load_ushort v1, v[8:9] offset:128 glc slc
	flat_load_ushort v3, v[8:9] offset:256 glc slc
	;; [unrolled: 1-line block ×3, first 2 shown]
	s_and_saveexec_b64 s[58:59], s[56:57]
	s_cbranch_execz .LBB4_162
; %bb.161:                              ;   in Loop: Header=BB4_160 Depth=3
	v_accvgpr_read_b32 v11, a32
	flat_store_short v[4:5], v14 glc slc
	flat_store_short v[4:5], v15 offset:128 glc slc
	flat_store_short v[4:5], v22 offset:256 glc slc
	;; [unrolled: 1-line block ×3, first 2 shown]
	v_add_co_u32_e32 v4, vcc, v4, v11
	v_accvgpr_read_b32 v11, a34
	v_addc_co_u32_e32 v5, vcc, v5, v11, vcc
.LBB4_162:                              ;   in Loop: Header=BB4_160 Depth=3
	s_or_b64 exec, exec, s[58:59]
	v_accvgpr_read_b32 v11, a32
	v_add_co_u32_e32 v8, vcc, v8, v11
	v_accvgpr_read_b32 v11, a34
	v_sub_u32_e32 v27, v10, v28
	v_addc_co_u32_e32 v9, vcc, v9, v11, vcc
	v_cmp_lt_i32_e64 s[56:57], 0, v27
	v_mov_b32_e32 v29, 0
	v_pk_mov_b32 v[10:11], 0, 0
	s_and_saveexec_b64 s[58:59], s[56:57]
	s_cbranch_execz .LBB4_159
; %bb.163:                              ;   in Loop: Header=BB4_160 Depth=3
	flat_load_ushort v14, v[8:9] glc slc
	flat_load_ushort v15, v[8:9] offset:128 glc slc
	flat_load_ushort v22, v[8:9] offset:256 glc slc
	;; [unrolled: 1-line block ×3, first 2 shown]
	v_add_co_u32_e32 v8, vcc, 0x200, v8
	v_accvgpr_read_b32 v10, a24
	v_addc_co_u32_e32 v9, vcc, 0, v9, vcc
	v_mov_b32_e32 v29, v28
	v_accvgpr_read_b32 v11, a25
	s_branch .LBB4_159
.LBB4_164:                              ;   in Loop: Header=BB4_57 Depth=2
	s_or_b64 exec, exec, s[52:53]
	s_and_b64 s[52:53], s[54:55], exec
.LBB4_165:                              ;   in Loop: Header=BB4_57 Depth=2
	s_or_b64 exec, exec, s[36:37]
	s_and_saveexec_b64 vcc, s[52:53]
	s_cbranch_execz .LBB4_167
; %bb.166:                              ;   in Loop: Header=BB4_57 Depth=2
	flat_store_short v[4:5], v14 glc slc
	flat_store_short v[4:5], v15 offset:128 glc slc
	flat_store_short v[4:5], v22 offset:256 glc slc
	;; [unrolled: 1-line block ×3, first 2 shown]
.LBB4_167:                              ;   in Loop: Header=BB4_57 Depth=2
	s_or_b64 exec, exec, vcc
	v_lshlrev_b32_e32 v0, 9, v13
	v_cmp_ne_u32_e32 vcc, v25, v0
	s_and_saveexec_b64 s[36:37], vcc
	s_cbranch_execz .LBB4_178
; %bb.168:                              ;   in Loop: Header=BB4_57 Depth=2
	v_lshlrev_b32_e32 v1, 6, v10
	v_sub_u32_e32 v1, v12, v1
	v_ashrrev_i32_e32 v3, 31, v1
	v_lshrrev_b32_e32 v3, 26, v3
	v_add_u32_e32 v3, v1, v3
	v_and_b32_e32 v4, 0x7fffffc0, v3
	v_sub_u32_e32 v1, v1, v4
	v_lshlrev_b32_e32 v3, 1, v3
	v_and_b32_e32 v3, 0xffffff80, v3
	v_lshlrev_b32_e32 v1, 1, v1
	v_add3_u32 v1, v3, v1, v0
	v_add_u32_e32 v0, v1, v6
	v_ashrrev_i32_e32 v3, 31, v0
	v_add_co_u32_e32 v4, vcc, v20, v0
	v_sub_u32_e32 v1, v25, v1
	v_addc_co_u32_e32 v5, vcc, v21, v3, vcc
	v_cmp_lt_i32_e32 vcc, 1, v1
	s_mov_b64 s[54:55], 0
                                        ; implicit-def: $vgpr6
	s_and_saveexec_b64 s[52:53], vcc
	s_cbranch_execz .LBB4_176
; %bb.169:                              ;   in Loop: Header=BB4_57 Depth=2
	s_trap 2
	ds_read_b64 v[8:9], v0
	s_mov_b64 s[58:59], 0
                                        ; implicit-def: $sgpr56_sgpr57
                                        ; implicit-def: $vgpr6
	s_waitcnt lgkmcnt(0)
	v_add_co_u32_e32 v8, vcc, v8, v0
	v_addc_co_u32_e32 v9, vcc, v9, v3, vcc
	s_branch .LBB4_171
.LBB4_170:                              ;   in Loop: Header=BB4_171 Depth=3
	s_or_b64 exec, exec, s[60:61]
	s_waitcnt vmcnt(0) lgkmcnt(0)
	flat_store_short v[4:5], v0 glc slc
	v_add_co_u32_e32 v0, vcc, v4, v10
	v_addc_co_u32_e32 v5, vcc, v5, v11, vcc
	v_add_co_u32_e32 v8, vcc, v8, v10
	v_addc_co_u32_e32 v9, vcc, v9, v11, vcc
	;; [unrolled: 2-line block ×3, first 2 shown]
	v_sub_u32_e32 v1, v1, v3
	v_cmp_gt_i32_e32 vcc, 2, v1
	s_or_b64 s[54:55], vcc, s[54:55]
	s_andn2_b64 vcc, s[56:57], exec
	s_and_b64 s[56:57], s[58:59], exec
	s_or_b64 s[56:57], vcc, s[56:57]
	s_andn2_b64 exec, exec, s[54:55]
	s_cbranch_execz .LBB4_175
.LBB4_171:                              ;   Parent Loop BB4_47 Depth=1
                                        ;     Parent Loop BB4_57 Depth=2
                                        ; =>    This Inner Loop Header: Depth=3
	flat_load_ushort v0, v[8:9] glc slc
	s_and_saveexec_b64 s[60:61], s[58:59]
	s_cbranch_execz .LBB4_173
; %bb.172:                              ;   in Loop: Header=BB4_171 Depth=3
	v_accvgpr_read_b32 v3, a39
	v_add_co_u32_e32 v10, vcc, v4, v3
	v_accvgpr_read_b32 v3, a40
	v_addc_co_u32_e32 v11, vcc, v5, v3, vcc
	flat_store_short v[4:5], v6 glc slc
	v_pk_mov_b32 v[4:5], v[10:11], v[10:11] op_sel:[0,1]
.LBB4_173:                              ;   in Loop: Header=BB4_171 Depth=3
	s_or_b64 exec, exec, s[60:61]
	v_accvgpr_read_b32 v3, a39
	v_add_co_u32_e32 v8, vcc, v8, v3
	v_accvgpr_read_b32 v3, a40
	v_sub_u32_e32 v1, v1, v51
	v_addc_co_u32_e32 v9, vcc, v9, v3, vcc
	v_cmp_lt_i32_e64 s[58:59], 1, v1
	v_mov_b32_e32 v3, 0
	v_pk_mov_b32 v[10:11], 0, 0
	s_and_saveexec_b64 s[60:61], s[58:59]
	s_cbranch_execz .LBB4_170
; %bb.174:                              ;   in Loop: Header=BB4_171 Depth=3
	flat_load_ushort v6, v[8:9] glc slc
	v_add_co_u32_e32 v8, vcc, 0x80, v8
	v_accvgpr_read_b32 v10, a30
	v_addc_co_u32_e32 v9, vcc, 0, v9, vcc
	v_mov_b32_e32 v3, v51
	v_accvgpr_read_b32 v11, a31
	s_branch .LBB4_170
.LBB4_175:                              ;   in Loop: Header=BB4_57 Depth=2
	s_or_b64 exec, exec, s[54:55]
	s_and_b64 s[54:55], s[56:57], exec
.LBB4_176:                              ;   in Loop: Header=BB4_57 Depth=2
	s_or_b64 exec, exec, s[52:53]
	s_and_b64 exec, exec, s[54:55]
	s_cbranch_execz .LBB4_178
; %bb.177:                              ;   in Loop: Header=BB4_57 Depth=2
	flat_store_short v[4:5], v6 glc slc
.LBB4_178:                              ;   in Loop: Header=BB4_57 Depth=2
	s_or_b64 exec, exec, s[36:37]
.LBB4_179:                              ;   in Loop: Header=BB4_57 Depth=2
	s_or_b64 exec, exec, s[26:27]
.LBB4_180:                              ;   in Loop: Header=BB4_57 Depth=2
	s_and_saveexec_b64 s[26:27], s[10:11]
	s_cbranch_execz .LBB4_199
; %bb.181:                              ;   in Loop: Header=BB4_57 Depth=2
	s_and_saveexec_b64 vcc, s[44:45]
	s_xor_b64 s[36:37], exec, vcc
	s_cbranch_execz .LBB4_196
; %bb.182:                              ;   in Loop: Header=BB4_57 Depth=2
	s_and_saveexec_b64 s[52:53], s[16:17]
	s_cbranch_execz .LBB4_195
; %bb.183:                              ;   in Loop: Header=BB4_57 Depth=2
	s_mov_b64 s[56:57], exec
	v_mbcnt_lo_u32_b32 v0, s56, 0
	v_mbcnt_hi_u32_b32 v0, s57, v0
	v_cmp_eq_u32_e32 vcc, 0, v0
	s_waitcnt vmcnt(0) lgkmcnt(0)
	buffer_wbinvl1_vol
	s_and_saveexec_b64 s[54:55], vcc
	s_cbranch_execz .LBB4_185
; %bb.184:                              ;   in Loop: Header=BB4_57 Depth=2
	s_bcnt1_i32_b64 vcc_lo, s[56:57]
	v_mov_b32_e32 v0, vcc_lo
	v_mov_b32_e32 v1, v42
	ds_add_u64 v0, v[0:1]
	s_trap 2
.LBB4_185:                              ;   in Loop: Header=BB4_57 Depth=2
	s_or_b64 exec, exec, s[54:55]
	s_trap 2
	ds_read_b64 v[0:1], v0
	v_add_co_u32_e32 v40, vcc, v40, v28
	v_addc_co_u32_e32 v41, vcc, 0, v41, vcc
	s_waitcnt lgkmcnt(0)
	v_cmp_lt_u64_e32 vcc, v[0:1], v[40:41]
	s_and_saveexec_b64 s[54:55], vcc
	s_cbranch_execz .LBB4_194
; %bb.186:                              ;   in Loop: Header=BB4_57 Depth=2
	s_mov_b32 s67, 0
	s_mov_b64 s[56:57], 0
                                        ; implicit-def: $sgpr58_sgpr59
                                        ; implicit-def: $sgpr60_sgpr61
	s_branch .LBB4_188
.LBB4_187:                              ;   in Loop: Header=BB4_188 Depth=3
	s_or_b64 exec, exec, s[64:65]
	s_and_b64 vcc, exec, vcc
	s_or_b64 s[56:57], vcc, s[56:57]
	s_andn2_b64 vcc, s[58:59], exec
	s_and_b64 s[58:59], s[60:61], exec
	s_or_b64 s[58:59], vcc, s[58:59]
	s_andn2_b64 exec, exec, s[56:57]
	s_cbranch_execz .LBB4_192
.LBB4_188:                              ;   Parent Loop BB4_47 Depth=1
                                        ;     Parent Loop BB4_57 Depth=2
                                        ; =>    This Inner Loop Header: Depth=3
	s_add_i32 s67, s67, 1
	s_cmpk_lg_i32 s67, 0x2710
	s_cselect_b64 s[62:63], -1, 0
	s_and_b64 vcc, exec, s[62:63]
                                        ; implicit-def: $sgpr64_sgpr65
	s_cbranch_vccnz .LBB4_190
; %bb.189:                              ;   in Loop: Header=BB4_188 Depth=3
	s_trap 2
	ds_read_b64 v[0:1], v0
	s_andn2_b64 s[62:63], s[62:63], exec
	s_mov_b32 s67, 0
	s_mov_b64 s[64:65], -1
	s_waitcnt lgkmcnt(0)
	flat_load_dword v0, v[0:1] glc
	s_waitcnt vmcnt(0) lgkmcnt(0)
	buffer_invl2
	buffer_wbinvl1_vol
	v_cmp_eq_u32_e32 vcc, 0, v0
	s_and_b64 vcc, vcc, exec
	s_or_b64 s[62:63], s[62:63], vcc
.LBB4_190:                              ;   in Loop: Header=BB4_188 Depth=3
	s_andn2_b64 s[60:61], s[60:61], exec
	s_and_b64 s[64:65], s[64:65], exec
	s_mov_b64 vcc, -1
	s_or_b64 s[60:61], s[60:61], s[64:65]
	s_and_saveexec_b64 s[64:65], s[62:63]
	s_cbranch_execz .LBB4_187
; %bb.191:                              ;   in Loop: Header=BB4_188 Depth=3
	s_sleep 1
	s_trap 2
	ds_read_b64 v[0:1], v0
	s_andn2_b64 s[60:61], s[60:61], exec
	s_waitcnt lgkmcnt(0)
	v_cmp_ge_u64_e32 vcc, v[0:1], v[40:41]
	s_orn2_b64 vcc, vcc, exec
	s_branch .LBB4_187
.LBB4_192:                              ;   in Loop: Header=BB4_57 Depth=2
	s_or_b64 exec, exec, s[56:57]
	s_and_saveexec_b64 vcc, s[58:59]
	s_xor_b64 vcc, exec, vcc
	s_cbranch_execz .LBB4_194
; %bb.193:                              ;   in Loop: Header=BB4_57 Depth=2
	v_mov_b32_e32 v0, 1
	ds_write_b32 v0, v0
	s_trap 2
.LBB4_194:                              ;   in Loop: Header=BB4_57 Depth=2
	s_or_b64 exec, exec, s[54:55]
	;;#ASMSTART
	s_wakeup
	;;#ASMEND
.LBB4_195:                              ;   in Loop: Header=BB4_57 Depth=2
	s_or_b64 exec, exec, s[52:53]
.LBB4_196:                              ;   in Loop: Header=BB4_57 Depth=2
	s_andn2_saveexec_b64 vcc, s[36:37]
	s_cbranch_execz .LBB4_198
; %bb.197:                              ;   in Loop: Header=BB4_57 Depth=2
	s_waitcnt vmcnt(0) lgkmcnt(0)
	buffer_wbinvl1_vol
	s_barrier
.LBB4_198:                              ;   in Loop: Header=BB4_57 Depth=2
	s_or_b64 exec, exec, vcc
.LBB4_199:                              ;   in Loop: Header=BB4_57 Depth=2
	s_or_b64 exec, exec, s[26:27]
	v_and_b32_e32 v0, 16, v62
	s_and_saveexec_b64 s[26:27], s[24:25]
	s_xor_b64 s[36:37], exec, s[26:27]
	s_cbranch_execz .LBB4_204
; %bb.200:                              ;   in Loop: Header=BB4_57 Depth=2
	v_and_b32_e32 v1, 16, v62
	v_cmp_lt_i32_e32 vcc, 0, v17
	v_cmp_ne_u32_e64 s[26:27], 0, v1
	v_and_b32_e32 v0, 16, v62
	s_and_b64 vcc, s[26:27], vcc
	s_and_saveexec_b64 s[26:27], vcc
	s_cbranch_execz .LBB4_202
; %bb.201:                              ;   in Loop: Header=BB4_57 Depth=2
	v_mov_b32_e32 v0, 1
	s_waitcnt vmcnt(0) lgkmcnt(0)
	buffer_wbinvl1_vol
.LBB4_202:                              ;   in Loop: Header=BB4_57 Depth=2
	s_or_b64 exec, exec, s[26:27]
	s_andn2_saveexec_b64 s[26:27], s[36:37]
	s_cbranch_execnz .LBB4_205
.LBB4_203:                              ;   in Loop: Header=BB4_57 Depth=2
	s_or_b64 exec, exec, s[26:27]
	v_cmp_ne_u32_e32 vcc, 0, v0
	s_and_saveexec_b64 s[26:27], vcc
	s_cbranch_execz .LBB4_56
	s_branch .LBB4_223
.LBB4_204:                              ;   in Loop: Header=BB4_57 Depth=2
	s_andn2_saveexec_b64 s[26:27], s[36:37]
	s_cbranch_execz .LBB4_203
.LBB4_205:                              ;   in Loop: Header=BB4_57 Depth=2
	s_and_saveexec_b64 vcc, s[44:45]
	s_xor_b64 s[36:37], exec, vcc
	s_cbranch_execz .LBB4_220
; %bb.206:                              ;   in Loop: Header=BB4_57 Depth=2
	s_and_saveexec_b64 s[52:53], s[16:17]
	s_cbranch_execz .LBB4_219
; %bb.207:                              ;   in Loop: Header=BB4_57 Depth=2
	s_mov_b64 s[56:57], exec
	v_mbcnt_lo_u32_b32 v1, s56, 0
	v_mbcnt_hi_u32_b32 v1, s57, v1
	v_cmp_eq_u32_e32 vcc, 0, v1
	;;#ASMSTART
	s_waitcnt lgkmcnt(0) vmcnt(0)
	;;#ASMEND
	s_and_saveexec_b64 s[54:55], vcc
	s_cbranch_execz .LBB4_209
; %bb.208:                              ;   in Loop: Header=BB4_57 Depth=2
	s_bcnt1_i32_b64 vcc_lo, s[56:57]
	v_mov_b32_e32 v4, vcc_lo
	v_mov_b32_e32 v5, v42
	ds_add_u64 v0, v[4:5]
	s_trap 2
.LBB4_209:                              ;   in Loop: Header=BB4_57 Depth=2
	s_or_b64 exec, exec, s[54:55]
	s_trap 2
	ds_read_b64 v[4:5], v0
	v_add_co_u32_e32 v40, vcc, v40, v28
	v_addc_co_u32_e32 v41, vcc, 0, v41, vcc
	s_waitcnt lgkmcnt(0)
	v_cmp_lt_u64_e32 vcc, v[4:5], v[40:41]
	s_and_saveexec_b64 s[54:55], vcc
	s_cbranch_execz .LBB4_218
; %bb.210:                              ;   in Loop: Header=BB4_57 Depth=2
	s_mov_b32 s67, 0
	s_mov_b64 s[56:57], 0
                                        ; implicit-def: $sgpr58_sgpr59
                                        ; implicit-def: $sgpr60_sgpr61
	s_branch .LBB4_212
.LBB4_211:                              ;   in Loop: Header=BB4_212 Depth=3
	s_or_b64 exec, exec, s[64:65]
	s_and_b64 vcc, exec, vcc
	s_or_b64 s[56:57], vcc, s[56:57]
	s_andn2_b64 vcc, s[58:59], exec
	s_and_b64 s[58:59], s[60:61], exec
	s_or_b64 s[58:59], vcc, s[58:59]
	s_andn2_b64 exec, exec, s[56:57]
	s_cbranch_execz .LBB4_216
.LBB4_212:                              ;   Parent Loop BB4_47 Depth=1
                                        ;     Parent Loop BB4_57 Depth=2
                                        ; =>    This Inner Loop Header: Depth=3
	s_add_i32 s67, s67, 1
	s_cmpk_lg_i32 s67, 0x2710
	s_cselect_b64 s[62:63], -1, 0
	s_and_b64 vcc, exec, s[62:63]
                                        ; implicit-def: $sgpr64_sgpr65
	s_cbranch_vccnz .LBB4_214
; %bb.213:                              ;   in Loop: Header=BB4_212 Depth=3
	s_trap 2
	ds_read_b64 v[4:5], v0
	s_andn2_b64 s[62:63], s[62:63], exec
	s_mov_b32 s67, 0
	s_mov_b64 s[64:65], -1
	s_waitcnt vmcnt(0) lgkmcnt(0)
	flat_load_dword v1, v[4:5] glc
	s_waitcnt vmcnt(0) lgkmcnt(0)
	buffer_invl2
	buffer_wbinvl1_vol
	v_cmp_eq_u32_e32 vcc, 0, v1
	s_and_b64 vcc, vcc, exec
	s_or_b64 s[62:63], s[62:63], vcc
.LBB4_214:                              ;   in Loop: Header=BB4_212 Depth=3
	s_andn2_b64 s[60:61], s[60:61], exec
	s_and_b64 s[64:65], s[64:65], exec
	s_mov_b64 vcc, -1
	s_or_b64 s[60:61], s[60:61], s[64:65]
	s_and_saveexec_b64 s[64:65], s[62:63]
	s_cbranch_execz .LBB4_211
; %bb.215:                              ;   in Loop: Header=BB4_212 Depth=3
	s_sleep 1
	s_trap 2
	ds_read_b64 v[4:5], v0
	s_andn2_b64 s[60:61], s[60:61], exec
	s_waitcnt lgkmcnt(0)
	v_cmp_ge_u64_e32 vcc, v[4:5], v[40:41]
	s_orn2_b64 vcc, vcc, exec
	s_branch .LBB4_211
.LBB4_216:                              ;   in Loop: Header=BB4_57 Depth=2
	s_or_b64 exec, exec, s[56:57]
	s_and_saveexec_b64 vcc, s[58:59]
	s_xor_b64 vcc, exec, vcc
	s_cbranch_execz .LBB4_218
; %bb.217:                              ;   in Loop: Header=BB4_57 Depth=2
	v_mov_b32_e32 v1, 1
	ds_write_b32 v0, v1
	s_trap 2
.LBB4_218:                              ;   in Loop: Header=BB4_57 Depth=2
	s_or_b64 exec, exec, s[54:55]
	;;#ASMSTART
	s_wakeup
	;;#ASMEND
.LBB4_219:                              ;   in Loop: Header=BB4_57 Depth=2
	s_or_b64 exec, exec, s[52:53]
.LBB4_220:                              ;   in Loop: Header=BB4_57 Depth=2
	s_andn2_saveexec_b64 vcc, s[36:37]
	s_cbranch_execz .LBB4_222
; %bb.221:                              ;   in Loop: Header=BB4_57 Depth=2
	;;#ASMSTART
	s_waitcnt lgkmcnt(0) vmcnt(0)
	;;#ASMEND
	s_barrier
.LBB4_222:                              ;   in Loop: Header=BB4_57 Depth=2
	s_or_b64 exec, exec, vcc
	s_or_b64 exec, exec, s[26:27]
	v_cmp_ne_u32_e32 vcc, 0, v0
	s_and_saveexec_b64 s[26:27], vcc
	s_cbranch_execz .LBB4_56
.LBB4_223:                              ;   in Loop: Header=BB4_57 Depth=2
	s_and_saveexec_b64 vcc, s[14:15]
	s_cbranch_execz .LBB4_55
; %bb.224:                              ;   in Loop: Header=BB4_57 Depth=2
	v_accvgpr_read_b32 v0, a18
	v_accvgpr_read_b32 v1, a19
	v_mov_b32_e32 v3, 1
	flat_store_dword v[0:1], v3
	s_branch .LBB4_55
.LBB4_225:                              ;   in Loop: Header=BB4_47 Depth=1
	s_or_b64 exec, exec, s[30:31]
.LBB4_226:                              ;   in Loop: Header=BB4_47 Depth=1
	s_or_b64 exec, exec, s[28:29]
	v_cmp_gt_i32_e32 vcc, 2, v0
	s_and_saveexec_b64 s[28:29], vcc
	s_cbranch_execz .LBB4_298
; %bb.227:                              ;   in Loop: Header=BB4_47 Depth=1
	v_cmp_eq_u32_e64 s[26:27], 0, v0
	s_mov_b64 s[30:31], 0
	s_branch .LBB4_230
.LBB4_228:                              ;   in Loop: Header=BB4_230 Depth=2
	s_or_b64 exec, exec, vcc
	v_add_co_u32_e32 v44, vcc, 2, v44
	v_addc_co_u32_e32 v45, vcc, 0, v45, vcc
	flat_store_dwordx2 v[46:47], v[44:45]
.LBB4_229:                              ;   in Loop: Header=BB4_230 Depth=2
	s_or_b64 exec, exec, s[26:27]
	v_add_u32_e32 v16, v2, v16
	s_mov_b64 s[26:27], 0
	s_andn2_b64 exec, exec, s[30:31]
	s_cbranch_execz .LBB4_297
.LBB4_230:                              ;   Parent Loop BB4_47 Depth=1
                                        ; =>  This Loop Header: Depth=2
                                        ;       Child Loop BB4_236 Depth 3
                                        ;       Child Loop BB4_260 Depth 3
	;; [unrolled: 1-line block ×3, first 2 shown]
	v_and_b32_e32 v0, 8, v62
	s_mov_b64 s[36:37], -1
	v_cmp_ne_u32_e32 vcc, 0, v0
	s_and_saveexec_b64 s[34:35], vcc
	s_cbranch_execz .LBB4_242
; %bb.231:                              ;   in Loop: Header=BB4_230 Depth=2
	v_add_co_u32_e32 v0, vcc, 8, v60
	v_addc_co_u32_e32 v1, vcc, 0, v61, vcc
	v_add_co_u32_e32 v4, vcc, 2, v44
	v_addc_co_u32_e32 v5, vcc, 0, v45, vcc
	v_cmp_lt_u64_e32 vcc, v[0:1], v[4:5]
	v_mov_b32_e32 v0, 1
	s_and_saveexec_b64 s[36:37], vcc
	s_cbranch_execz .LBB4_241
; %bb.232:                              ;   in Loop: Header=BB4_230 Depth=2
	s_mov_b64 s[52:53], 0
	v_mov_b32_e32 v0, 0
                                        ; implicit-def: $sgpr54_sgpr55
	s_branch .LBB4_236
.LBB4_233:                              ;   in Loop: Header=BB4_236 Depth=3
	s_or_b64 exec, exec, s[62:63]
	v_mov_b32_e32 v1, 0
	s_orn2_b64 s[60:61], s[60:61], exec
.LBB4_234:                              ;   in Loop: Header=BB4_236 Depth=3
	s_or_b64 exec, exec, s[58:59]
	s_andn2_b64 vcc, s[54:55], exec
	s_and_b64 s[54:55], s[60:61], exec
	s_or_b64 s[54:55], vcc, s[54:55]
	v_mov_b32_e32 v0, v1
.LBB4_235:                              ;   in Loop: Header=BB4_236 Depth=3
	s_or_b64 exec, exec, s[56:57]
	s_waitcnt vmcnt(0) lgkmcnt(0)
	v_add_co_u32_e32 v8, vcc, 8, v60
	v_addc_co_u32_e32 v9, vcc, 0, v61, vcc
	v_cmp_ge_u64_e32 vcc, v[8:9], v[4:5]
	s_xor_b64 s[56:57], s[54:55], -1
	s_or_b64 vcc, s[56:57], vcc
	s_and_b64 vcc, exec, vcc
	s_or_b64 s[52:53], vcc, s[52:53]
	s_andn2_b64 exec, exec, s[52:53]
	s_cbranch_execz .LBB4_240
.LBB4_236:                              ;   Parent Loop BB4_47 Depth=1
                                        ;     Parent Loop BB4_230 Depth=2
                                        ; =>    This Inner Loop Header: Depth=3
	s_sleep 1
	flat_load_dwordx2 v[60:61], v[46:47] glc
	v_and_b32_e32 v1, 64, v62
	v_cmp_eq_u32_e32 vcc, 0, v1
	s_andn2_b64 s[54:55], s[54:55], exec
	s_and_saveexec_b64 s[56:57], vcc
	s_cbranch_execz .LBB4_235
; %bb.237:                              ;   in Loop: Header=BB4_236 Depth=3
	v_add_u32_e32 v1, 1, v0
	v_cmp_lt_i32_e32 vcc, s89, v0
	s_mov_b64 s[60:61], -1
	s_and_saveexec_b64 s[58:59], vcc
	s_cbranch_execz .LBB4_234
; %bb.238:                              ;   in Loop: Header=BB4_236 Depth=3
	s_trap 2
	ds_read_b64 v[0:1], v0
	s_waitcnt vmcnt(0) lgkmcnt(0)
	flat_load_dword v0, v[0:1] glc
	s_waitcnt vmcnt(0) lgkmcnt(0)
	buffer_invl2
	buffer_wbinvl1_vol
	v_cmp_ne_u32_e32 vcc, 0, v0
	s_and_saveexec_b64 s[62:63], vcc
	s_cbranch_execz .LBB4_233
; %bb.239:                              ;   in Loop: Header=BB4_236 Depth=3
	v_or_b32_e32 v62, 64, v62
	s_xor_b64 s[60:61], exec, -1
	ds_write_b32 v0, v0
	s_trap 2
	s_branch .LBB4_233
.LBB4_240:                              ;   in Loop: Header=BB4_230 Depth=2
	s_or_b64 exec, exec, s[52:53]
	v_and_b32_e32 v0, 8, v62
.LBB4_241:                              ;   in Loop: Header=BB4_230 Depth=2
	s_or_b64 exec, exec, s[36:37]
	v_cmp_eq_u32_e32 vcc, 0, v0
	s_orn2_b64 s[36:37], vcc, exec
	;;#ASMSTART
	s_wakeup
	;;#ASMEND
.LBB4_242:                              ;   in Loop: Header=BB4_230 Depth=2
	s_or_b64 exec, exec, s[34:35]
	s_xor_b64 s[26:27], s[26:27], -1
	s_and_b64 s[26:27], exec, s[26:27]
	s_or_b64 s[30:31], s[26:27], s[30:31]
	v_sub_u32_e32 v0, v24, v16
	s_xor_b64 s[26:27], s[36:37], -1
	v_min_i32_e32 v2, v2, v0
	s_and_saveexec_b64 s[34:35], s[26:27]
	s_cbranch_execz .LBB4_252
; %bb.243:                              ;   in Loop: Header=BB4_230 Depth=2
	v_and_b32_e32 v0, 0x100, v62
	v_cmp_ne_u32_e32 vcc, 0, v0
	v_and_b32_e32 v0, 7, v44
	s_mov_b64 s[26:27], -1
                                        ; implicit-def: $vgpr4_vgpr5
	s_and_saveexec_b64 s[36:37], vcc
	s_cbranch_execz .LBB4_247
; %bb.244:                              ;   in Loop: Header=BB4_230 Depth=2
	v_mad_u64_u32 v[8:9], s[26:27], v0, 24, v[48:49]
	flat_load_dword v1, v[8:9]
	v_ashrrev_i32_e32 v3, 31, v2
	v_lshlrev_b64 v[4:5], 1, v[2:3]
	flat_store_dwordx2 v[8:9], v[4:5] offset:8
                                        ; implicit-def: $vgpr4_vgpr5
	s_waitcnt vmcnt(0) lgkmcnt(0)
	v_cmp_ne_u32_e32 vcc, 1, v1
	v_cmp_eq_u32_e64 s[26:27], 1, v1
	s_and_saveexec_b64 s[52:53], s[26:27]
	s_cbranch_execz .LBB4_246
; %bb.245:                              ;   in Loop: Header=BB4_230 Depth=2
	flat_load_dword v4, v[8:9] offset:4 glc
	s_waitcnt vmcnt(0) lgkmcnt(0)
	v_ashrrev_i32_e32 v5, 31, v4
	v_lshrrev_b64 v[4:5], 1, v[4:5]
.LBB4_246:                              ;   in Loop: Header=BB4_230 Depth=2
	s_or_b64 exec, exec, s[52:53]
	s_orn2_b64 s[26:27], vcc, exec
.LBB4_247:                              ;   in Loop: Header=BB4_230 Depth=2
	s_or_b64 exec, exec, s[36:37]
	s_and_saveexec_b64 vcc, s[26:27]
; %bb.248:                              ;   in Loop: Header=BB4_230 Depth=2
	v_mad_i64_i32 v[4:5], s[26:27], v0, v38, 0
; %bb.249:                              ;   in Loop: Header=BB4_230 Depth=2
	s_or_b64 exec, exec, vcc
	v_lshlrev_b64 v[0:1], 1, v[4:5]
	v_add_co_u32_e32 v0, vcc, v52, v0
	v_addc_co_u32_e32 v1, vcc, v53, v1, vcc
	ds_write_b64 v0, v[0:1] offset:784
	v_and_b32_e32 v0, 0x2000, v62
	v_cmp_ne_u32_e32 vcc, 0, v0
	s_and_saveexec_b64 s[26:27], vcc
	s_cbranch_execz .LBB4_251
; %bb.250:                              ;   in Loop: Header=BB4_230 Depth=2
	ds_read_b64 v[0:1], v0 offset:584
	s_waitcnt lgkmcnt(0)
	v_add_co_u32_e32 v0, vcc, 1, v0
	v_addc_co_u32_e32 v1, vcc, 0, v1, vcc
	ds_write_b64 v0, v[0:1] offset:584
.LBB4_251:                              ;   in Loop: Header=BB4_230 Depth=2
	s_or_b64 exec, exec, s[26:27]
	v_add_co_u32_e32 v44, vcc, 2, v44
	v_addc_co_u32_e32 v45, vcc, 0, v45, vcc
.LBB4_252:                              ;   in Loop: Header=BB4_230 Depth=2
	s_or_b64 exec, exec, s[34:35]
	s_and_saveexec_b64 s[26:27], s[10:11]
	s_cbranch_execz .LBB4_271
; %bb.253:                              ;   in Loop: Header=BB4_230 Depth=2
	s_and_saveexec_b64 vcc, s[44:45]
	s_xor_b64 s[34:35], exec, vcc
	s_cbranch_execz .LBB4_268
; %bb.254:                              ;   in Loop: Header=BB4_230 Depth=2
	s_and_saveexec_b64 s[36:37], s[16:17]
	s_cbranch_execz .LBB4_267
; %bb.255:                              ;   in Loop: Header=BB4_230 Depth=2
	s_mov_b64 s[54:55], exec
	v_mbcnt_lo_u32_b32 v0, s54, 0
	v_mbcnt_hi_u32_b32 v0, s55, v0
	v_cmp_eq_u32_e32 vcc, 0, v0
	s_waitcnt vmcnt(0) lgkmcnt(0)
	buffer_wbinvl1_vol
	s_and_saveexec_b64 s[52:53], vcc
	s_cbranch_execz .LBB4_257
; %bb.256:                              ;   in Loop: Header=BB4_230 Depth=2
	s_bcnt1_i32_b64 vcc_lo, s[54:55]
	v_mov_b32_e32 v0, vcc_lo
	v_mov_b32_e32 v1, v42
	ds_add_u64 v0, v[0:1]
	s_trap 2
.LBB4_257:                              ;   in Loop: Header=BB4_230 Depth=2
	s_or_b64 exec, exec, s[52:53]
	s_trap 2
	ds_read_b64 v[0:1], v0
	v_add_co_u32_e32 v40, vcc, v40, v28
	v_addc_co_u32_e32 v41, vcc, 0, v41, vcc
	s_waitcnt lgkmcnt(0)
	v_cmp_lt_u64_e32 vcc, v[0:1], v[40:41]
	s_and_saveexec_b64 s[52:53], vcc
	s_cbranch_execz .LBB4_266
; %bb.258:                              ;   in Loop: Header=BB4_230 Depth=2
	s_mov_b32 s64, 0
	s_mov_b64 s[54:55], 0
                                        ; implicit-def: $sgpr56_sgpr57
                                        ; implicit-def: $sgpr58_sgpr59
	s_branch .LBB4_260
.LBB4_259:                              ;   in Loop: Header=BB4_260 Depth=3
	s_or_b64 exec, exec, s[62:63]
	s_and_b64 vcc, exec, vcc
	s_or_b64 s[54:55], vcc, s[54:55]
	s_andn2_b64 vcc, s[56:57], exec
	s_and_b64 s[56:57], s[58:59], exec
	s_or_b64 s[56:57], vcc, s[56:57]
	s_andn2_b64 exec, exec, s[54:55]
	s_cbranch_execz .LBB4_264
.LBB4_260:                              ;   Parent Loop BB4_47 Depth=1
                                        ;     Parent Loop BB4_230 Depth=2
                                        ; =>    This Inner Loop Header: Depth=3
	s_add_i32 s64, s64, 1
	s_cmpk_lg_i32 s64, 0x2710
	s_cselect_b64 s[60:61], -1, 0
	s_and_b64 vcc, exec, s[60:61]
                                        ; implicit-def: $sgpr62_sgpr63
	s_cbranch_vccnz .LBB4_262
; %bb.261:                              ;   in Loop: Header=BB4_260 Depth=3
	s_trap 2
	ds_read_b64 v[0:1], v0
	s_andn2_b64 s[60:61], s[60:61], exec
	s_mov_b32 s64, 0
	s_mov_b64 s[62:63], -1
	s_waitcnt lgkmcnt(0)
	flat_load_dword v0, v[0:1] glc
	s_waitcnt vmcnt(0) lgkmcnt(0)
	buffer_invl2
	buffer_wbinvl1_vol
	v_cmp_eq_u32_e32 vcc, 0, v0
	s_and_b64 vcc, vcc, exec
	s_or_b64 s[60:61], s[60:61], vcc
.LBB4_262:                              ;   in Loop: Header=BB4_260 Depth=3
	s_andn2_b64 s[58:59], s[58:59], exec
	s_and_b64 s[62:63], s[62:63], exec
	s_mov_b64 vcc, -1
	s_or_b64 s[58:59], s[58:59], s[62:63]
	s_and_saveexec_b64 s[62:63], s[60:61]
	s_cbranch_execz .LBB4_259
; %bb.263:                              ;   in Loop: Header=BB4_260 Depth=3
	s_sleep 1
	s_trap 2
	ds_read_b64 v[0:1], v0
	s_andn2_b64 s[58:59], s[58:59], exec
	s_waitcnt lgkmcnt(0)
	v_cmp_ge_u64_e32 vcc, v[0:1], v[40:41]
	s_orn2_b64 vcc, vcc, exec
	s_branch .LBB4_259
.LBB4_264:                              ;   in Loop: Header=BB4_230 Depth=2
	s_or_b64 exec, exec, s[54:55]
	s_and_saveexec_b64 vcc, s[56:57]
	s_xor_b64 vcc, exec, vcc
	s_cbranch_execz .LBB4_266
; %bb.265:                              ;   in Loop: Header=BB4_230 Depth=2
	v_mov_b32_e32 v0, 1
	ds_write_b32 v0, v0
	s_trap 2
.LBB4_266:                              ;   in Loop: Header=BB4_230 Depth=2
	s_or_b64 exec, exec, s[52:53]
	;;#ASMSTART
	s_wakeup
	;;#ASMEND
.LBB4_267:                              ;   in Loop: Header=BB4_230 Depth=2
	s_or_b64 exec, exec, s[36:37]
.LBB4_268:                              ;   in Loop: Header=BB4_230 Depth=2
	s_andn2_saveexec_b64 vcc, s[34:35]
	s_cbranch_execz .LBB4_270
; %bb.269:                              ;   in Loop: Header=BB4_230 Depth=2
	s_waitcnt vmcnt(0) lgkmcnt(0)
	buffer_wbinvl1_vol
	s_barrier
.LBB4_270:                              ;   in Loop: Header=BB4_230 Depth=2
	s_or_b64 exec, exec, vcc
.LBB4_271:                              ;   in Loop: Header=BB4_230 Depth=2
	s_or_b64 exec, exec, s[26:27]
	v_and_b32_e32 v0, 16, v62
	s_and_saveexec_b64 s[26:27], s[24:25]
	s_xor_b64 s[26:27], exec, s[26:27]
	s_cbranch_execz .LBB4_276
; %bb.272:                              ;   in Loop: Header=BB4_230 Depth=2
	s_trap 2
	ds_read_b32 v1, v0
	v_cmp_lt_i32_e32 vcc, 0, v2
	v_and_b32_e32 v3, 16, v62
	v_and_b32_e32 v0, 16, v62
	s_waitcnt lgkmcnt(0)
	v_readfirstlane_b32 s34, v1
	s_cmp_eq_u32 s34, 0
	s_cselect_b64 s[34:35], -1, 0
	s_and_b64 s[34:35], vcc, s[34:35]
	v_cmp_ne_u32_e32 vcc, 0, v3
	s_and_b64 s[34:35], vcc, s[34:35]
	s_and_saveexec_b64 vcc, s[34:35]
	s_cbranch_execz .LBB4_274
; %bb.273:                              ;   in Loop: Header=BB4_230 Depth=2
	v_mov_b32_e32 v0, 1
	s_waitcnt vmcnt(0)
	buffer_wbinvl1_vol
.LBB4_274:                              ;   in Loop: Header=BB4_230 Depth=2
	s_or_b64 exec, exec, vcc
	s_andn2_saveexec_b64 s[26:27], s[26:27]
	s_cbranch_execnz .LBB4_277
.LBB4_275:                              ;   in Loop: Header=BB4_230 Depth=2
	s_or_b64 exec, exec, s[26:27]
	v_cmp_ne_u32_e32 vcc, 0, v0
	s_and_saveexec_b64 s[26:27], vcc
	s_cbranch_execz .LBB4_229
	s_branch .LBB4_295
.LBB4_276:                              ;   in Loop: Header=BB4_230 Depth=2
	s_andn2_saveexec_b64 s[26:27], s[26:27]
	s_cbranch_execz .LBB4_275
.LBB4_277:                              ;   in Loop: Header=BB4_230 Depth=2
	s_and_saveexec_b64 vcc, s[44:45]
	s_xor_b64 s[34:35], exec, vcc
	s_cbranch_execz .LBB4_292
; %bb.278:                              ;   in Loop: Header=BB4_230 Depth=2
	s_and_saveexec_b64 s[36:37], s[16:17]
	s_cbranch_execz .LBB4_291
; %bb.279:                              ;   in Loop: Header=BB4_230 Depth=2
	s_mov_b64 s[54:55], exec
	v_mbcnt_lo_u32_b32 v1, s54, 0
	v_mbcnt_hi_u32_b32 v1, s55, v1
	v_cmp_eq_u32_e32 vcc, 0, v1
	;;#ASMSTART
	s_waitcnt lgkmcnt(0) vmcnt(0)
	;;#ASMEND
	s_and_saveexec_b64 s[52:53], vcc
	s_cbranch_execz .LBB4_281
; %bb.280:                              ;   in Loop: Header=BB4_230 Depth=2
	s_bcnt1_i32_b64 vcc_lo, s[54:55]
	v_mov_b32_e32 v4, vcc_lo
	v_mov_b32_e32 v5, v42
	ds_add_u64 v0, v[4:5]
	s_trap 2
.LBB4_281:                              ;   in Loop: Header=BB4_230 Depth=2
	s_or_b64 exec, exec, s[52:53]
	s_trap 2
	ds_read_b64 v[4:5], v0
	v_add_co_u32_e32 v40, vcc, v40, v28
	v_addc_co_u32_e32 v41, vcc, 0, v41, vcc
	s_waitcnt lgkmcnt(0)
	v_cmp_lt_u64_e32 vcc, v[4:5], v[40:41]
	s_and_saveexec_b64 s[52:53], vcc
	s_cbranch_execz .LBB4_290
; %bb.282:                              ;   in Loop: Header=BB4_230 Depth=2
	s_mov_b32 s64, 0
	s_mov_b64 s[54:55], 0
                                        ; implicit-def: $sgpr56_sgpr57
                                        ; implicit-def: $sgpr58_sgpr59
	s_branch .LBB4_284
.LBB4_283:                              ;   in Loop: Header=BB4_284 Depth=3
	s_or_b64 exec, exec, s[62:63]
	s_and_b64 vcc, exec, vcc
	s_or_b64 s[54:55], vcc, s[54:55]
	s_andn2_b64 vcc, s[56:57], exec
	s_and_b64 s[56:57], s[58:59], exec
	s_or_b64 s[56:57], vcc, s[56:57]
	s_andn2_b64 exec, exec, s[54:55]
	s_cbranch_execz .LBB4_288
.LBB4_284:                              ;   Parent Loop BB4_47 Depth=1
                                        ;     Parent Loop BB4_230 Depth=2
                                        ; =>    This Inner Loop Header: Depth=3
	s_add_i32 s64, s64, 1
	s_cmpk_lg_i32 s64, 0x2710
	s_cselect_b64 s[60:61], -1, 0
	s_and_b64 vcc, exec, s[60:61]
                                        ; implicit-def: $sgpr62_sgpr63
	s_cbranch_vccnz .LBB4_286
; %bb.285:                              ;   in Loop: Header=BB4_284 Depth=3
	s_trap 2
	ds_read_b64 v[4:5], v0
	s_andn2_b64 s[60:61], s[60:61], exec
	s_mov_b32 s64, 0
	s_mov_b64 s[62:63], -1
	s_waitcnt vmcnt(0) lgkmcnt(0)
	flat_load_dword v1, v[4:5] glc
	s_waitcnt vmcnt(0) lgkmcnt(0)
	buffer_invl2
	buffer_wbinvl1_vol
	v_cmp_eq_u32_e32 vcc, 0, v1
	s_and_b64 vcc, vcc, exec
	s_or_b64 s[60:61], s[60:61], vcc
.LBB4_286:                              ;   in Loop: Header=BB4_284 Depth=3
	s_andn2_b64 s[58:59], s[58:59], exec
	s_and_b64 s[62:63], s[62:63], exec
	s_mov_b64 vcc, -1
	s_or_b64 s[58:59], s[58:59], s[62:63]
	s_and_saveexec_b64 s[62:63], s[60:61]
	s_cbranch_execz .LBB4_283
; %bb.287:                              ;   in Loop: Header=BB4_284 Depth=3
	s_sleep 1
	s_trap 2
	ds_read_b64 v[4:5], v0
	s_andn2_b64 s[58:59], s[58:59], exec
	s_waitcnt lgkmcnt(0)
	v_cmp_ge_u64_e32 vcc, v[4:5], v[40:41]
	s_orn2_b64 vcc, vcc, exec
	s_branch .LBB4_283
.LBB4_288:                              ;   in Loop: Header=BB4_230 Depth=2
	s_or_b64 exec, exec, s[54:55]
	s_and_saveexec_b64 vcc, s[56:57]
	s_xor_b64 vcc, exec, vcc
	s_cbranch_execz .LBB4_290
; %bb.289:                              ;   in Loop: Header=BB4_230 Depth=2
	v_mov_b32_e32 v1, 1
	ds_write_b32 v0, v1
	s_trap 2
.LBB4_290:                              ;   in Loop: Header=BB4_230 Depth=2
	s_or_b64 exec, exec, s[52:53]
	;;#ASMSTART
	s_wakeup
	;;#ASMEND
.LBB4_291:                              ;   in Loop: Header=BB4_230 Depth=2
	s_or_b64 exec, exec, s[36:37]
.LBB4_292:                              ;   in Loop: Header=BB4_230 Depth=2
	s_andn2_saveexec_b64 vcc, s[34:35]
	s_cbranch_execz .LBB4_294
; %bb.293:                              ;   in Loop: Header=BB4_230 Depth=2
	;;#ASMSTART
	s_waitcnt lgkmcnt(0) vmcnt(0)
	;;#ASMEND
	s_barrier
.LBB4_294:                              ;   in Loop: Header=BB4_230 Depth=2
	s_or_b64 exec, exec, vcc
	s_or_b64 exec, exec, s[26:27]
	v_cmp_ne_u32_e32 vcc, 0, v0
	s_and_saveexec_b64 s[26:27], vcc
	s_cbranch_execz .LBB4_229
.LBB4_295:                              ;   in Loop: Header=BB4_230 Depth=2
	s_and_saveexec_b64 vcc, s[14:15]
	s_cbranch_execz .LBB4_228
; %bb.296:                              ;   in Loop: Header=BB4_230 Depth=2
	v_accvgpr_read_b32 v0, a18
	v_accvgpr_read_b32 v1, a19
	v_mov_b32_e32 v3, 1
	flat_store_dword v[0:1], v3
	s_branch .LBB4_228
.LBB4_297:                              ;   in Loop: Header=BB4_47 Depth=1
	s_or_b64 exec, exec, s[30:31]
.LBB4_298:                              ;   in Loop: Header=BB4_47 Depth=1
	s_or_b64 exec, exec, s[28:29]
	v_cndmask_b32_e64 v0, 0, 1, s[46:47]
	v_accvgpr_read_b32 v16, a30
	v_cmp_ne_u32_e64 s[26:27], 1, v0
	s_andn2_b64 vcc, exec, s[46:47]
	v_accvgpr_read_b32 v17, a31
	s_cbranch_vccnz .LBB4_883
; %bb.299:                              ;   in Loop: Header=BB4_47 Depth=1
	s_mov_b32 s94, 2
	v_accvgpr_read_b32 v24, a21
	v_accvgpr_read_b32 v25, a50
	;; [unrolled: 1-line block ×3, first 2 shown]
	v_mov_b32_e32 v27, 0x100
	v_mov_b32_e32 v29, 0x80
	s_branch .LBB4_302
.LBB4_300:                              ;   in Loop: Header=BB4_302 Depth=2
	s_or_b64 exec, exec, s[34:35]
.LBB4_301:                              ;   in Loop: Header=BB4_302 Depth=2
	s_or_b64 exec, exec, s[30:31]
	s_add_i32 s94, s94, 1
	s_cmp_eq_u32 s94, s76
	s_cbranch_scc1 .LBB4_882
.LBB4_302:                              ;   Parent Loop BB4_47 Depth=1
                                        ; =>  This Loop Header: Depth=2
                                        ;       Child Loop BB4_305 Depth 3
                                        ;         Child Loop BB4_313 Depth 4
                                        ;         Child Loop BB4_341 Depth 4
	;; [unrolled: 1-line block ×5, first 2 shown]
                                        ;           Child Loop BB4_587 Depth 5
                                        ;           Child Loop BB4_624 Depth 5
                                        ;         Child Loop BB4_701 Depth 4
                                        ;         Child Loop BB4_736 Depth 4
                                        ;           Child Loop BB4_737 Depth 5
                                        ;           Child Loop BB4_746 Depth 5
                                        ;         Child Loop BB4_768 Depth 4
                                        ;         Child Loop BB4_791 Depth 4
                                        ;       Child Loop BB4_810 Depth 3
                                        ;         Child Loop BB4_816 Depth 4
                                        ;         Child Loop BB4_856 Depth 4
	;; [unrolled: 1-line block ×3, first 2 shown]
	s_sub_i32 s28, s82, s94
	s_cmp_le_i32 s76, s28
	s_cselect_b32 s29, s76, 0
	s_sub_i32 s28, s28, s29
	v_accvgpr_read_b32 v4, a60
	s_ashr_i32 s29, s28, 31
	v_accvgpr_read_b32 v5, a61
	v_mul_lo_u32 v0, v4, s29
	v_mul_lo_u32 v1, v5, s28
	v_mad_u64_u32 v[2:3], s[28:29], v4, s28, 0
	v_add3_u32 v3, v3, v0, v1
	v_accvgpr_read_b32 v0, a62
	v_accvgpr_read_b32 v1, a63
	v_sub_co_u32_e32 v0, vcc, v0, v2
	v_subb_co_u32_e32 v1, vcc, v1, v3, vcc
	v_cmp_lt_i64_e32 vcc, v[4:5], v[0:1]
	v_cndmask_b32_e32 v0, v0, v4, vcc
	v_max_i32_e32 v32, 0, v0
	v_add_u32_e32 v1, 31, v32
	v_lshrrev_b32_e32 v1, 1, v1
	v_and_b32_e32 v1, 0x3ffffff0, v1
	v_cmp_lt_i32_e32 vcc, 0, v0
	v_max_i32_e32 v52, s85, v1
	s_and_b64 s[28:29], s[50:51], vcc
	v_mov_b32_e32 v0, 0
	v_mov_b32_e32 v54, 0
	s_and_saveexec_b64 s[52:53], s[28:29]
	s_cbranch_execz .LBB4_806
; %bb.303:                              ;   in Loop: Header=BB4_302 Depth=2
	s_mov_b32 s95, 1
	s_mov_b64 s[56:57], -1
	s_mov_b64 s[54:55], 0
	v_mov_b32_e32 v54, 0
	v_lshlrev_b64 v[34:35], 1, v[2:3]
	s_branch .LBB4_305
.LBB4_304:                              ;   in Loop: Header=BB4_305 Depth=3
	s_or_b64 exec, exec, s[28:29]
	v_add_u32_e32 v54, v52, v54
	v_cmp_ge_i32_e32 vcc, v54, v32
	s_xor_b64 s[28:29], s[56:57], -1
	s_or_b64 s[28:29], s[28:29], vcc
	s_and_b64 s[28:29], exec, s[28:29]
	s_or_b64 s[54:55], s[28:29], s[54:55]
	s_mov_b64 s[56:57], 0
	v_mov_b32_e32 v0, s95
	s_mov_b32 s95, 2
	s_andn2_b64 exec, exec, s[54:55]
	s_cbranch_execz .LBB4_807
.LBB4_305:                              ;   Parent Loop BB4_47 Depth=1
                                        ;     Parent Loop BB4_302 Depth=2
                                        ; =>    This Loop Header: Depth=3
                                        ;         Child Loop BB4_313 Depth 4
                                        ;         Child Loop BB4_341 Depth 4
                                        ;         Child Loop BB4_360 Depth 4
                                        ;         Child Loop BB4_381 Depth 4
                                        ;         Child Loop BB4_586 Depth 4
                                        ;           Child Loop BB4_587 Depth 5
                                        ;           Child Loop BB4_624 Depth 5
                                        ;         Child Loop BB4_701 Depth 4
                                        ;         Child Loop BB4_736 Depth 4
                                        ;           Child Loop BB4_737 Depth 5
                                        ;           Child Loop BB4_746 Depth 5
                                        ;         Child Loop BB4_768 Depth 4
                                        ;         Child Loop BB4_791 Depth 4
	s_and_saveexec_b64 s[28:29], s[4:5]
	s_cbranch_execz .LBB4_307
; %bb.306:                              ;   in Loop: Header=BB4_305 Depth=3
	s_trap 2
	ds_read_b64 v[0:1], v0
	v_accvgpr_read_b32 v2, a8
	v_accvgpr_read_b32 v3, a9
	v_lshlrev_b64 v[2:3], 1, v[2:3]
	v_ashrrev_i32_e32 v55, 31, v54
	s_waitcnt lgkmcnt(0)
	v_add_co_u32_e32 v0, vcc, v0, v2
	v_addc_co_u32_e32 v1, vcc, v1, v3, vcc
	v_add_co_u32_e32 v2, vcc, v0, v34
	v_addc_co_u32_e32 v3, vcc, v1, v35, vcc
	v_lshlrev_b64 v[0:1], 1, v[54:55]
	v_add_co_u32_e32 v0, vcc, v2, v0
	v_addc_co_u32_e32 v1, vcc, v3, v1, vcc
	v_mov_b32_e32 v43, v42
	ds_write_b64 v0, v[0:1]
	ds_write_b64 v0, v[42:43]
.LBB4_307:                              ;   in Loop: Header=BB4_305 Depth=3
	s_or_b64 exec, exec, s[28:29]
	v_and_b32_e32 v0, 12, v62
	v_cmp_ne_u32_e32 vcc, 0, v0
	s_mov_b64 s[30:31], -1
	s_and_saveexec_b64 s[28:29], vcc
	s_cbranch_execz .LBB4_319
; %bb.308:                              ;   in Loop: Header=BB4_305 Depth=3
	v_and_b32_e32 v0, 8, v62
	v_add_co_u32_e32 v4, vcc, v60, v0
	v_addc_co_u32_e32 v5, vcc, 0, v61, vcc
	v_add_co_u32_e32 v2, vcc, 2, v44
	v_addc_co_u32_e32 v3, vcc, 0, v45, vcc
	v_cmp_lt_u64_e32 vcc, v[4:5], v[2:3]
	v_mov_b32_e32 v1, 1
	s_and_saveexec_b64 s[30:31], vcc
	s_cbranch_execz .LBB4_318
; %bb.309:                              ;   in Loop: Header=BB4_305 Depth=3
	s_mov_b64 s[34:35], 0
	v_mov_b32_e32 v1, 0
                                        ; implicit-def: $sgpr36_sgpr37
	s_branch .LBB4_313
.LBB4_310:                              ;   in Loop: Header=BB4_313 Depth=4
	s_or_b64 exec, exec, s[64:65]
	v_mov_b32_e32 v4, 0
	s_orn2_b64 s[62:63], s[62:63], exec
.LBB4_311:                              ;   in Loop: Header=BB4_313 Depth=4
	s_or_b64 exec, exec, s[60:61]
	s_andn2_b64 vcc, s[36:37], exec
	s_and_b64 s[36:37], s[62:63], exec
	s_or_b64 s[36:37], vcc, s[36:37]
	v_mov_b32_e32 v1, v4
.LBB4_312:                              ;   in Loop: Header=BB4_313 Depth=4
	s_or_b64 exec, exec, s[58:59]
	s_waitcnt vmcnt(0) lgkmcnt(0)
	v_add_co_u32_e32 v4, vcc, v60, v0
	v_addc_co_u32_e32 v5, vcc, 0, v61, vcc
	v_cmp_ge_u64_e32 vcc, v[4:5], v[2:3]
	s_xor_b64 s[58:59], s[36:37], -1
	s_or_b64 vcc, s[58:59], vcc
	s_and_b64 vcc, exec, vcc
	s_or_b64 s[34:35], vcc, s[34:35]
	s_andn2_b64 exec, exec, s[34:35]
	s_cbranch_execz .LBB4_317
.LBB4_313:                              ;   Parent Loop BB4_47 Depth=1
                                        ;     Parent Loop BB4_302 Depth=2
                                        ;       Parent Loop BB4_305 Depth=3
                                        ; =>      This Inner Loop Header: Depth=4
	s_sleep 1
	flat_load_dwordx2 v[60:61], v[46:47] glc
	v_and_b32_e32 v4, 64, v62
	v_cmp_eq_u32_e32 vcc, 0, v4
	s_andn2_b64 s[36:37], s[36:37], exec
	s_and_saveexec_b64 s[58:59], vcc
	s_cbranch_execz .LBB4_312
; %bb.314:                              ;   in Loop: Header=BB4_313 Depth=4
	v_add_u32_e32 v4, 1, v1
	v_cmp_lt_i32_e32 vcc, s89, v1
	s_mov_b64 s[62:63], -1
	s_and_saveexec_b64 s[60:61], vcc
	s_cbranch_execz .LBB4_311
; %bb.315:                              ;   in Loop: Header=BB4_313 Depth=4
	s_trap 2
	ds_read_b64 v[4:5], v0
	s_waitcnt vmcnt(0) lgkmcnt(0)
	flat_load_dword v1, v[4:5] glc
	s_waitcnt vmcnt(0) lgkmcnt(0)
	buffer_invl2
	buffer_wbinvl1_vol
	v_cmp_ne_u32_e32 vcc, 0, v1
	s_and_saveexec_b64 s[64:65], vcc
	s_cbranch_execz .LBB4_310
; %bb.316:                              ;   in Loop: Header=BB4_313 Depth=4
	v_or_b32_e32 v62, 64, v62
	s_xor_b64 s[62:63], exec, -1
	ds_write_b32 v0, v1
	s_trap 2
	s_branch .LBB4_310
.LBB4_317:                              ;   in Loop: Header=BB4_305 Depth=3
	s_or_b64 exec, exec, s[34:35]
	v_and_b32_e32 v1, 12, v62
.LBB4_318:                              ;   in Loop: Header=BB4_305 Depth=3
	s_or_b64 exec, exec, s[30:31]
	v_cmp_eq_u32_e32 vcc, 0, v1
	s_orn2_b64 s[30:31], vcc, exec
	;;#ASMSTART
	s_wakeup
	;;#ASMEND
.LBB4_319:                              ;   in Loop: Header=BB4_305 Depth=3
	s_or_b64 exec, exec, s[28:29]
	v_sub_u32_e32 v0, v32, v54
	s_xor_b64 s[28:29], s[30:31], -1
	v_min_i32_e32 v52, v52, v0
	s_and_saveexec_b64 s[30:31], s[28:29]
	s_cbranch_execz .LBB4_333
; %bb.320:                              ;   in Loop: Header=BB4_305 Depth=3
	v_and_b32_e32 v0, 0x108, v62
	v_cmp_ne_u32_e32 vcc, s90, v0
	v_and_b32_e32 v0, 7, v44
	s_and_saveexec_b64 s[28:29], vcc
	s_xor_b64 s[28:29], exec, s[28:29]
                                        ; implicit-def: $vgpr2_vgpr3
; %bb.321:                              ;   in Loop: Header=BB4_305 Depth=3
	v_mov_b32_e32 v3, v42
; %bb.322:                              ;   in Loop: Header=BB4_305 Depth=3
	s_andn2_saveexec_b64 s[28:29], s[28:29]
	s_cbranch_execz .LBB4_324
; %bb.323:                              ;   in Loop: Header=BB4_305 Depth=3
	v_ashrrev_i32_e32 v53, 31, v52
	v_mov_b32_e32 v3, v42
	v_mad_u64_u32 v[4:5], vcc, v0, 24, v[48:49]
	v_lshlrev_b64 v[8:9], 1, v[52:53]
	flat_store_dwordx2 v[4:5], v[8:9] offset:8
.LBB4_324:                              ;   in Loop: Header=BB4_305 Depth=3
	s_or_b64 exec, exec, s[28:29]
	v_and_b32_e32 v1, 0x100, v62
	v_cmp_ne_u32_e32 vcc, 0, v1
	s_mov_b64 s[28:29], -1
                                        ; implicit-def: $vgpr4_vgpr5
	s_and_saveexec_b64 s[34:35], vcc
	s_cbranch_execz .LBB4_328
; %bb.325:                              ;   in Loop: Header=BB4_305 Depth=3
	v_mad_u64_u32 v[8:9], s[28:29], v0, 24, v[48:49]
	v_mov_b32_e32 v2, v9
	v_mad_u64_u32 v[4:5], s[28:29], v3, 24, v[2:3]
	v_mov_b32_e32 v9, v4
	flat_load_dword v1, v[8:9]
                                        ; implicit-def: $vgpr4_vgpr5
	s_waitcnt vmcnt(0) lgkmcnt(0)
	v_cmp_ne_u32_e32 vcc, 1, v1
	v_cmp_eq_u32_e64 s[28:29], 1, v1
	s_and_saveexec_b64 s[36:37], s[28:29]
	s_cbranch_execz .LBB4_327
; %bb.326:                              ;   in Loop: Header=BB4_305 Depth=3
	flat_load_dword v4, v[8:9] offset:4 glc
	s_waitcnt vmcnt(0) lgkmcnt(0)
	v_ashrrev_i32_e32 v5, 31, v4
	v_lshrrev_b64 v[4:5], 1, v[4:5]
.LBB4_327:                              ;   in Loop: Header=BB4_305 Depth=3
	s_or_b64 exec, exec, s[36:37]
	s_orn2_b64 s[28:29], vcc, exec
.LBB4_328:                              ;   in Loop: Header=BB4_305 Depth=3
	s_or_b64 exec, exec, s[34:35]
	s_and_saveexec_b64 vcc, s[28:29]
; %bb.329:                              ;   in Loop: Header=BB4_305 Depth=3
	v_accvgpr_read_b32 v4, a14
	v_mul_lo_u32 v1, v3, v4
	v_accvgpr_read_b32 v3, a53
	v_mul_lo_u32 v2, v0, v3
	v_mad_u64_u32 v[4:5], s[28:29], v0, v4, 0
	v_add3_u32 v5, v5, v2, v1
; %bb.330:                              ;   in Loop: Header=BB4_305 Depth=3
	s_or_b64 exec, exec, vcc
	v_lshlrev_b64 v[0:1], 1, v[4:5]
	v_accvgpr_read_b32 v2, a16
	v_accvgpr_read_b32 v3, a17
	v_add_co_u32_e32 v0, vcc, v2, v0
	v_addc_co_u32_e32 v1, vcc, v3, v1, vcc
	s_trap 2
	ds_write_b64 v0, v[0:1]
	v_and_b32_e32 v0, 0x2000, v62
	v_cmp_ne_u32_e32 vcc, 0, v0
	s_and_saveexec_b64 s[28:29], vcc
	s_cbranch_execz .LBB4_332
; %bb.331:                              ;   in Loop: Header=BB4_305 Depth=3
	ds_read_b64 v[0:1], v0 offset:584
	s_waitcnt lgkmcnt(0)
	v_add_co_u32_e32 v0, vcc, 1, v0
	v_addc_co_u32_e32 v1, vcc, 0, v1, vcc
	ds_write_b64 v0, v[0:1] offset:584
.LBB4_332:                              ;   in Loop: Header=BB4_305 Depth=3
	s_or_b64 exec, exec, s[28:29]
	v_add_co_u32_e32 v44, vcc, 2, v44
	v_addc_co_u32_e32 v45, vcc, 0, v45, vcc
.LBB4_333:                              ;   in Loop: Header=BB4_305 Depth=3
	s_or_b64 exec, exec, s[30:31]
	s_and_saveexec_b64 s[28:29], s[10:11]
	s_cbranch_execz .LBB4_352
; %bb.334:                              ;   in Loop: Header=BB4_305 Depth=3
	s_and_saveexec_b64 vcc, s[44:45]
	s_xor_b64 s[30:31], exec, vcc
	s_cbranch_execz .LBB4_349
; %bb.335:                              ;   in Loop: Header=BB4_305 Depth=3
	s_and_saveexec_b64 s[34:35], s[16:17]
	s_cbranch_execz .LBB4_348
; %bb.336:                              ;   in Loop: Header=BB4_305 Depth=3
	s_mov_b64 s[58:59], exec
	v_mbcnt_lo_u32_b32 v0, s58, 0
	v_mbcnt_hi_u32_b32 v0, s59, v0
	v_cmp_eq_u32_e32 vcc, 0, v0
	s_waitcnt vmcnt(0) lgkmcnt(0)
	buffer_wbinvl1_vol
	s_and_saveexec_b64 s[36:37], vcc
	s_cbranch_execz .LBB4_338
; %bb.337:                              ;   in Loop: Header=BB4_305 Depth=3
	s_bcnt1_i32_b64 vcc_lo, s[58:59]
	v_mov_b32_e32 v0, vcc_lo
	v_mov_b32_e32 v1, v42
	ds_add_u64 v0, v[0:1]
	s_trap 2
.LBB4_338:                              ;   in Loop: Header=BB4_305 Depth=3
	s_or_b64 exec, exec, s[36:37]
	s_trap 2
	ds_read_b64 v[0:1], v0
	v_add_co_u32_e32 v40, vcc, v40, v28
	v_addc_co_u32_e32 v41, vcc, 0, v41, vcc
	s_waitcnt lgkmcnt(0)
	v_cmp_lt_u64_e32 vcc, v[0:1], v[40:41]
	s_and_saveexec_b64 s[36:37], vcc
	s_cbranch_execz .LBB4_347
; %bb.339:                              ;   in Loop: Header=BB4_305 Depth=3
	s_mov_b32 s68, 0
	s_mov_b64 s[58:59], 0
                                        ; implicit-def: $sgpr60_sgpr61
                                        ; implicit-def: $sgpr62_sgpr63
	s_branch .LBB4_341
.LBB4_340:                              ;   in Loop: Header=BB4_341 Depth=4
	s_or_b64 exec, exec, s[66:67]
	s_and_b64 vcc, exec, vcc
	s_or_b64 s[58:59], vcc, s[58:59]
	s_andn2_b64 vcc, s[60:61], exec
	s_and_b64 s[60:61], s[62:63], exec
	s_or_b64 s[60:61], vcc, s[60:61]
	s_andn2_b64 exec, exec, s[58:59]
	s_cbranch_execz .LBB4_345
.LBB4_341:                              ;   Parent Loop BB4_47 Depth=1
                                        ;     Parent Loop BB4_302 Depth=2
                                        ;       Parent Loop BB4_305 Depth=3
                                        ; =>      This Inner Loop Header: Depth=4
	s_add_i32 s68, s68, 1
	s_cmpk_lg_i32 s68, 0x2710
	s_cselect_b64 s[64:65], -1, 0
	s_and_b64 vcc, exec, s[64:65]
                                        ; implicit-def: $sgpr66_sgpr67
	s_cbranch_vccnz .LBB4_343
; %bb.342:                              ;   in Loop: Header=BB4_341 Depth=4
	s_trap 2
	ds_read_b64 v[0:1], v0
	s_andn2_b64 s[64:65], s[64:65], exec
	s_mov_b32 s68, 0
	s_mov_b64 s[66:67], -1
	s_waitcnt lgkmcnt(0)
	flat_load_dword v0, v[0:1] glc
	s_waitcnt vmcnt(0) lgkmcnt(0)
	buffer_invl2
	buffer_wbinvl1_vol
	v_cmp_eq_u32_e32 vcc, 0, v0
	s_and_b64 vcc, vcc, exec
	s_or_b64 s[64:65], s[64:65], vcc
.LBB4_343:                              ;   in Loop: Header=BB4_341 Depth=4
	s_andn2_b64 s[62:63], s[62:63], exec
	s_and_b64 s[66:67], s[66:67], exec
	s_mov_b64 vcc, -1
	s_or_b64 s[62:63], s[62:63], s[66:67]
	s_and_saveexec_b64 s[66:67], s[64:65]
	s_cbranch_execz .LBB4_340
; %bb.344:                              ;   in Loop: Header=BB4_341 Depth=4
	s_sleep 1
	s_trap 2
	ds_read_b64 v[0:1], v0
	s_andn2_b64 s[62:63], s[62:63], exec
	s_waitcnt lgkmcnt(0)
	v_cmp_ge_u64_e32 vcc, v[0:1], v[40:41]
	s_orn2_b64 vcc, vcc, exec
	s_branch .LBB4_340
.LBB4_345:                              ;   in Loop: Header=BB4_305 Depth=3
	s_or_b64 exec, exec, s[58:59]
	s_and_saveexec_b64 vcc, s[60:61]
	s_xor_b64 vcc, exec, vcc
	s_cbranch_execz .LBB4_347
; %bb.346:                              ;   in Loop: Header=BB4_305 Depth=3
	v_mov_b32_e32 v0, 1
	ds_write_b32 v0, v0
	s_trap 2
.LBB4_347:                              ;   in Loop: Header=BB4_305 Depth=3
	s_or_b64 exec, exec, s[36:37]
	;;#ASMSTART
	s_wakeup
	;;#ASMEND
.LBB4_348:                              ;   in Loop: Header=BB4_305 Depth=3
	s_or_b64 exec, exec, s[34:35]
.LBB4_349:                              ;   in Loop: Header=BB4_305 Depth=3
	s_andn2_saveexec_b64 vcc, s[30:31]
	s_cbranch_execz .LBB4_351
; %bb.350:                              ;   in Loop: Header=BB4_305 Depth=3
	s_waitcnt vmcnt(0) lgkmcnt(0)
	buffer_wbinvl1_vol
	s_barrier
.LBB4_351:                              ;   in Loop: Header=BB4_305 Depth=3
	s_or_b64 exec, exec, vcc
.LBB4_352:                              ;   in Loop: Header=BB4_305 Depth=3
	s_or_b64 exec, exec, s[28:29]
	s_trap 2
	ds_read_b32 v0, v0
	v_and_b32_e32 v1, 0x4000, v62
	v_cmp_ne_u32_e32 vcc, 0, v1
	s_xor_b64 s[28:29], s[6:7], -1
	s_and_b64 vcc, s[28:29], vcc
	s_and_saveexec_b64 s[28:29], vcc
	s_cbranch_execz .LBB4_371
; %bb.353:                              ;   in Loop: Header=BB4_305 Depth=3
	s_and_saveexec_b64 vcc, s[44:45]
	s_xor_b64 s[30:31], exec, vcc
	s_cbranch_execz .LBB4_368
; %bb.354:                              ;   in Loop: Header=BB4_305 Depth=3
	s_and_saveexec_b64 s[34:35], s[16:17]
	s_cbranch_execz .LBB4_367
; %bb.355:                              ;   in Loop: Header=BB4_305 Depth=3
	s_mov_b64 s[58:59], exec
	v_mbcnt_lo_u32_b32 v1, s58, 0
	v_mbcnt_hi_u32_b32 v1, s59, v1
	v_cmp_eq_u32_e32 vcc, 0, v1
	s_waitcnt vmcnt(0) lgkmcnt(0)
	buffer_wbinvl1_vol
	s_and_saveexec_b64 s[36:37], vcc
	s_cbranch_execz .LBB4_357
; %bb.356:                              ;   in Loop: Header=BB4_305 Depth=3
	s_bcnt1_i32_b64 vcc_lo, s[58:59]
	v_mov_b32_e32 v2, vcc_lo
	v_mov_b32_e32 v3, v42
	ds_add_u64 v0, v[2:3]
	s_trap 2
.LBB4_357:                              ;   in Loop: Header=BB4_305 Depth=3
	s_or_b64 exec, exec, s[36:37]
	s_trap 2
	ds_read_b64 v[2:3], v0
	v_add_co_u32_e32 v40, vcc, v40, v28
	v_addc_co_u32_e32 v41, vcc, 0, v41, vcc
	s_waitcnt lgkmcnt(0)
	v_cmp_lt_u64_e32 vcc, v[2:3], v[40:41]
	s_and_saveexec_b64 s[36:37], vcc
	s_cbranch_execz .LBB4_366
; %bb.358:                              ;   in Loop: Header=BB4_305 Depth=3
	s_mov_b32 s68, 0
	s_mov_b64 s[58:59], 0
                                        ; implicit-def: $sgpr60_sgpr61
                                        ; implicit-def: $sgpr62_sgpr63
	s_branch .LBB4_360
.LBB4_359:                              ;   in Loop: Header=BB4_360 Depth=4
	s_or_b64 exec, exec, s[66:67]
	s_and_b64 vcc, exec, vcc
	s_or_b64 s[58:59], vcc, s[58:59]
	s_andn2_b64 vcc, s[60:61], exec
	s_and_b64 s[60:61], s[62:63], exec
	s_or_b64 s[60:61], vcc, s[60:61]
	s_andn2_b64 exec, exec, s[58:59]
	s_cbranch_execz .LBB4_364
.LBB4_360:                              ;   Parent Loop BB4_47 Depth=1
                                        ;     Parent Loop BB4_302 Depth=2
                                        ;       Parent Loop BB4_305 Depth=3
                                        ; =>      This Inner Loop Header: Depth=4
	s_add_i32 s68, s68, 1
	s_cmpk_lg_i32 s68, 0x2710
	s_cselect_b64 s[64:65], -1, 0
	s_and_b64 vcc, exec, s[64:65]
                                        ; implicit-def: $sgpr66_sgpr67
	s_cbranch_vccnz .LBB4_362
; %bb.361:                              ;   in Loop: Header=BB4_360 Depth=4
	s_trap 2
	ds_read_b64 v[2:3], v0
	s_andn2_b64 s[64:65], s[64:65], exec
	s_mov_b32 s68, 0
	s_mov_b64 s[66:67], -1
	s_waitcnt lgkmcnt(0)
	flat_load_dword v1, v[2:3] glc
	s_waitcnt vmcnt(0) lgkmcnt(0)
	buffer_invl2
	buffer_wbinvl1_vol
	v_cmp_eq_u32_e32 vcc, 0, v1
	s_and_b64 vcc, vcc, exec
	s_or_b64 s[64:65], s[64:65], vcc
.LBB4_362:                              ;   in Loop: Header=BB4_360 Depth=4
	s_andn2_b64 s[62:63], s[62:63], exec
	s_and_b64 s[66:67], s[66:67], exec
	s_mov_b64 vcc, -1
	s_or_b64 s[62:63], s[62:63], s[66:67]
	s_and_saveexec_b64 s[66:67], s[64:65]
	s_cbranch_execz .LBB4_359
; %bb.363:                              ;   in Loop: Header=BB4_360 Depth=4
	s_sleep 1
	s_trap 2
	ds_read_b64 v[2:3], v0
	s_andn2_b64 s[62:63], s[62:63], exec
	s_waitcnt lgkmcnt(0)
	v_cmp_ge_u64_e32 vcc, v[2:3], v[40:41]
	s_orn2_b64 vcc, vcc, exec
	s_branch .LBB4_359
.LBB4_364:                              ;   in Loop: Header=BB4_305 Depth=3
	s_or_b64 exec, exec, s[58:59]
	s_and_saveexec_b64 vcc, s[60:61]
	s_xor_b64 vcc, exec, vcc
	s_cbranch_execz .LBB4_366
; %bb.365:                              ;   in Loop: Header=BB4_305 Depth=3
	v_mov_b32_e32 v1, 1
	ds_write_b32 v0, v1
	s_trap 2
.LBB4_366:                              ;   in Loop: Header=BB4_305 Depth=3
	s_or_b64 exec, exec, s[36:37]
	;;#ASMSTART
	s_wakeup
	;;#ASMEND
.LBB4_367:                              ;   in Loop: Header=BB4_305 Depth=3
	s_or_b64 exec, exec, s[34:35]
.LBB4_368:                              ;   in Loop: Header=BB4_305 Depth=3
	s_andn2_saveexec_b64 vcc, s[30:31]
	s_cbranch_execz .LBB4_370
; %bb.369:                              ;   in Loop: Header=BB4_305 Depth=3
	s_waitcnt vmcnt(0) lgkmcnt(0)
	buffer_wbinvl1_vol
	s_barrier
.LBB4_370:                              ;   in Loop: Header=BB4_305 Depth=3
	s_or_b64 exec, exec, vcc
.LBB4_371:                              ;   in Loop: Header=BB4_305 Depth=3
	s_or_b64 exec, exec, s[28:29]
	s_trap 2
	s_waitcnt lgkmcnt(0)
	ds_read_b64 v[2:3], v0
	v_mov_b32_e32 v33, 0
	s_waitcnt lgkmcnt(0)
	v_readfirstlane_b32 s28, v2
	v_readfirstlane_b32 s29, v3
	s_cmp_eq_u64 s[28:29], 0
	s_cselect_b64 s[28:29], -1, 0
	s_or_b64 s[28:29], s[28:29], s[28:29]
	s_and_b64 vcc, exec, s[28:29]
	s_cbranch_vccnz .LBB4_760
; %bb.372:                              ;   in Loop: Header=BB4_305 Depth=3
	s_trap 2
	ds_read_b64 v[2:3], v0
	s_mov_b64 s[30:31], -1
	s_and_saveexec_b64 s[28:29], s[22:23]
	s_cbranch_execz .LBB4_374
; %bb.373:                              ;   in Loop: Header=BB4_305 Depth=3
	ds_read_b32 v1, v0 offset:720
	s_waitcnt lgkmcnt(0)
	v_and_b32_e32 v1, 15, v1
	v_cmp_eq_u32_e32 vcc, 0, v1
	s_orn2_b64 s[30:31], vcc, exec
.LBB4_374:                              ;   in Loop: Header=BB4_305 Depth=3
	s_or_b64 exec, exec, s[28:29]
	s_and_saveexec_b64 s[28:29], s[20:21]
	s_cbranch_execz .LBB4_376
; %bb.375:                              ;   in Loop: Header=BB4_305 Depth=3
	ds_read_b32 v1, v0 offset:784
	s_waitcnt lgkmcnt(0)
	v_and_b32_e32 v1, 15, v1
	v_cmp_eq_u32_e32 vcc, 0, v1
	s_and_b64 vcc, s[30:31], vcc
	s_andn2_b64 s[30:31], s[30:31], exec
	s_and_b64 vcc, vcc, exec
	s_or_b64 s[30:31], s[30:31], vcc
.LBB4_376:                              ;   in Loop: Header=BB4_305 Depth=3
	s_or_b64 exec, exec, s[28:29]
	v_cmp_eq_u32_e32 vcc, 0, v0
	v_cndmask_b32_e32 v33, 0, v52, vcc
	s_xor_b64 vcc, s[30:31], -1
	v_cndmask_b32_e64 v0, 0, 1, vcc
	v_lshlrev_b32_e32 v36, 1, v33
	s_mov_b64 s[28:29], -1
	;;#ASMSTART
	;;#ASMEND
	v_cmp_ne_u32_e32 vcc, 0, v0
	s_waitcnt lgkmcnt(0)
	v_and_b32_e32 v37, 1, v2
	s_cbranch_vccz .LBB4_513
; %bb.377:                              ;   in Loop: Header=BB4_305 Depth=3
	v_and_b32_e32 v12, 1, v2
	s_mov_b64 s[58:59], -1
	s_mov_b32 s30, 0
	s_cbranch_execnz .LBB4_514
.LBB4_378:                              ;   in Loop: Header=BB4_305 Depth=3
	v_ashrrev_i32_e32 v0, 31, v36
	v_lshrrev_b32_e32 v0, 21, v0
	s_trap 2
	ds_read_b64 v[56:57], v0
	v_add_u32_e32 v0, v36, v0
	v_ashrrev_i32_e32 v1, 11, v0
	v_accvgpr_read_b32 v0, a29
	v_accvgpr_read_b32 v2, a42
	v_accvgpr_write_b32 a6, v1
	v_sub_u32_e32 v0, v1, v0
	s_waitcnt lgkmcnt(0)
	v_add_co_u32_e32 v30, vcc, v56, v2
	v_accvgpr_read_b32 v1, a57
	v_addc_co_u32_e32 v31, vcc, v57, v1, vcc
	v_cmp_lt_i32_e32 vcc, 0, v0
	s_mov_b64 s[28:29], 0
                                        ; implicit-def: $vgpr20_vgpr21
                                        ; implicit-def: $vgpr12_vgpr13
                                        ; implicit-def: $vgpr16_vgpr17
                                        ; implicit-def: $vgpr8_vgpr9
	s_and_saveexec_b64 s[30:31], vcc
	s_cbranch_execz .LBB4_516
; %bb.379:                              ;   in Loop: Header=BB4_305 Depth=3
	s_trap 2
	ds_read_b128 v[2:5], v0
	v_accvgpr_write_b32 a4, v56
	v_accvgpr_read_b32 v6, a42
	v_accvgpr_write_b32 a5, v57
	v_accvgpr_read_b32 v1, a57
	s_waitcnt lgkmcnt(0)
	v_add_co_u32_e32 v56, vcc, v2, v6
	v_addc_co_u32_e32 v57, vcc, v3, v1, vcc
	v_accvgpr_write_b32 a10, v34
	v_add_co_u32_e32 v4, vcc, v4, v6
	v_accvgpr_write_b32 a46, v36
	v_accvgpr_write_b32 a1, v33
	;; [unrolled: 1-line block ×4, first 2 shown]
	v_addc_co_u32_e32 v5, vcc, v5, v1, vcc
	v_accvgpr_write_b32 a52, v37
	v_cmp_eq_u16_e64 s[28:29], 0, v37
	s_mov_b64 s[60:61], 0
	s_mov_b64 s[34:35], 0
                                        ; implicit-def: $sgpr36_sgpr37
                                        ; implicit-def: $vgpr20_vgpr21
                                        ; implicit-def: $vgpr12_vgpr13
                                        ; implicit-def: $vgpr16_vgpr17
                                        ; implicit-def: $vgpr8_vgpr9
	s_branch .LBB4_381
.LBB4_380:                              ;   in Loop: Header=BB4_381 Depth=4
	s_or_b64 exec, exec, s[62:63]
	v_lshrrev_b32_e32 v2, 16, v2
	v_and_or_b32 v35, v3, s93, v2
	v_lshrrev_b32_e32 v2, 16, v43
	v_and_or_b32 v34, v36, s93, v2
	;; [unrolled: 2-line block ×6, first 2 shown]
	v_lshrrev_b32_e32 v2, 16, v33
	v_lshrrev_b32_e32 v1, 16, v1
	v_accvgpr_read_b32 v6, a26
	v_and_or_b32 v26, v26, s93, v2
	v_and_or_b32 v27, v27, s93, v1
	global_store_dwordx4 v[30:31], v[34:37], off glc slc
	global_store_dwordx4 v[30:31], v[24:27], off offset:1024 glc slc
	v_add_co_u32_e32 v1, vcc, v56, v6
	v_accvgpr_read_b32 v25, a27
	v_addc_co_u32_e32 v2, vcc, v57, v25, vcc
	v_add_co_u32_e32 v3, vcc, v4, v6
	v_addc_co_u32_e32 v6, vcc, v5, v25, vcc
	v_accvgpr_read_b32 v25, a41
	v_mov_b32_e32 v26, 0x800
	v_accvgpr_read_b32 v24, a43
	v_cndmask_b32_e64 v25, v26, v25, s[60:61]
	v_cndmask_b32_e64 v24, 0, v24, s[60:61]
	v_add_co_u32_e32 v30, vcc, v30, v25
	v_cndmask_b32_e64 v56, v56, v1, s[60:61]
	v_cndmask_b32_e64 v1, 0, v28, s[60:61]
	v_addc_co_u32_e32 v31, vcc, v31, v24, vcc
	v_sub_u32_e32 v0, v0, v1
	v_cmp_gt_i32_e32 vcc, 1, v0
	s_or_b64 s[34:35], vcc, s[34:35]
	s_andn2_b64 vcc, s[36:37], exec
	s_and_b64 s[36:37], s[60:61], exec
	v_cndmask_b32_e64 v57, v57, v2, s[60:61]
	v_cndmask_b32_e64 v5, v5, v6, s[60:61]
	;; [unrolled: 1-line block ×3, first 2 shown]
	s_or_b64 s[36:37], vcc, s[36:37]
	s_andn2_b64 exec, exec, s[34:35]
	s_cbranch_execz .LBB4_515
.LBB4_381:                              ;   Parent Loop BB4_47 Depth=1
                                        ;     Parent Loop BB4_302 Depth=2
                                        ;       Parent Loop BB4_305 Depth=3
                                        ; =>      This Inner Loop Header: Depth=4
	global_load_dwordx4 v[36:39], v[56:57], off glc slc
	global_load_dwordx4 v[24:27], v[56:57], off offset:1024 glc slc
	global_load_dwordx4 v[48:51], v[4:5], off glc slc
	global_load_dwordx4 v[32:35], v[4:5], off offset:1024 glc slc
	s_and_saveexec_b64 s[62:63], s[60:61]
	s_cbranch_execz .LBB4_447
; %bb.382:                              ;   in Loop: Header=BB4_381 Depth=4
	v_lshlrev_b32_e32 v1, 16, v20
	v_lshlrev_b32_e32 v2, 16, v16
	v_max_f32_e32 v2, v2, v2
	v_max_f32_e32 v1, v1, v1
	v_min_f32_e32 v3, v1, v2
	v_max_f32_e32 v1, v1, v2
	v_cndmask_b32_e64 v1, v1, v3, s[28:29]
	v_and_b32_e32 v2, 0x7f800000, v1
	v_cmp_ne_u32_e32 vcc, s91, v2
                                        ; implicit-def: $vgpr43
	s_and_saveexec_b64 s[60:61], vcc
	s_xor_b64 vcc, exec, s[60:61]
; %bb.383:                              ;   in Loop: Header=BB4_381 Depth=4
	v_bfe_u32 v2, v1, 16, 1
	v_add3_u32 v43, v1, v2, s92
                                        ; implicit-def: $vgpr1
; %bb.384:                              ;   in Loop: Header=BB4_381 Depth=4
	s_andn2_saveexec_b64 s[60:61], vcc
; %bb.385:                              ;   in Loop: Header=BB4_381 Depth=4
	v_or_b32_e32 v2, 0x10000, v1
	v_cmp_eq_u32_sdwa vcc, v1, v42 src0_sel:WORD_0 src1_sel:DWORD
	v_cndmask_b32_e32 v43, v2, v1, vcc
; %bb.386:                              ;   in Loop: Header=BB4_381 Depth=4
	s_or_b64 exec, exec, s[60:61]
	v_and_b32_e32 v1, 0xffff0000, v20
	v_and_b32_e32 v2, 0xffff0000, v16
	v_max_f32_e32 v2, v2, v2
	v_max_f32_e32 v1, v1, v1
	v_min_f32_e32 v3, v1, v2
	v_max_f32_e32 v1, v1, v2
	v_cndmask_b32_e64 v1, v1, v3, s[28:29]
	v_and_b32_e32 v2, 0x7f800000, v1
	v_cmp_ne_u32_e32 vcc, s91, v2
                                        ; implicit-def: $vgpr20
	s_and_saveexec_b64 s[60:61], vcc
	s_xor_b64 vcc, exec, s[60:61]
; %bb.387:                              ;   in Loop: Header=BB4_381 Depth=4
	v_bfe_u32 v2, v1, 16, 1
	v_add3_u32 v20, v1, v2, s92
                                        ; implicit-def: $vgpr1
; %bb.388:                              ;   in Loop: Header=BB4_381 Depth=4
	s_andn2_saveexec_b64 s[60:61], vcc
; %bb.389:                              ;   in Loop: Header=BB4_381 Depth=4
	v_or_b32_e32 v2, 0x10000, v1
	v_cmp_eq_u32_sdwa vcc, v1, v42 src0_sel:WORD_0 src1_sel:DWORD
	v_cndmask_b32_e32 v20, v2, v1, vcc
; %bb.390:                              ;   in Loop: Header=BB4_381 Depth=4
	s_or_b64 exec, exec, s[60:61]
	v_lshlrev_b32_e32 v1, 16, v21
	v_lshlrev_b32_e32 v2, 16, v17
	v_max_f32_e32 v2, v2, v2
	v_max_f32_e32 v1, v1, v1
	v_min_f32_e32 v3, v1, v2
	v_max_f32_e32 v1, v1, v2
	v_cndmask_b32_e64 v1, v1, v3, s[28:29]
	v_and_b32_e32 v2, 0x7f800000, v1
	v_cmp_ne_u32_e32 vcc, s91, v2
                                        ; implicit-def: $vgpr2
	s_and_saveexec_b64 s[60:61], vcc
	s_xor_b64 vcc, exec, s[60:61]
; %bb.391:                              ;   in Loop: Header=BB4_381 Depth=4
	v_bfe_u32 v2, v1, 16, 1
	v_add3_u32 v2, v1, v2, s92
                                        ; implicit-def: $vgpr1
; %bb.392:                              ;   in Loop: Header=BB4_381 Depth=4
	s_andn2_saveexec_b64 s[60:61], vcc
; %bb.393:                              ;   in Loop: Header=BB4_381 Depth=4
	v_or_b32_e32 v2, 0x10000, v1
	v_cmp_eq_u32_sdwa vcc, v1, v42 src0_sel:WORD_0 src1_sel:DWORD
	v_cndmask_b32_e32 v2, v2, v1, vcc
; %bb.394:                              ;   in Loop: Header=BB4_381 Depth=4
	s_or_b64 exec, exec, s[60:61]
	v_and_b32_e32 v1, 0xffff0000, v21
	v_and_b32_e32 v3, 0xffff0000, v17
	v_max_f32_e32 v3, v3, v3
	v_max_f32_e32 v1, v1, v1
	v_min_f32_e32 v6, v1, v3
	v_max_f32_e32 v1, v1, v3
	v_cndmask_b32_e64 v1, v1, v6, s[28:29]
	v_and_b32_e32 v3, 0x7f800000, v1
	v_cmp_ne_u32_e32 vcc, s91, v3
                                        ; implicit-def: $vgpr3
	s_and_saveexec_b64 s[60:61], vcc
	s_xor_b64 vcc, exec, s[60:61]
; %bb.395:                              ;   in Loop: Header=BB4_381 Depth=4
	v_bfe_u32 v3, v1, 16, 1
	v_add3_u32 v3, v1, v3, s92
                                        ; implicit-def: $vgpr1
; %bb.396:                              ;   in Loop: Header=BB4_381 Depth=4
	s_andn2_saveexec_b64 s[60:61], vcc
; %bb.397:                              ;   in Loop: Header=BB4_381 Depth=4
	v_or_b32_e32 v3, 0x10000, v1
	v_cmp_eq_u32_sdwa vcc, v1, v42 src0_sel:WORD_0 src1_sel:DWORD
	v_cndmask_b32_e32 v3, v3, v1, vcc
; %bb.398:                              ;   in Loop: Header=BB4_381 Depth=4
	s_or_b64 exec, exec, s[60:61]
	v_lshlrev_b32_e32 v1, 16, v22
	v_lshlrev_b32_e32 v6, 16, v18
	v_max_f32_e32 v6, v6, v6
	v_max_f32_e32 v1, v1, v1
	v_min_f32_e32 v21, v1, v6
	v_max_f32_e32 v1, v1, v6
	v_cndmask_b32_e64 v1, v1, v21, s[28:29]
	v_and_b32_e32 v6, 0x7f800000, v1
	v_cmp_ne_u32_e32 vcc, s91, v6
                                        ; implicit-def: $vgpr6
	s_and_saveexec_b64 s[60:61], vcc
	s_xor_b64 vcc, exec, s[60:61]
; %bb.399:                              ;   in Loop: Header=BB4_381 Depth=4
	v_bfe_u32 v6, v1, 16, 1
	v_add3_u32 v6, v1, v6, s92
                                        ; implicit-def: $vgpr1
; %bb.400:                              ;   in Loop: Header=BB4_381 Depth=4
	s_andn2_saveexec_b64 s[60:61], vcc
; %bb.401:                              ;   in Loop: Header=BB4_381 Depth=4
	v_or_b32_e32 v6, 0x10000, v1
	v_cmp_eq_u32_sdwa vcc, v1, v42 src0_sel:WORD_0 src1_sel:DWORD
	v_cndmask_b32_e32 v6, v6, v1, vcc
; %bb.402:                              ;   in Loop: Header=BB4_381 Depth=4
	s_or_b64 exec, exec, s[60:61]
	v_and_b32_e32 v1, 0xffff0000, v22
	v_and_b32_e32 v21, 0xffff0000, v18
	v_max_f32_e32 v21, v21, v21
	v_max_f32_e32 v1, v1, v1
	v_min_f32_e32 v22, v1, v21
	v_max_f32_e32 v1, v1, v21
	v_cndmask_b32_e64 v1, v1, v22, s[28:29]
	v_and_b32_e32 v21, 0x7f800000, v1
	v_cmp_ne_u32_e32 vcc, s91, v21
                                        ; implicit-def: $vgpr22
	s_and_saveexec_b64 s[60:61], vcc
	s_xor_b64 vcc, exec, s[60:61]
; %bb.403:                              ;   in Loop: Header=BB4_381 Depth=4
	v_bfe_u32 v21, v1, 16, 1
	v_add3_u32 v22, v1, v21, s92
                                        ; implicit-def: $vgpr1
; %bb.404:                              ;   in Loop: Header=BB4_381 Depth=4
	s_andn2_saveexec_b64 s[60:61], vcc
; %bb.405:                              ;   in Loop: Header=BB4_381 Depth=4
	v_or_b32_e32 v21, 0x10000, v1
	v_cmp_eq_u32_sdwa vcc, v1, v42 src0_sel:WORD_0 src1_sel:DWORD
	v_cndmask_b32_e32 v22, v21, v1, vcc
; %bb.406:                              ;   in Loop: Header=BB4_381 Depth=4
	s_or_b64 exec, exec, s[60:61]
	v_lshlrev_b32_e32 v1, 16, v23
	v_lshlrev_b32_e32 v21, 16, v19
	v_max_f32_e32 v21, v21, v21
	v_max_f32_e32 v1, v1, v1
	v_min_f32_e32 v29, v1, v21
	v_max_f32_e32 v1, v1, v21
	v_cndmask_b32_e64 v1, v1, v29, s[28:29]
	v_and_b32_e32 v21, 0x7f800000, v1
	v_cmp_ne_u32_e32 vcc, s91, v21
                                        ; implicit-def: $vgpr29
	s_and_saveexec_b64 s[60:61], vcc
	s_xor_b64 vcc, exec, s[60:61]
; %bb.407:                              ;   in Loop: Header=BB4_381 Depth=4
	v_bfe_u32 v21, v1, 16, 1
	v_add3_u32 v29, v1, v21, s92
                                        ; implicit-def: $vgpr1
; %bb.408:                              ;   in Loop: Header=BB4_381 Depth=4
	s_andn2_saveexec_b64 s[60:61], vcc
; %bb.409:                              ;   in Loop: Header=BB4_381 Depth=4
	v_or_b32_e32 v21, 0x10000, v1
	v_cmp_eq_u32_sdwa vcc, v1, v42 src0_sel:WORD_0 src1_sel:DWORD
	v_cndmask_b32_e32 v29, v21, v1, vcc
; %bb.410:                              ;   in Loop: Header=BB4_381 Depth=4
	s_or_b64 exec, exec, s[60:61]
	v_and_b32_e32 v1, 0xffff0000, v23
	v_and_b32_e32 v21, 0xffff0000, v19
	v_max_f32_e32 v21, v21, v21
	v_max_f32_e32 v1, v1, v1
	v_min_f32_e32 v23, v1, v21
	v_max_f32_e32 v1, v1, v21
	v_cndmask_b32_e64 v1, v1, v23, s[28:29]
	v_and_b32_e32 v21, 0x7f800000, v1
	v_cmp_ne_u32_e32 vcc, s91, v21
                                        ; implicit-def: $vgpr23
	s_and_saveexec_b64 s[60:61], vcc
	s_xor_b64 vcc, exec, s[60:61]
; %bb.411:                              ;   in Loop: Header=BB4_381 Depth=4
	v_bfe_u32 v21, v1, 16, 1
	v_add3_u32 v23, v1, v21, s92
                                        ; implicit-def: $vgpr1
; %bb.412:                              ;   in Loop: Header=BB4_381 Depth=4
	s_andn2_saveexec_b64 s[60:61], vcc
; %bb.413:                              ;   in Loop: Header=BB4_381 Depth=4
	v_or_b32_e32 v21, 0x10000, v1
	v_cmp_eq_u32_sdwa vcc, v1, v42 src0_sel:WORD_0 src1_sel:DWORD
	v_cndmask_b32_e32 v23, v21, v1, vcc
; %bb.414:                              ;   in Loop: Header=BB4_381 Depth=4
	s_or_b64 exec, exec, s[60:61]
	v_lshlrev_b32_e32 v1, 16, v12
	v_lshlrev_b32_e32 v21, 16, v8
	v_max_f32_e32 v21, v21, v21
	v_max_f32_e32 v1, v1, v1
	v_min_f32_e32 v53, v1, v21
	v_max_f32_e32 v1, v1, v21
	v_cndmask_b32_e64 v1, v1, v53, s[28:29]
	v_and_b32_e32 v21, 0x7f800000, v1
	v_cmp_ne_u32_e32 vcc, s91, v21
                                        ; implicit-def: $vgpr58
	s_and_saveexec_b64 s[60:61], vcc
	s_xor_b64 vcc, exec, s[60:61]
; %bb.415:                              ;   in Loop: Header=BB4_381 Depth=4
	v_bfe_u32 v21, v1, 16, 1
	v_add3_u32 v58, v1, v21, s92
                                        ; implicit-def: $vgpr1
; %bb.416:                              ;   in Loop: Header=BB4_381 Depth=4
	s_andn2_saveexec_b64 s[60:61], vcc
; %bb.417:                              ;   in Loop: Header=BB4_381 Depth=4
	v_or_b32_e32 v21, 0x10000, v1
	v_cmp_eq_u32_sdwa vcc, v1, v42 src0_sel:WORD_0 src1_sel:DWORD
	v_cndmask_b32_e32 v58, v21, v1, vcc
; %bb.418:                              ;   in Loop: Header=BB4_381 Depth=4
	s_or_b64 exec, exec, s[60:61]
	v_and_b32_e32 v1, 0xffff0000, v12
	v_and_b32_e32 v12, 0xffff0000, v8
	v_max_f32_e32 v12, v12, v12
	v_max_f32_e32 v1, v1, v1
	v_min_f32_e32 v21, v1, v12
	v_max_f32_e32 v1, v1, v12
	v_cndmask_b32_e64 v1, v1, v21, s[28:29]
	v_and_b32_e32 v12, 0x7f800000, v1
	v_cmp_ne_u32_e32 vcc, s91, v12
                                        ; implicit-def: $vgpr12
	s_and_saveexec_b64 s[60:61], vcc
	s_xor_b64 vcc, exec, s[60:61]
; %bb.419:                              ;   in Loop: Header=BB4_381 Depth=4
	v_bfe_u32 v12, v1, 16, 1
	v_add3_u32 v12, v1, v12, s92
                                        ; implicit-def: $vgpr1
; %bb.420:                              ;   in Loop: Header=BB4_381 Depth=4
	s_andn2_saveexec_b64 s[60:61], vcc
; %bb.421:                              ;   in Loop: Header=BB4_381 Depth=4
	v_or_b32_e32 v12, 0x10000, v1
	v_cmp_eq_u32_sdwa vcc, v1, v42 src0_sel:WORD_0 src1_sel:DWORD
	v_cndmask_b32_e32 v12, v12, v1, vcc
; %bb.422:                              ;   in Loop: Header=BB4_381 Depth=4
	s_or_b64 exec, exec, s[60:61]
	v_lshlrev_b32_e32 v1, 16, v13
	v_lshlrev_b32_e32 v21, 16, v9
	v_max_f32_e32 v21, v21, v21
	v_max_f32_e32 v1, v1, v1
	v_min_f32_e32 v53, v1, v21
	v_max_f32_e32 v1, v1, v21
	v_cndmask_b32_e64 v1, v1, v53, s[28:29]
	v_and_b32_e32 v21, 0x7f800000, v1
	v_cmp_ne_u32_e32 vcc, s91, v21
                                        ; implicit-def: $vgpr59
	s_and_saveexec_b64 s[60:61], vcc
	s_xor_b64 vcc, exec, s[60:61]
; %bb.423:                              ;   in Loop: Header=BB4_381 Depth=4
	v_bfe_u32 v21, v1, 16, 1
	v_add3_u32 v59, v1, v21, s92
                                        ; implicit-def: $vgpr1
; %bb.424:                              ;   in Loop: Header=BB4_381 Depth=4
	s_andn2_saveexec_b64 s[60:61], vcc
; %bb.425:                              ;   in Loop: Header=BB4_381 Depth=4
	v_or_b32_e32 v21, 0x10000, v1
	v_cmp_eq_u32_sdwa vcc, v1, v42 src0_sel:WORD_0 src1_sel:DWORD
	v_cndmask_b32_e32 v59, v21, v1, vcc
; %bb.426:                              ;   in Loop: Header=BB4_381 Depth=4
	s_or_b64 exec, exec, s[60:61]
	v_and_b32_e32 v1, 0xffff0000, v13
	v_and_b32_e32 v13, 0xffff0000, v9
	v_max_f32_e32 v13, v13, v13
	v_max_f32_e32 v1, v1, v1
	v_min_f32_e32 v21, v1, v13
	v_max_f32_e32 v1, v1, v13
	v_cndmask_b32_e64 v1, v1, v21, s[28:29]
	v_and_b32_e32 v13, 0x7f800000, v1
	v_cmp_ne_u32_e32 vcc, s91, v13
                                        ; implicit-def: $vgpr13
	s_and_saveexec_b64 s[60:61], vcc
	s_xor_b64 vcc, exec, s[60:61]
; %bb.427:                              ;   in Loop: Header=BB4_381 Depth=4
	v_bfe_u32 v13, v1, 16, 1
	v_add3_u32 v13, v1, v13, s92
                                        ; implicit-def: $vgpr1
; %bb.428:                              ;   in Loop: Header=BB4_381 Depth=4
	s_andn2_saveexec_b64 s[60:61], vcc
; %bb.429:                              ;   in Loop: Header=BB4_381 Depth=4
	v_or_b32_e32 v13, 0x10000, v1
	v_cmp_eq_u32_sdwa vcc, v1, v42 src0_sel:WORD_0 src1_sel:DWORD
	v_cndmask_b32_e32 v13, v13, v1, vcc
; %bb.430:                              ;   in Loop: Header=BB4_381 Depth=4
	s_or_b64 exec, exec, s[60:61]
	v_lshlrev_b32_e32 v1, 16, v14
	v_lshlrev_b32_e32 v21, 16, v10
	v_max_f32_e32 v21, v21, v21
	v_max_f32_e32 v1, v1, v1
	v_min_f32_e32 v53, v1, v21
	v_max_f32_e32 v1, v1, v21
	v_cndmask_b32_e64 v1, v1, v53, s[28:29]
	v_and_b32_e32 v21, 0x7f800000, v1
	v_cmp_ne_u32_e32 vcc, s91, v21
                                        ; implicit-def: $vgpr53
	s_and_saveexec_b64 s[60:61], vcc
	s_xor_b64 vcc, exec, s[60:61]
; %bb.431:                              ;   in Loop: Header=BB4_381 Depth=4
	v_bfe_u32 v21, v1, 16, 1
	v_add3_u32 v53, v1, v21, s92
                                        ; implicit-def: $vgpr1
; %bb.432:                              ;   in Loop: Header=BB4_381 Depth=4
	s_andn2_saveexec_b64 s[60:61], vcc
; %bb.433:                              ;   in Loop: Header=BB4_381 Depth=4
	v_or_b32_e32 v21, 0x10000, v1
	v_cmp_eq_u32_sdwa vcc, v1, v42 src0_sel:WORD_0 src1_sel:DWORD
	v_cndmask_b32_e32 v53, v21, v1, vcc
; %bb.434:                              ;   in Loop: Header=BB4_381 Depth=4
	s_or_b64 exec, exec, s[60:61]
	v_and_b32_e32 v1, 0xffff0000, v14
	v_and_b32_e32 v14, 0xffff0000, v10
	v_max_f32_e32 v14, v14, v14
	v_max_f32_e32 v1, v1, v1
	v_min_f32_e32 v21, v1, v14
	v_max_f32_e32 v1, v1, v14
	v_cndmask_b32_e64 v1, v1, v21, s[28:29]
	v_and_b32_e32 v14, 0x7f800000, v1
	v_cmp_ne_u32_e32 vcc, s91, v14
                                        ; implicit-def: $vgpr14
	s_and_saveexec_b64 s[60:61], vcc
	s_xor_b64 vcc, exec, s[60:61]
; %bb.435:                              ;   in Loop: Header=BB4_381 Depth=4
	v_bfe_u32 v14, v1, 16, 1
	v_add3_u32 v14, v1, v14, s92
                                        ; implicit-def: $vgpr1
; %bb.436:                              ;   in Loop: Header=BB4_381 Depth=4
	s_andn2_saveexec_b64 s[60:61], vcc
; %bb.437:                              ;   in Loop: Header=BB4_381 Depth=4
	v_or_b32_e32 v14, 0x10000, v1
	v_cmp_eq_u32_sdwa vcc, v1, v42 src0_sel:WORD_0 src1_sel:DWORD
	v_cndmask_b32_e32 v14, v14, v1, vcc
; %bb.438:                              ;   in Loop: Header=BB4_381 Depth=4
	s_or_b64 exec, exec, s[60:61]
	v_lshlrev_b32_e32 v1, 16, v15
	v_lshlrev_b32_e32 v21, 16, v11
	v_max_f32_e32 v21, v21, v21
	v_max_f32_e32 v1, v1, v1
	v_min_f32_e32 v55, v1, v21
	v_max_f32_e32 v1, v1, v21
	v_cndmask_b32_e64 v21, v1, v55, s[28:29]
	v_and_b32_e32 v1, 0x7f800000, v21
	v_cmp_ne_u32_e32 vcc, s91, v1
                                        ; implicit-def: $vgpr1
	s_and_saveexec_b64 s[60:61], vcc
	s_xor_b64 vcc, exec, s[60:61]
; %bb.439:                              ;   in Loop: Header=BB4_381 Depth=4
	v_bfe_u32 v1, v21, 16, 1
	v_add3_u32 v1, v21, v1, s92
                                        ; implicit-def: $vgpr21
; %bb.440:                              ;   in Loop: Header=BB4_381 Depth=4
	s_andn2_saveexec_b64 s[60:61], vcc
; %bb.441:                              ;   in Loop: Header=BB4_381 Depth=4
	v_or_b32_e32 v1, 0x10000, v21
	v_cmp_eq_u32_sdwa vcc, v21, v42 src0_sel:WORD_0 src1_sel:DWORD
	v_cndmask_b32_e32 v1, v1, v21, vcc
; %bb.442:                              ;   in Loop: Header=BB4_381 Depth=4
	s_or_b64 exec, exec, s[60:61]
	v_and_b32_e32 v15, 0xffff0000, v15
	v_and_b32_e32 v21, 0xffff0000, v11
	v_max_f32_e32 v21, v21, v21
	v_max_f32_e32 v15, v15, v15
	v_min_f32_e32 v55, v15, v21
	v_max_f32_e32 v15, v15, v21
	v_cndmask_b32_e64 v21, v15, v55, s[28:29]
	v_and_b32_e32 v15, 0x7f800000, v21
	v_cmp_ne_u32_e32 vcc, s91, v15
                                        ; implicit-def: $vgpr15
	s_and_saveexec_b64 s[60:61], vcc
	s_xor_b64 vcc, exec, s[60:61]
; %bb.443:                              ;   in Loop: Header=BB4_381 Depth=4
	v_bfe_u32 v15, v21, 16, 1
	v_add3_u32 v15, v21, v15, s92
                                        ; implicit-def: $vgpr21
; %bb.444:                              ;   in Loop: Header=BB4_381 Depth=4
	s_andn2_saveexec_b64 s[60:61], vcc
; %bb.445:                              ;   in Loop: Header=BB4_381 Depth=4
	v_or_b32_e32 v15, 0x10000, v21
	v_cmp_eq_u32_sdwa vcc, v21, v42 src0_sel:WORD_0 src1_sel:DWORD
	v_cndmask_b32_e32 v15, v15, v21, vcc
; %bb.446:                              ;   in Loop: Header=BB4_381 Depth=4
	s_or_b64 exec, exec, s[60:61]
	v_lshrrev_b32_e32 v2, 16, v2
	v_and_or_b32 v21, v3, s93, v2
	v_lshrrev_b32_e32 v2, 16, v43
	v_and_or_b32 v20, v20, s93, v2
	;; [unrolled: 2-line block ×5, first 2 shown]
	v_lshrrev_b32_e32 v2, 16, v58
	v_lshrrev_b32_e32 v1, 16, v1
	v_and_or_b32 v12, v12, s93, v2
	v_lshrrev_b32_e32 v2, 16, v53
	v_and_or_b32 v15, v15, s93, v1
	v_accvgpr_read_b32 v1, a41
	v_and_or_b32 v14, v14, s93, v2
	global_store_dwordx4 v[30:31], v[20:23], off glc slc
	global_store_dwordx4 v[30:31], v[12:15], off offset:1024 glc slc
	v_add_co_u32_e32 v30, vcc, v30, v1
	v_accvgpr_read_b32 v1, a43
	v_addc_co_u32_e32 v31, vcc, v31, v1, vcc
.LBB4_447:                              ;   in Loop: Header=BB4_381 Depth=4
	s_or_b64 exec, exec, s[62:63]
	v_accvgpr_read_b32 v1, a41
	v_add_co_u32_e32 v56, vcc, v56, v1
	v_accvgpr_read_b32 v2, a43
	v_addc_co_u32_e32 v57, vcc, v57, v2, vcc
	v_add_co_u32_e32 v4, vcc, v4, v1
	v_sub_u32_e32 v0, v0, v28
	v_addc_co_u32_e32 v5, vcc, v5, v2, vcc
	v_cmp_lt_i32_e64 s[60:61], 0, v0
	s_and_saveexec_b64 s[62:63], s[60:61]
	s_cbranch_execz .LBB4_449
; %bb.448:                              ;   in Loop: Header=BB4_381 Depth=4
	global_load_dwordx4 v[20:23], v[56:57], off glc slc
	global_load_dwordx4 v[12:15], v[56:57], off offset:1024 glc slc
	global_load_dwordx4 v[16:19], v[4:5], off glc slc
	global_load_dwordx4 v[8:11], v[4:5], off offset:1024 glc slc
	v_add_co_u32_e32 v56, vcc, s79, v56
	v_addc_co_u32_e32 v57, vcc, 0, v57, vcc
	v_add_co_u32_e32 v4, vcc, 0x800, v4
	v_addc_co_u32_e32 v5, vcc, 0, v5, vcc
.LBB4_449:                              ;   in Loop: Header=BB4_381 Depth=4
	s_or_b64 exec, exec, s[62:63]
	s_waitcnt vmcnt(0)
	v_lshlrev_b32_e32 v1, 16, v36
	v_lshlrev_b32_e32 v2, 16, v48
	v_max_f32_e32 v2, v2, v2
	v_max_f32_e32 v1, v1, v1
	v_min_f32_e32 v3, v1, v2
	v_max_f32_e32 v1, v1, v2
	v_cndmask_b32_e64 v1, v1, v3, s[28:29]
	v_and_b32_e32 v2, 0x7f800000, v1
	v_cmp_ne_u32_e32 vcc, s91, v2
                                        ; implicit-def: $vgpr43
	s_and_saveexec_b64 s[62:63], vcc
	s_xor_b64 vcc, exec, s[62:63]
; %bb.450:                              ;   in Loop: Header=BB4_381 Depth=4
	v_bfe_u32 v2, v1, 16, 1
	v_add3_u32 v43, v1, v2, s92
                                        ; implicit-def: $vgpr1
; %bb.451:                              ;   in Loop: Header=BB4_381 Depth=4
	s_andn2_saveexec_b64 s[62:63], vcc
; %bb.452:                              ;   in Loop: Header=BB4_381 Depth=4
	v_or_b32_e32 v2, 0x10000, v1
	v_cmp_eq_u32_sdwa vcc, v1, v42 src0_sel:WORD_0 src1_sel:DWORD
	v_cndmask_b32_e32 v43, v2, v1, vcc
; %bb.453:                              ;   in Loop: Header=BB4_381 Depth=4
	s_or_b64 exec, exec, s[62:63]
	v_and_b32_e32 v1, 0xffff0000, v36
	v_and_b32_e32 v2, 0xffff0000, v48
	v_max_f32_e32 v2, v2, v2
	v_max_f32_e32 v1, v1, v1
	v_min_f32_e32 v3, v1, v2
	v_max_f32_e32 v1, v1, v2
	v_cndmask_b32_e64 v1, v1, v3, s[28:29]
	v_and_b32_e32 v2, 0x7f800000, v1
	v_cmp_ne_u32_e32 vcc, s91, v2
                                        ; implicit-def: $vgpr36
	s_and_saveexec_b64 s[62:63], vcc
	s_xor_b64 vcc, exec, s[62:63]
; %bb.454:                              ;   in Loop: Header=BB4_381 Depth=4
	v_bfe_u32 v2, v1, 16, 1
	v_add3_u32 v36, v1, v2, s92
                                        ; implicit-def: $vgpr1
; %bb.455:                              ;   in Loop: Header=BB4_381 Depth=4
	s_andn2_saveexec_b64 s[62:63], vcc
; %bb.456:                              ;   in Loop: Header=BB4_381 Depth=4
	v_or_b32_e32 v2, 0x10000, v1
	v_cmp_eq_u32_sdwa vcc, v1, v42 src0_sel:WORD_0 src1_sel:DWORD
	v_cndmask_b32_e32 v36, v2, v1, vcc
; %bb.457:                              ;   in Loop: Header=BB4_381 Depth=4
	s_or_b64 exec, exec, s[62:63]
	v_lshlrev_b32_e32 v1, 16, v37
	v_lshlrev_b32_e32 v2, 16, v49
	v_max_f32_e32 v2, v2, v2
	v_max_f32_e32 v1, v1, v1
	v_min_f32_e32 v3, v1, v2
	v_max_f32_e32 v1, v1, v2
	v_cndmask_b32_e64 v1, v1, v3, s[28:29]
	v_and_b32_e32 v2, 0x7f800000, v1
	v_cmp_ne_u32_e32 vcc, s91, v2
                                        ; implicit-def: $vgpr2
	s_and_saveexec_b64 s[62:63], vcc
	s_xor_b64 vcc, exec, s[62:63]
; %bb.458:                              ;   in Loop: Header=BB4_381 Depth=4
	v_bfe_u32 v2, v1, 16, 1
	v_add3_u32 v2, v1, v2, s92
                                        ; implicit-def: $vgpr1
; %bb.459:                              ;   in Loop: Header=BB4_381 Depth=4
	s_andn2_saveexec_b64 s[62:63], vcc
; %bb.460:                              ;   in Loop: Header=BB4_381 Depth=4
	v_or_b32_e32 v2, 0x10000, v1
	v_cmp_eq_u32_sdwa vcc, v1, v42 src0_sel:WORD_0 src1_sel:DWORD
	v_cndmask_b32_e32 v2, v2, v1, vcc
; %bb.461:                              ;   in Loop: Header=BB4_381 Depth=4
	s_or_b64 exec, exec, s[62:63]
	v_and_b32_e32 v1, 0xffff0000, v37
	v_and_b32_e32 v3, 0xffff0000, v49
	v_max_f32_e32 v3, v3, v3
	v_max_f32_e32 v1, v1, v1
	v_min_f32_e32 v6, v1, v3
	v_max_f32_e32 v1, v1, v3
	v_cndmask_b32_e64 v1, v1, v6, s[28:29]
	v_and_b32_e32 v3, 0x7f800000, v1
	v_cmp_ne_u32_e32 vcc, s91, v3
                                        ; implicit-def: $vgpr3
	s_and_saveexec_b64 s[62:63], vcc
	s_xor_b64 vcc, exec, s[62:63]
; %bb.462:                              ;   in Loop: Header=BB4_381 Depth=4
	v_bfe_u32 v3, v1, 16, 1
	v_add3_u32 v3, v1, v3, s92
                                        ; implicit-def: $vgpr1
; %bb.463:                              ;   in Loop: Header=BB4_381 Depth=4
	s_andn2_saveexec_b64 s[62:63], vcc
; %bb.464:                              ;   in Loop: Header=BB4_381 Depth=4
	v_or_b32_e32 v3, 0x10000, v1
	v_cmp_eq_u32_sdwa vcc, v1, v42 src0_sel:WORD_0 src1_sel:DWORD
	v_cndmask_b32_e32 v3, v3, v1, vcc
; %bb.465:                              ;   in Loop: Header=BB4_381 Depth=4
	s_or_b64 exec, exec, s[62:63]
	v_lshlrev_b32_e32 v1, 16, v38
	v_lshlrev_b32_e32 v6, 16, v50
	v_max_f32_e32 v6, v6, v6
	v_max_f32_e32 v1, v1, v1
	v_min_f32_e32 v29, v1, v6
	v_max_f32_e32 v1, v1, v6
	v_cndmask_b32_e64 v1, v1, v29, s[28:29]
	v_and_b32_e32 v6, 0x7f800000, v1
	v_cmp_ne_u32_e32 vcc, s91, v6
                                        ; implicit-def: $vgpr6
	s_and_saveexec_b64 s[62:63], vcc
	s_xor_b64 vcc, exec, s[62:63]
; %bb.466:                              ;   in Loop: Header=BB4_381 Depth=4
	v_bfe_u32 v6, v1, 16, 1
	v_add3_u32 v6, v1, v6, s92
                                        ; implicit-def: $vgpr1
; %bb.467:                              ;   in Loop: Header=BB4_381 Depth=4
	s_andn2_saveexec_b64 s[62:63], vcc
; %bb.468:                              ;   in Loop: Header=BB4_381 Depth=4
	v_or_b32_e32 v6, 0x10000, v1
	v_cmp_eq_u32_sdwa vcc, v1, v42 src0_sel:WORD_0 src1_sel:DWORD
	v_cndmask_b32_e32 v6, v6, v1, vcc
; %bb.469:                              ;   in Loop: Header=BB4_381 Depth=4
	s_or_b64 exec, exec, s[62:63]
	v_and_b32_e32 v1, 0xffff0000, v38
	v_and_b32_e32 v29, 0xffff0000, v50
	v_max_f32_e32 v29, v29, v29
	v_max_f32_e32 v1, v1, v1
	v_min_f32_e32 v37, v1, v29
	v_max_f32_e32 v1, v1, v29
	v_cndmask_b32_e64 v1, v1, v37, s[28:29]
	v_and_b32_e32 v29, 0x7f800000, v1
	v_cmp_ne_u32_e32 vcc, s91, v29
                                        ; implicit-def: $vgpr37
	s_and_saveexec_b64 s[62:63], vcc
	s_xor_b64 vcc, exec, s[62:63]
; %bb.470:                              ;   in Loop: Header=BB4_381 Depth=4
	v_bfe_u32 v29, v1, 16, 1
	v_add3_u32 v37, v1, v29, s92
                                        ; implicit-def: $vgpr1
; %bb.471:                              ;   in Loop: Header=BB4_381 Depth=4
	s_andn2_saveexec_b64 s[62:63], vcc
; %bb.472:                              ;   in Loop: Header=BB4_381 Depth=4
	v_or_b32_e32 v29, 0x10000, v1
	v_cmp_eq_u32_sdwa vcc, v1, v42 src0_sel:WORD_0 src1_sel:DWORD
	v_cndmask_b32_e32 v37, v29, v1, vcc
; %bb.473:                              ;   in Loop: Header=BB4_381 Depth=4
	s_or_b64 exec, exec, s[62:63]
	v_lshlrev_b32_e32 v1, 16, v39
	v_lshlrev_b32_e32 v29, 16, v51
	v_max_f32_e32 v29, v29, v29
	v_max_f32_e32 v1, v1, v1
	v_min_f32_e32 v38, v1, v29
	v_max_f32_e32 v1, v1, v29
	v_cndmask_b32_e64 v1, v1, v38, s[28:29]
	v_and_b32_e32 v29, 0x7f800000, v1
	v_cmp_ne_u32_e32 vcc, s91, v29
                                        ; implicit-def: $vgpr29
	s_and_saveexec_b64 s[62:63], vcc
	s_xor_b64 vcc, exec, s[62:63]
; %bb.474:                              ;   in Loop: Header=BB4_381 Depth=4
	v_bfe_u32 v29, v1, 16, 1
	v_add3_u32 v29, v1, v29, s92
                                        ; implicit-def: $vgpr1
; %bb.475:                              ;   in Loop: Header=BB4_381 Depth=4
	s_andn2_saveexec_b64 s[62:63], vcc
; %bb.476:                              ;   in Loop: Header=BB4_381 Depth=4
	v_or_b32_e32 v29, 0x10000, v1
	v_cmp_eq_u32_sdwa vcc, v1, v42 src0_sel:WORD_0 src1_sel:DWORD
	v_cndmask_b32_e32 v29, v29, v1, vcc
; %bb.477:                              ;   in Loop: Header=BB4_381 Depth=4
	s_or_b64 exec, exec, s[62:63]
	v_and_b32_e32 v1, 0xffff0000, v39
	v_and_b32_e32 v38, 0xffff0000, v51
	v_max_f32_e32 v38, v38, v38
	v_max_f32_e32 v1, v1, v1
	v_min_f32_e32 v39, v1, v38
	v_max_f32_e32 v1, v1, v38
	v_cndmask_b32_e64 v1, v1, v39, s[28:29]
	v_and_b32_e32 v38, 0x7f800000, v1
	v_cmp_ne_u32_e32 vcc, s91, v38
                                        ; implicit-def: $vgpr38
	s_and_saveexec_b64 s[62:63], vcc
	s_xor_b64 vcc, exec, s[62:63]
; %bb.478:                              ;   in Loop: Header=BB4_381 Depth=4
	v_bfe_u32 v38, v1, 16, 1
	v_add3_u32 v38, v1, v38, s92
                                        ; implicit-def: $vgpr1
; %bb.479:                              ;   in Loop: Header=BB4_381 Depth=4
	s_andn2_saveexec_b64 s[62:63], vcc
; %bb.480:                              ;   in Loop: Header=BB4_381 Depth=4
	v_or_b32_e32 v38, 0x10000, v1
	v_cmp_eq_u32_sdwa vcc, v1, v42 src0_sel:WORD_0 src1_sel:DWORD
	v_cndmask_b32_e32 v38, v38, v1, vcc
; %bb.481:                              ;   in Loop: Header=BB4_381 Depth=4
	s_or_b64 exec, exec, s[62:63]
	v_lshlrev_b32_e32 v1, 16, v24
	v_lshlrev_b32_e32 v39, 16, v32
	v_max_f32_e32 v39, v39, v39
	v_max_f32_e32 v1, v1, v1
	v_min_f32_e32 v48, v1, v39
	v_max_f32_e32 v1, v1, v39
	v_cndmask_b32_e64 v1, v1, v48, s[28:29]
	v_and_b32_e32 v39, 0x7f800000, v1
	v_cmp_ne_u32_e32 vcc, s91, v39
                                        ; implicit-def: $vgpr39
	s_and_saveexec_b64 s[62:63], vcc
	s_xor_b64 vcc, exec, s[62:63]
; %bb.482:                              ;   in Loop: Header=BB4_381 Depth=4
	v_bfe_u32 v39, v1, 16, 1
	v_add3_u32 v39, v1, v39, s92
                                        ; implicit-def: $vgpr1
; %bb.483:                              ;   in Loop: Header=BB4_381 Depth=4
	s_andn2_saveexec_b64 s[62:63], vcc
; %bb.484:                              ;   in Loop: Header=BB4_381 Depth=4
	v_or_b32_e32 v39, 0x10000, v1
	v_cmp_eq_u32_sdwa vcc, v1, v42 src0_sel:WORD_0 src1_sel:DWORD
	v_cndmask_b32_e32 v39, v39, v1, vcc
; %bb.485:                              ;   in Loop: Header=BB4_381 Depth=4
	s_or_b64 exec, exec, s[62:63]
	v_and_b32_e32 v1, 0xffff0000, v24
	v_and_b32_e32 v24, 0xffff0000, v32
	v_max_f32_e32 v24, v24, v24
	v_max_f32_e32 v1, v1, v1
	v_min_f32_e32 v32, v1, v24
	v_max_f32_e32 v1, v1, v24
	v_cndmask_b32_e64 v1, v1, v32, s[28:29]
	v_and_b32_e32 v24, 0x7f800000, v1
	v_cmp_ne_u32_e32 vcc, s91, v24
                                        ; implicit-def: $vgpr24
	s_and_saveexec_b64 s[62:63], vcc
	s_xor_b64 vcc, exec, s[62:63]
; %bb.486:                              ;   in Loop: Header=BB4_381 Depth=4
	v_bfe_u32 v24, v1, 16, 1
	v_add3_u32 v24, v1, v24, s92
                                        ; implicit-def: $vgpr1
; %bb.487:                              ;   in Loop: Header=BB4_381 Depth=4
	s_andn2_saveexec_b64 s[62:63], vcc
; %bb.488:                              ;   in Loop: Header=BB4_381 Depth=4
	v_or_b32_e32 v24, 0x10000, v1
	v_cmp_eq_u32_sdwa vcc, v1, v42 src0_sel:WORD_0 src1_sel:DWORD
	v_cndmask_b32_e32 v24, v24, v1, vcc
; %bb.489:                              ;   in Loop: Header=BB4_381 Depth=4
	s_or_b64 exec, exec, s[62:63]
	v_lshlrev_b32_e32 v1, 16, v25
	v_lshlrev_b32_e32 v32, 16, v33
	v_max_f32_e32 v32, v32, v32
	v_max_f32_e32 v1, v1, v1
	v_min_f32_e32 v48, v1, v32
	v_max_f32_e32 v1, v1, v32
	v_cndmask_b32_e64 v1, v1, v48, s[28:29]
	v_and_b32_e32 v32, 0x7f800000, v1
	v_cmp_ne_u32_e32 vcc, s91, v32
                                        ; implicit-def: $vgpr32
	s_and_saveexec_b64 s[62:63], vcc
	s_xor_b64 vcc, exec, s[62:63]
; %bb.490:                              ;   in Loop: Header=BB4_381 Depth=4
	v_bfe_u32 v32, v1, 16, 1
	v_add3_u32 v32, v1, v32, s92
                                        ; implicit-def: $vgpr1
; %bb.491:                              ;   in Loop: Header=BB4_381 Depth=4
	s_andn2_saveexec_b64 s[62:63], vcc
; %bb.492:                              ;   in Loop: Header=BB4_381 Depth=4
	v_or_b32_e32 v32, 0x10000, v1
	v_cmp_eq_u32_sdwa vcc, v1, v42 src0_sel:WORD_0 src1_sel:DWORD
	v_cndmask_b32_e32 v32, v32, v1, vcc
; %bb.493:                              ;   in Loop: Header=BB4_381 Depth=4
	s_or_b64 exec, exec, s[62:63]
	v_and_b32_e32 v1, 0xffff0000, v25
	v_and_b32_e32 v25, 0xffff0000, v33
	v_max_f32_e32 v25, v25, v25
	v_max_f32_e32 v1, v1, v1
	v_min_f32_e32 v33, v1, v25
	v_max_f32_e32 v1, v1, v25
	v_cndmask_b32_e64 v1, v1, v33, s[28:29]
	v_and_b32_e32 v25, 0x7f800000, v1
	v_cmp_ne_u32_e32 vcc, s91, v25
                                        ; implicit-def: $vgpr25
	s_and_saveexec_b64 s[62:63], vcc
	s_xor_b64 vcc, exec, s[62:63]
; %bb.494:                              ;   in Loop: Header=BB4_381 Depth=4
	v_bfe_u32 v25, v1, 16, 1
	v_add3_u32 v25, v1, v25, s92
                                        ; implicit-def: $vgpr1
; %bb.495:                              ;   in Loop: Header=BB4_381 Depth=4
	s_andn2_saveexec_b64 s[62:63], vcc
; %bb.496:                              ;   in Loop: Header=BB4_381 Depth=4
	v_or_b32_e32 v25, 0x10000, v1
	v_cmp_eq_u32_sdwa vcc, v1, v42 src0_sel:WORD_0 src1_sel:DWORD
	v_cndmask_b32_e32 v25, v25, v1, vcc
; %bb.497:                              ;   in Loop: Header=BB4_381 Depth=4
	s_or_b64 exec, exec, s[62:63]
	v_lshlrev_b32_e32 v1, 16, v26
	v_lshlrev_b32_e32 v33, 16, v34
	v_max_f32_e32 v33, v33, v33
	v_max_f32_e32 v1, v1, v1
	v_min_f32_e32 v48, v1, v33
	v_max_f32_e32 v1, v1, v33
	v_cndmask_b32_e64 v1, v1, v48, s[28:29]
	v_and_b32_e32 v33, 0x7f800000, v1
	v_cmp_ne_u32_e32 vcc, s91, v33
                                        ; implicit-def: $vgpr33
	s_and_saveexec_b64 s[62:63], vcc
	s_xor_b64 vcc, exec, s[62:63]
; %bb.498:                              ;   in Loop: Header=BB4_381 Depth=4
	v_bfe_u32 v33, v1, 16, 1
	v_add3_u32 v33, v1, v33, s92
                                        ; implicit-def: $vgpr1
; %bb.499:                              ;   in Loop: Header=BB4_381 Depth=4
	s_andn2_saveexec_b64 s[62:63], vcc
; %bb.500:                              ;   in Loop: Header=BB4_381 Depth=4
	v_or_b32_e32 v33, 0x10000, v1
	v_cmp_eq_u32_sdwa vcc, v1, v42 src0_sel:WORD_0 src1_sel:DWORD
	v_cndmask_b32_e32 v33, v33, v1, vcc
; %bb.501:                              ;   in Loop: Header=BB4_381 Depth=4
	s_or_b64 exec, exec, s[62:63]
	v_and_b32_e32 v1, 0xffff0000, v26
	v_and_b32_e32 v26, 0xffff0000, v34
	v_max_f32_e32 v26, v26, v26
	v_max_f32_e32 v1, v1, v1
	v_min_f32_e32 v34, v1, v26
	v_max_f32_e32 v1, v1, v26
	v_cndmask_b32_e64 v1, v1, v34, s[28:29]
	v_and_b32_e32 v26, 0x7f800000, v1
	v_cmp_ne_u32_e32 vcc, s91, v26
                                        ; implicit-def: $vgpr26
	s_and_saveexec_b64 s[62:63], vcc
	s_xor_b64 vcc, exec, s[62:63]
; %bb.502:                              ;   in Loop: Header=BB4_381 Depth=4
	v_bfe_u32 v26, v1, 16, 1
	v_add3_u32 v26, v1, v26, s92
                                        ; implicit-def: $vgpr1
; %bb.503:                              ;   in Loop: Header=BB4_381 Depth=4
	s_andn2_saveexec_b64 s[62:63], vcc
; %bb.504:                              ;   in Loop: Header=BB4_381 Depth=4
	v_or_b32_e32 v26, 0x10000, v1
	v_cmp_eq_u32_sdwa vcc, v1, v42 src0_sel:WORD_0 src1_sel:DWORD
	v_cndmask_b32_e32 v26, v26, v1, vcc
; %bb.505:                              ;   in Loop: Header=BB4_381 Depth=4
	s_or_b64 exec, exec, s[62:63]
	v_lshlrev_b32_e32 v1, 16, v27
	v_lshlrev_b32_e32 v34, 16, v35
	v_max_f32_e32 v34, v34, v34
	v_max_f32_e32 v1, v1, v1
	v_min_f32_e32 v48, v1, v34
	v_max_f32_e32 v1, v1, v34
	v_cndmask_b32_e64 v34, v1, v48, s[28:29]
	v_and_b32_e32 v1, 0x7f800000, v34
	v_cmp_ne_u32_e32 vcc, s91, v1
                                        ; implicit-def: $vgpr1
	s_and_saveexec_b64 s[62:63], vcc
	s_xor_b64 vcc, exec, s[62:63]
; %bb.506:                              ;   in Loop: Header=BB4_381 Depth=4
	v_bfe_u32 v1, v34, 16, 1
	v_add3_u32 v1, v34, v1, s92
                                        ; implicit-def: $vgpr34
; %bb.507:                              ;   in Loop: Header=BB4_381 Depth=4
	s_andn2_saveexec_b64 s[62:63], vcc
; %bb.508:                              ;   in Loop: Header=BB4_381 Depth=4
	v_or_b32_e32 v1, 0x10000, v34
	v_cmp_eq_u32_sdwa vcc, v34, v42 src0_sel:WORD_0 src1_sel:DWORD
	v_cndmask_b32_e32 v1, v1, v34, vcc
; %bb.509:                              ;   in Loop: Header=BB4_381 Depth=4
	s_or_b64 exec, exec, s[62:63]
	v_and_b32_e32 v27, 0xffff0000, v27
	v_and_b32_e32 v34, 0xffff0000, v35
	v_max_f32_e32 v34, v34, v34
	v_max_f32_e32 v27, v27, v27
	v_min_f32_e32 v35, v27, v34
	v_max_f32_e32 v27, v27, v34
	v_cndmask_b32_e64 v34, v27, v35, s[28:29]
	v_and_b32_e32 v27, 0x7f800000, v34
	v_cmp_ne_u32_e32 vcc, s91, v27
                                        ; implicit-def: $vgpr27
	s_and_saveexec_b64 s[62:63], vcc
	s_xor_b64 vcc, exec, s[62:63]
; %bb.510:                              ;   in Loop: Header=BB4_381 Depth=4
	v_bfe_u32 v27, v34, 16, 1
	v_add3_u32 v27, v34, v27, s92
                                        ; implicit-def: $vgpr34
; %bb.511:                              ;   in Loop: Header=BB4_381 Depth=4
	s_andn2_saveexec_b64 s[62:63], vcc
	s_cbranch_execz .LBB4_380
; %bb.512:                              ;   in Loop: Header=BB4_381 Depth=4
	v_or_b32_e32 v27, 0x10000, v34
	v_cmp_eq_u32_sdwa vcc, v34, v42 src0_sel:WORD_0 src1_sel:DWORD
	v_cndmask_b32_e32 v27, v27, v34, vcc
	s_branch .LBB4_380
.LBB4_513:                              ;   in Loop: Header=BB4_305 Depth=3
	s_mov_b64 s[58:59], 0
                                        ; implicit-def: $sgpr30
                                        ; implicit-def: $vgpr12
	s_andn2_b64 vcc, exec, s[28:29]
	s_cbranch_vccz .LBB4_378
.LBB4_514:                              ;   in Loop: Header=BB4_305 Depth=3
	v_mov_b32_e32 v16, s30
	v_accvgpr_read_b32 v17, a35
	v_accvgpr_read_b32 v4, a29
	s_and_saveexec_b64 s[36:37], s[58:59]
	s_cbranch_execnz .LBB4_698
	s_branch .LBB4_759
.LBB4_515:                              ;   in Loop: Header=BB4_305 Depth=3
	s_or_b64 exec, exec, s[34:35]
	v_accvgpr_read_b32 v49, a13
	v_accvgpr_read_b32 v35, a11
	;; [unrolled: 1-line block ×3, first 2 shown]
	s_and_b64 s[28:29], s[36:37], exec
	v_accvgpr_read_b32 v48, a12
	v_accvgpr_read_b32 v39, a3
	;; [unrolled: 1-line block ×6, first 2 shown]
	v_mov_b32_e32 v27, 0x100
	v_mov_b32_e32 v29, 0x80
	v_accvgpr_read_b32 v32, a0
	v_accvgpr_read_b32 v34, a10
	;; [unrolled: 1-line block ×6, first 2 shown]
.LBB4_516:                              ;   in Loop: Header=BB4_305 Depth=3
	s_or_b64 exec, exec, s[30:31]
	s_and_saveexec_b64 s[30:31], s[28:29]
	s_cbranch_execz .LBB4_582
; %bb.517:                              ;   in Loop: Header=BB4_305 Depth=3
	v_lshlrev_b32_e32 v1, 16, v20
	v_lshlrev_b32_e32 v2, 16, v16
	v_max_f32_e32 v2, v2, v2
	v_max_f32_e32 v1, v1, v1
	v_min_f32_e32 v3, v1, v2
	v_max_f32_e32 v1, v1, v2
	v_cmp_eq_u16_e32 vcc, 0, v37
	v_cndmask_b32_e32 v1, v1, v3, vcc
	v_and_b32_e32 v2, 0x7f800000, v1
	v_cmp_ne_u32_e64 s[28:29], s91, v2
                                        ; implicit-def: $vgpr4
	s_and_saveexec_b64 s[34:35], s[28:29]
	s_xor_b64 s[28:29], exec, s[34:35]
; %bb.518:                              ;   in Loop: Header=BB4_305 Depth=3
	v_bfe_u32 v2, v1, 16, 1
	v_add3_u32 v4, v1, v2, s92
                                        ; implicit-def: $vgpr1
; %bb.519:                              ;   in Loop: Header=BB4_305 Depth=3
	s_andn2_saveexec_b64 s[34:35], s[28:29]
; %bb.520:                              ;   in Loop: Header=BB4_305 Depth=3
	v_or_b32_e32 v2, 0x10000, v1
	v_cmp_eq_u32_sdwa s[28:29], v1, v42 src0_sel:WORD_0 src1_sel:DWORD
	v_cndmask_b32_e64 v4, v2, v1, s[28:29]
; %bb.521:                              ;   in Loop: Header=BB4_305 Depth=3
	s_or_b64 exec, exec, s[34:35]
	v_and_b32_e32 v1, 0xffff0000, v20
	v_and_b32_e32 v2, 0xffff0000, v16
	v_max_f32_e32 v2, v2, v2
	v_max_f32_e32 v1, v1, v1
	v_min_f32_e32 v3, v1, v2
	v_max_f32_e32 v1, v1, v2
	v_cndmask_b32_e32 v1, v1, v3, vcc
	v_and_b32_e32 v2, 0x7f800000, v1
	v_cmp_ne_u32_e64 s[28:29], s91, v2
                                        ; implicit-def: $vgpr5
	s_and_saveexec_b64 s[34:35], s[28:29]
	s_xor_b64 s[28:29], exec, s[34:35]
; %bb.522:                              ;   in Loop: Header=BB4_305 Depth=3
	v_bfe_u32 v2, v1, 16, 1
	v_add3_u32 v5, v1, v2, s92
                                        ; implicit-def: $vgpr1
; %bb.523:                              ;   in Loop: Header=BB4_305 Depth=3
	s_andn2_saveexec_b64 s[34:35], s[28:29]
; %bb.524:                              ;   in Loop: Header=BB4_305 Depth=3
	v_or_b32_e32 v2, 0x10000, v1
	v_cmp_eq_u32_sdwa s[28:29], v1, v42 src0_sel:WORD_0 src1_sel:DWORD
	v_cndmask_b32_e64 v5, v2, v1, s[28:29]
; %bb.525:                              ;   in Loop: Header=BB4_305 Depth=3
	s_or_b64 exec, exec, s[34:35]
	v_lshlrev_b32_e32 v1, 16, v21
	v_lshlrev_b32_e32 v2, 16, v17
	v_max_f32_e32 v2, v2, v2
	v_max_f32_e32 v1, v1, v1
	v_min_f32_e32 v3, v1, v2
	v_max_f32_e32 v1, v1, v2
	v_cndmask_b32_e32 v1, v1, v3, vcc
	v_and_b32_e32 v2, 0x7f800000, v1
	v_cmp_ne_u32_e64 s[28:29], s91, v2
                                        ; implicit-def: $vgpr2
	s_and_saveexec_b64 s[34:35], s[28:29]
	s_xor_b64 s[28:29], exec, s[34:35]
; %bb.526:                              ;   in Loop: Header=BB4_305 Depth=3
	v_bfe_u32 v2, v1, 16, 1
	v_add3_u32 v2, v1, v2, s92
                                        ; implicit-def: $vgpr1
; %bb.527:                              ;   in Loop: Header=BB4_305 Depth=3
	s_andn2_saveexec_b64 s[34:35], s[28:29]
; %bb.528:                              ;   in Loop: Header=BB4_305 Depth=3
	v_or_b32_e32 v2, 0x10000, v1
	v_cmp_eq_u32_sdwa s[28:29], v1, v42 src0_sel:WORD_0 src1_sel:DWORD
	v_cndmask_b32_e64 v2, v2, v1, s[28:29]
; %bb.529:                              ;   in Loop: Header=BB4_305 Depth=3
	s_or_b64 exec, exec, s[34:35]
	v_and_b32_e32 v1, 0xffff0000, v21
	v_and_b32_e32 v3, 0xffff0000, v17
	v_max_f32_e32 v3, v3, v3
	v_max_f32_e32 v1, v1, v1
	v_min_f32_e32 v6, v1, v3
	v_max_f32_e32 v1, v1, v3
	v_cndmask_b32_e32 v1, v1, v6, vcc
	v_and_b32_e32 v3, 0x7f800000, v1
	v_cmp_ne_u32_e64 s[28:29], s91, v3
                                        ; implicit-def: $vgpr3
	s_and_saveexec_b64 s[34:35], s[28:29]
	s_xor_b64 s[28:29], exec, s[34:35]
; %bb.530:                              ;   in Loop: Header=BB4_305 Depth=3
	v_bfe_u32 v3, v1, 16, 1
	v_add3_u32 v3, v1, v3, s92
                                        ; implicit-def: $vgpr1
; %bb.531:                              ;   in Loop: Header=BB4_305 Depth=3
	s_andn2_saveexec_b64 s[34:35], s[28:29]
; %bb.532:                              ;   in Loop: Header=BB4_305 Depth=3
	v_or_b32_e32 v3, 0x10000, v1
	v_cmp_eq_u32_sdwa s[28:29], v1, v42 src0_sel:WORD_0 src1_sel:DWORD
	v_cndmask_b32_e64 v3, v3, v1, s[28:29]
; %bb.533:                              ;   in Loop: Header=BB4_305 Depth=3
	s_or_b64 exec, exec, s[34:35]
	v_lshlrev_b32_e32 v1, 16, v22
	v_lshlrev_b32_e32 v6, 16, v18
	v_max_f32_e32 v6, v6, v6
	v_max_f32_e32 v1, v1, v1
	v_min_f32_e32 v16, v1, v6
	v_max_f32_e32 v1, v1, v6
	v_cndmask_b32_e32 v1, v1, v16, vcc
	v_and_b32_e32 v6, 0x7f800000, v1
	v_cmp_ne_u32_e64 s[28:29], s91, v6
                                        ; implicit-def: $vgpr6
	s_and_saveexec_b64 s[34:35], s[28:29]
	s_xor_b64 s[28:29], exec, s[34:35]
; %bb.534:                              ;   in Loop: Header=BB4_305 Depth=3
	v_bfe_u32 v6, v1, 16, 1
	v_add3_u32 v6, v1, v6, s92
                                        ; implicit-def: $vgpr1
; %bb.535:                              ;   in Loop: Header=BB4_305 Depth=3
	s_andn2_saveexec_b64 s[34:35], s[28:29]
; %bb.536:                              ;   in Loop: Header=BB4_305 Depth=3
	v_or_b32_e32 v6, 0x10000, v1
	v_cmp_eq_u32_sdwa s[28:29], v1, v42 src0_sel:WORD_0 src1_sel:DWORD
	v_cndmask_b32_e64 v6, v6, v1, s[28:29]
; %bb.537:                              ;   in Loop: Header=BB4_305 Depth=3
	s_or_b64 exec, exec, s[34:35]
	v_and_b32_e32 v1, 0xffff0000, v22
	v_and_b32_e32 v16, 0xffff0000, v18
	v_max_f32_e32 v16, v16, v16
	v_max_f32_e32 v1, v1, v1
	v_min_f32_e32 v17, v1, v16
	v_max_f32_e32 v1, v1, v16
	v_cndmask_b32_e32 v1, v1, v17, vcc
	v_and_b32_e32 v16, 0x7f800000, v1
	v_cmp_ne_u32_e64 s[28:29], s91, v16
                                        ; implicit-def: $vgpr16
	s_and_saveexec_b64 s[34:35], s[28:29]
	s_xor_b64 s[28:29], exec, s[34:35]
; %bb.538:                              ;   in Loop: Header=BB4_305 Depth=3
	v_bfe_u32 v16, v1, 16, 1
	v_add3_u32 v16, v1, v16, s92
                                        ; implicit-def: $vgpr1
; %bb.539:                              ;   in Loop: Header=BB4_305 Depth=3
	s_andn2_saveexec_b64 s[34:35], s[28:29]
; %bb.540:                              ;   in Loop: Header=BB4_305 Depth=3
	v_or_b32_e32 v16, 0x10000, v1
	v_cmp_eq_u32_sdwa s[28:29], v1, v42 src0_sel:WORD_0 src1_sel:DWORD
	v_cndmask_b32_e64 v16, v16, v1, s[28:29]
; %bb.541:                              ;   in Loop: Header=BB4_305 Depth=3
	s_or_b64 exec, exec, s[34:35]
	v_lshlrev_b32_e32 v1, 16, v23
	v_lshlrev_b32_e32 v17, 16, v19
	v_max_f32_e32 v17, v17, v17
	v_max_f32_e32 v1, v1, v1
	v_min_f32_e32 v18, v1, v17
	v_max_f32_e32 v1, v1, v17
	v_cndmask_b32_e32 v1, v1, v18, vcc
	v_and_b32_e32 v17, 0x7f800000, v1
	v_cmp_ne_u32_e64 s[28:29], s91, v17
                                        ; implicit-def: $vgpr17
	s_and_saveexec_b64 s[34:35], s[28:29]
	s_xor_b64 s[28:29], exec, s[34:35]
; %bb.542:                              ;   in Loop: Header=BB4_305 Depth=3
	v_bfe_u32 v17, v1, 16, 1
	v_add3_u32 v17, v1, v17, s92
                                        ; implicit-def: $vgpr1
; %bb.543:                              ;   in Loop: Header=BB4_305 Depth=3
	s_andn2_saveexec_b64 s[34:35], s[28:29]
; %bb.544:                              ;   in Loop: Header=BB4_305 Depth=3
	v_or_b32_e32 v17, 0x10000, v1
	v_cmp_eq_u32_sdwa s[28:29], v1, v42 src0_sel:WORD_0 src1_sel:DWORD
	v_cndmask_b32_e64 v17, v17, v1, s[28:29]
; %bb.545:                              ;   in Loop: Header=BB4_305 Depth=3
	s_or_b64 exec, exec, s[34:35]
	v_and_b32_e32 v1, 0xffff0000, v23
	v_and_b32_e32 v18, 0xffff0000, v19
	v_max_f32_e32 v18, v18, v18
	v_max_f32_e32 v1, v1, v1
	v_min_f32_e32 v19, v1, v18
	v_max_f32_e32 v1, v1, v18
	v_cndmask_b32_e32 v1, v1, v19, vcc
	v_and_b32_e32 v18, 0x7f800000, v1
	v_cmp_ne_u32_e64 s[28:29], s91, v18
                                        ; implicit-def: $vgpr18
	s_and_saveexec_b64 s[34:35], s[28:29]
	s_xor_b64 s[28:29], exec, s[34:35]
; %bb.546:                              ;   in Loop: Header=BB4_305 Depth=3
	v_bfe_u32 v18, v1, 16, 1
	v_add3_u32 v18, v1, v18, s92
                                        ; implicit-def: $vgpr1
; %bb.547:                              ;   in Loop: Header=BB4_305 Depth=3
	s_andn2_saveexec_b64 s[34:35], s[28:29]
; %bb.548:                              ;   in Loop: Header=BB4_305 Depth=3
	v_or_b32_e32 v18, 0x10000, v1
	v_cmp_eq_u32_sdwa s[28:29], v1, v42 src0_sel:WORD_0 src1_sel:DWORD
	v_cndmask_b32_e64 v18, v18, v1, s[28:29]
; %bb.549:                              ;   in Loop: Header=BB4_305 Depth=3
	s_or_b64 exec, exec, s[34:35]
	v_lshlrev_b32_e32 v1, 16, v12
	v_lshlrev_b32_e32 v19, 16, v8
	v_max_f32_e32 v19, v19, v19
	v_max_f32_e32 v1, v1, v1
	v_min_f32_e32 v20, v1, v19
	v_max_f32_e32 v1, v1, v19
	v_cndmask_b32_e32 v1, v1, v20, vcc
	v_and_b32_e32 v19, 0x7f800000, v1
	v_cmp_ne_u32_e64 s[28:29], s91, v19
                                        ; implicit-def: $vgpr19
	s_and_saveexec_b64 s[34:35], s[28:29]
	s_xor_b64 s[28:29], exec, s[34:35]
; %bb.550:                              ;   in Loop: Header=BB4_305 Depth=3
	v_bfe_u32 v19, v1, 16, 1
	v_add3_u32 v19, v1, v19, s92
                                        ; implicit-def: $vgpr1
; %bb.551:                              ;   in Loop: Header=BB4_305 Depth=3
	s_andn2_saveexec_b64 s[34:35], s[28:29]
; %bb.552:                              ;   in Loop: Header=BB4_305 Depth=3
	v_or_b32_e32 v19, 0x10000, v1
	v_cmp_eq_u32_sdwa s[28:29], v1, v42 src0_sel:WORD_0 src1_sel:DWORD
	v_cndmask_b32_e64 v19, v19, v1, s[28:29]
; %bb.553:                              ;   in Loop: Header=BB4_305 Depth=3
	s_or_b64 exec, exec, s[34:35]
	v_and_b32_e32 v1, 0xffff0000, v12
	v_and_b32_e32 v8, 0xffff0000, v8
	v_max_f32_e32 v8, v8, v8
	v_max_f32_e32 v1, v1, v1
	v_min_f32_e32 v12, v1, v8
	v_max_f32_e32 v1, v1, v8
	v_cndmask_b32_e32 v1, v1, v12, vcc
	v_and_b32_e32 v8, 0x7f800000, v1
	v_cmp_ne_u32_e64 s[28:29], s91, v8
                                        ; implicit-def: $vgpr8
	s_and_saveexec_b64 s[34:35], s[28:29]
	s_xor_b64 s[28:29], exec, s[34:35]
; %bb.554:                              ;   in Loop: Header=BB4_305 Depth=3
	v_bfe_u32 v8, v1, 16, 1
	v_add3_u32 v8, v1, v8, s92
                                        ; implicit-def: $vgpr1
; %bb.555:                              ;   in Loop: Header=BB4_305 Depth=3
	s_andn2_saveexec_b64 s[34:35], s[28:29]
; %bb.556:                              ;   in Loop: Header=BB4_305 Depth=3
	v_or_b32_e32 v8, 0x10000, v1
	v_cmp_eq_u32_sdwa s[28:29], v1, v42 src0_sel:WORD_0 src1_sel:DWORD
	v_cndmask_b32_e64 v8, v8, v1, s[28:29]
; %bb.557:                              ;   in Loop: Header=BB4_305 Depth=3
	s_or_b64 exec, exec, s[34:35]
	v_lshlrev_b32_e32 v1, 16, v13
	v_lshlrev_b32_e32 v12, 16, v9
	v_max_f32_e32 v12, v12, v12
	v_max_f32_e32 v1, v1, v1
	v_min_f32_e32 v20, v1, v12
	v_max_f32_e32 v1, v1, v12
	v_cndmask_b32_e32 v1, v1, v20, vcc
	v_and_b32_e32 v12, 0x7f800000, v1
	v_cmp_ne_u32_e64 s[28:29], s91, v12
                                        ; implicit-def: $vgpr12
	s_and_saveexec_b64 s[34:35], s[28:29]
	s_xor_b64 s[28:29], exec, s[34:35]
; %bb.558:                              ;   in Loop: Header=BB4_305 Depth=3
	v_bfe_u32 v12, v1, 16, 1
	v_add3_u32 v12, v1, v12, s92
                                        ; implicit-def: $vgpr1
; %bb.559:                              ;   in Loop: Header=BB4_305 Depth=3
	s_andn2_saveexec_b64 s[34:35], s[28:29]
; %bb.560:                              ;   in Loop: Header=BB4_305 Depth=3
	v_or_b32_e32 v12, 0x10000, v1
	v_cmp_eq_u32_sdwa s[28:29], v1, v42 src0_sel:WORD_0 src1_sel:DWORD
	v_cndmask_b32_e64 v12, v12, v1, s[28:29]
; %bb.561:                              ;   in Loop: Header=BB4_305 Depth=3
	s_or_b64 exec, exec, s[34:35]
	v_and_b32_e32 v1, 0xffff0000, v13
	v_and_b32_e32 v9, 0xffff0000, v9
	v_max_f32_e32 v9, v9, v9
	v_max_f32_e32 v1, v1, v1
	v_min_f32_e32 v13, v1, v9
	v_max_f32_e32 v1, v1, v9
	v_cndmask_b32_e32 v1, v1, v13, vcc
	v_and_b32_e32 v9, 0x7f800000, v1
	v_cmp_ne_u32_e64 s[28:29], s91, v9
                                        ; implicit-def: $vgpr9
	s_and_saveexec_b64 s[34:35], s[28:29]
	s_xor_b64 s[28:29], exec, s[34:35]
; %bb.562:                              ;   in Loop: Header=BB4_305 Depth=3
	v_bfe_u32 v9, v1, 16, 1
	v_add3_u32 v9, v1, v9, s92
                                        ; implicit-def: $vgpr1
; %bb.563:                              ;   in Loop: Header=BB4_305 Depth=3
	s_andn2_saveexec_b64 s[34:35], s[28:29]
; %bb.564:                              ;   in Loop: Header=BB4_305 Depth=3
	v_or_b32_e32 v9, 0x10000, v1
	v_cmp_eq_u32_sdwa s[28:29], v1, v42 src0_sel:WORD_0 src1_sel:DWORD
	v_cndmask_b32_e64 v9, v9, v1, s[28:29]
; %bb.565:                              ;   in Loop: Header=BB4_305 Depth=3
	s_or_b64 exec, exec, s[34:35]
	v_lshlrev_b32_e32 v1, 16, v14
	v_lshlrev_b32_e32 v13, 16, v10
	v_max_f32_e32 v13, v13, v13
	v_max_f32_e32 v1, v1, v1
	v_min_f32_e32 v20, v1, v13
	v_max_f32_e32 v1, v1, v13
	v_cndmask_b32_e32 v1, v1, v20, vcc
	v_and_b32_e32 v13, 0x7f800000, v1
	v_cmp_ne_u32_e64 s[28:29], s91, v13
                                        ; implicit-def: $vgpr13
	s_and_saveexec_b64 s[34:35], s[28:29]
	s_xor_b64 s[28:29], exec, s[34:35]
; %bb.566:                              ;   in Loop: Header=BB4_305 Depth=3
	v_bfe_u32 v13, v1, 16, 1
	v_add3_u32 v13, v1, v13, s92
                                        ; implicit-def: $vgpr1
; %bb.567:                              ;   in Loop: Header=BB4_305 Depth=3
	s_andn2_saveexec_b64 s[34:35], s[28:29]
; %bb.568:                              ;   in Loop: Header=BB4_305 Depth=3
	v_or_b32_e32 v13, 0x10000, v1
	v_cmp_eq_u32_sdwa s[28:29], v1, v42 src0_sel:WORD_0 src1_sel:DWORD
	v_cndmask_b32_e64 v13, v13, v1, s[28:29]
; %bb.569:                              ;   in Loop: Header=BB4_305 Depth=3
	s_or_b64 exec, exec, s[34:35]
	v_and_b32_e32 v1, 0xffff0000, v14
	v_and_b32_e32 v10, 0xffff0000, v10
	v_max_f32_e32 v10, v10, v10
	v_max_f32_e32 v1, v1, v1
	v_min_f32_e32 v14, v1, v10
	v_max_f32_e32 v1, v1, v10
	v_cndmask_b32_e32 v1, v1, v14, vcc
	v_and_b32_e32 v10, 0x7f800000, v1
	v_cmp_ne_u32_e64 s[28:29], s91, v10
                                        ; implicit-def: $vgpr10
	s_and_saveexec_b64 s[34:35], s[28:29]
	s_xor_b64 s[28:29], exec, s[34:35]
; %bb.570:                              ;   in Loop: Header=BB4_305 Depth=3
	v_bfe_u32 v10, v1, 16, 1
	v_add3_u32 v10, v1, v10, s92
                                        ; implicit-def: $vgpr1
; %bb.571:                              ;   in Loop: Header=BB4_305 Depth=3
	s_andn2_saveexec_b64 s[34:35], s[28:29]
; %bb.572:                              ;   in Loop: Header=BB4_305 Depth=3
	v_or_b32_e32 v10, 0x10000, v1
	v_cmp_eq_u32_sdwa s[28:29], v1, v42 src0_sel:WORD_0 src1_sel:DWORD
	v_cndmask_b32_e64 v10, v10, v1, s[28:29]
; %bb.573:                              ;   in Loop: Header=BB4_305 Depth=3
	s_or_b64 exec, exec, s[34:35]
	v_lshlrev_b32_e32 v1, 16, v15
	v_lshlrev_b32_e32 v14, 16, v11
	v_max_f32_e32 v14, v14, v14
	v_max_f32_e32 v1, v1, v1
	v_min_f32_e32 v20, v1, v14
	v_max_f32_e32 v1, v1, v14
	v_cndmask_b32_e32 v14, v1, v20, vcc
	v_and_b32_e32 v1, 0x7f800000, v14
	v_cmp_ne_u32_e64 s[28:29], s91, v1
                                        ; implicit-def: $vgpr1
	s_and_saveexec_b64 s[34:35], s[28:29]
	s_xor_b64 s[28:29], exec, s[34:35]
; %bb.574:                              ;   in Loop: Header=BB4_305 Depth=3
	v_bfe_u32 v1, v14, 16, 1
	v_add3_u32 v1, v14, v1, s92
                                        ; implicit-def: $vgpr14
; %bb.575:                              ;   in Loop: Header=BB4_305 Depth=3
	s_andn2_saveexec_b64 s[34:35], s[28:29]
; %bb.576:                              ;   in Loop: Header=BB4_305 Depth=3
	v_or_b32_e32 v1, 0x10000, v14
	v_cmp_eq_u32_sdwa s[28:29], v14, v42 src0_sel:WORD_0 src1_sel:DWORD
	v_cndmask_b32_e64 v1, v1, v14, s[28:29]
; %bb.577:                              ;   in Loop: Header=BB4_305 Depth=3
	s_or_b64 exec, exec, s[34:35]
	v_and_b32_e32 v14, 0xffff0000, v15
	v_and_b32_e32 v11, 0xffff0000, v11
	v_max_f32_e32 v11, v11, v11
	v_max_f32_e32 v14, v14, v14
	v_min_f32_e32 v15, v14, v11
	v_max_f32_e32 v11, v14, v11
	v_cndmask_b32_e32 v14, v11, v15, vcc
	v_and_b32_e32 v11, 0x7f800000, v14
	v_cmp_ne_u32_e32 vcc, s91, v11
                                        ; implicit-def: $vgpr11
	s_and_saveexec_b64 s[28:29], vcc
	s_xor_b64 s[28:29], exec, s[28:29]
; %bb.578:                              ;   in Loop: Header=BB4_305 Depth=3
	v_bfe_u32 v11, v14, 16, 1
	v_add3_u32 v11, v14, v11, s92
                                        ; implicit-def: $vgpr14
; %bb.579:                              ;   in Loop: Header=BB4_305 Depth=3
	s_andn2_saveexec_b64 s[28:29], s[28:29]
; %bb.580:                              ;   in Loop: Header=BB4_305 Depth=3
	v_or_b32_e32 v11, 0x10000, v14
	v_cmp_eq_u32_sdwa vcc, v14, v42 src0_sel:WORD_0 src1_sel:DWORD
	v_cndmask_b32_e32 v11, v11, v14, vcc
; %bb.581:                              ;   in Loop: Header=BB4_305 Depth=3
	s_or_b64 exec, exec, s[28:29]
	v_lshrrev_b32_e32 v2, 16, v2
	v_and_or_b32 v3, v3, s93, v2
	v_lshrrev_b32_e32 v2, 16, v4
	v_lshrrev_b32_e32 v4, 16, v6
	;; [unrolled: 1-line block ×3, first 2 shown]
	v_and_or_b32 v2, v5, s93, v2
	v_lshrrev_b32_e32 v5, 16, v17
	v_and_or_b32 v9, v9, s93, v6
	v_lshrrev_b32_e32 v6, 16, v19
	v_and_or_b32 v4, v16, s93, v4
	v_and_or_b32 v5, v18, s93, v5
	;; [unrolled: 1-line block ×3, first 2 shown]
	v_lshrrev_b32_e32 v6, 16, v13
	v_lshrrev_b32_e32 v1, 16, v1
	v_and_or_b32 v10, v10, s93, v6
	v_and_or_b32 v11, v11, s93, v1
	global_store_dwordx4 v[30:31], v[2:5], off glc slc
	global_store_dwordx4 v[30:31], v[8:11], off offset:1024 glc slc
.LBB4_582:                              ;   in Loop: Header=BB4_305 Depth=3
	s_or_b64 exec, exec, s[30:31]
	v_accvgpr_read_b32 v1, a6
	v_lshlrev_b32_e32 v10, 11, v1
	v_cmp_ne_u32_e32 vcc, v36, v10
                                        ; implicit-def: $vgpr16
                                        ; implicit-def: $vgpr17
                                        ; implicit-def: $vgpr12
                                        ; implicit-def: $vgpr4
	s_and_saveexec_b64 s[60:61], vcc
	s_cbranch_execz .LBB4_697
; %bb.583:                              ;   in Loop: Header=BB4_305 Depth=3
	v_lshlrev_b32_e32 v0, 6, v0
	v_accvgpr_read_b32 v2, a35
	v_sub_u32_e32 v0, v2, v0
	v_ashrrev_i32_e32 v2, 31, v0
	v_lshrrev_b32_e32 v2, 26, v2
	v_add_u32_e32 v2, v0, v2
	v_ashrrev_i32_e32 v3, 6, v2
	v_and_b32_e32 v2, 0xffffffc0, v2
	v_sub_u32_e32 v12, v0, v2
	v_lshlrev_b32_e32 v0, 4, v12
	v_sub_u32_e32 v1, v36, v10
	v_lshl_add_u32 v0, v3, 10, v0
	v_add_u32_e32 v4, v0, v10
	v_sub_u32_e32 v16, v1, v0
	v_ashrrev_i32_e32 v0, 31, v1
	v_lshrrev_b32_e32 v0, 22, v0
	v_add_u32_e32 v0, v1, v0
	v_and_b32_e32 v13, 0xfffffc00, v0
	v_sub_u32_e32 v14, v1, v13
	v_ashrrev_i32_e32 v2, 10, v0
	v_cmp_lt_i32_e64 s[28:29], 15, v14
	v_addc_co_u32_e64 v0, vcc, 0, v2, s[28:29]
	v_ashrrev_i32_e32 v5, 31, v4
	v_add_co_u32_e32 v2, vcc, v4, v56
	v_sub_u32_e32 v15, v0, v3
	v_addc_co_u32_e32 v3, vcc, v5, v57, vcc
	v_cmp_lt_i32_e32 vcc, 15, v16
	s_mov_b64 s[30:31], 0
	s_and_saveexec_b64 s[62:63], vcc
	s_cbranch_execz .LBB4_660
; %bb.584:                              ;   in Loop: Header=BB4_305 Depth=3
	s_trap 2
	ds_read_b128 v[18:21], v0
	v_cmp_eq_u16_e64 s[30:31], 0, v37
	s_mov_b64 s[68:69], 0
	s_mov_b64 s[64:65], 0
                                        ; implicit-def: $sgpr66_sgpr67
	s_waitcnt lgkmcnt(0)
	v_add_co_u32_e32 v0, vcc, v18, v4
	v_addc_co_u32_e32 v9, vcc, v19, v5, vcc
	v_add_co_u32_e32 v8, vcc, v20, v4
	v_addc_co_u32_e32 v11, vcc, v21, v5, vcc
	s_branch .LBB4_586
.LBB4_585:                              ;   in Loop: Header=BB4_586 Depth=4
	s_or_b64 exec, exec, s[34:35]
	v_cmp_gt_i32_e32 vcc, 16, v16
	s_or_b64 s[64:65], vcc, s[64:65]
	s_andn2_b64 vcc, s[66:67], exec
	s_and_b64 s[34:35], s[68:69], exec
	s_or_b64 s[66:67], vcc, s[34:35]
	s_andn2_b64 exec, exec, s[64:65]
	s_cbranch_execz .LBB4_659
.LBB4_586:                              ;   Parent Loop BB4_47 Depth=1
                                        ;     Parent Loop BB4_302 Depth=2
                                        ;       Parent Loop BB4_305 Depth=3
                                        ; =>      This Loop Header: Depth=4
                                        ;           Child Loop BB4_587 Depth 5
                                        ;           Child Loop BB4_624 Depth 5
	v_lshrrev_b32_e64 v1, 6, s33
	v_add_u32_e32 v1, 0xc0, v1
	s_mov_b64 s[70:71], -1
	s_mov_b64 s[72:73], 0
.LBB4_587:                              ;   Parent Loop BB4_47 Depth=1
                                        ;     Parent Loop BB4_302 Depth=2
                                        ;       Parent Loop BB4_305 Depth=3
                                        ;         Parent Loop BB4_586 Depth=4
                                        ; =>        This Inner Loop Header: Depth=5
	s_cmp_eq_u32 s72, 1
	s_cselect_b64 s[34:35], -1, 0
	v_cndmask_b32_e64 v5, v9, v11, s[34:35]
	v_cndmask_b32_e64 v4, v0, v8, s[34:35]
	global_load_dwordx4 v[18:21], v[4:5], off glc slc
	v_add_co_u32_e32 v4, vcc, s78, v4
	s_cmp_eq_u32 s72, 0
	v_addc_co_u32_e32 v5, vcc, 0, v5, vcc
	s_cselect_b64 vcc, -1, 0
	s_and_b64 s[36:37], exec, s[70:71]
	s_mov_b64 s[72:73], 1
	v_cndmask_b32_e64 v8, v8, v4, s[34:35]
	s_mov_b64 s[70:71], 0
	v_cndmask_b32_e32 v9, v9, v5, vcc
	v_cndmask_b32_e32 v0, v0, v4, vcc
	v_cndmask_b32_e64 v11, v11, v5, s[34:35]
	s_mov_b64 vcc, s[36:37]
	s_waitcnt vmcnt(0)
	buffer_store_dword v19, v1, s[0:3], 0 offen offset:4
	buffer_store_dword v18, v1, s[0:3], 0 offen
	buffer_store_dword v21, v1, s[0:3], 0 offen offset:12
	buffer_store_dword v20, v1, s[0:3], 0 offen offset:8
	v_mov_b32_e32 v1, v7
	s_cbranch_vccnz .LBB4_587
; %bb.588:                              ;   in Loop: Header=BB4_586 Depth=4
	s_and_saveexec_b64 s[34:35], s[68:69]
	s_cbranch_execz .LBB4_622
; %bb.589:                              ;   in Loop: Header=BB4_586 Depth=4
	buffer_load_dword v1, off, s[0:3], s33 offset:224
	buffer_load_dword v17, off, s[0:3], s33 offset:240
	;; [unrolled: 1-line block ×8, first 2 shown]
	s_waitcnt vmcnt(7)
	v_lshlrev_b32_e32 v4, 16, v1
	s_waitcnt vmcnt(6)
	v_lshlrev_b32_e32 v18, 16, v17
	v_max_f32_e32 v18, v18, v18
	v_max_f32_e32 v4, v4, v4
	v_min_f32_e32 v23, v4, v18
	v_max_f32_e32 v4, v4, v18
	v_cndmask_b32_e64 v18, v4, v23, s[30:31]
	v_and_b32_e32 v4, 0x7f800000, v18
	v_cmp_ne_u32_e32 vcc, s91, v4
                                        ; implicit-def: $vgpr4
	s_and_saveexec_b64 s[36:37], vcc
	s_xor_b64 vcc, exec, s[36:37]
; %bb.590:                              ;   in Loop: Header=BB4_586 Depth=4
	v_bfe_u32 v4, v18, 16, 1
	v_add3_u32 v4, v18, v4, s92
                                        ; implicit-def: $vgpr18
; %bb.591:                              ;   in Loop: Header=BB4_586 Depth=4
	s_andn2_saveexec_b64 s[36:37], vcc
; %bb.592:                              ;   in Loop: Header=BB4_586 Depth=4
	v_or_b32_e32 v4, 0x10000, v18
	v_cmp_eq_u32_sdwa vcc, v18, v42 src0_sel:WORD_0 src1_sel:DWORD
	v_cndmask_b32_e32 v4, v4, v18, vcc
; %bb.593:                              ;   in Loop: Header=BB4_586 Depth=4
	s_or_b64 exec, exec, s[36:37]
	v_and_b32_e32 v1, 0xffff0000, v1
	v_and_b32_e32 v17, 0xffff0000, v17
	v_max_f32_e32 v17, v17, v17
	v_max_f32_e32 v1, v1, v1
	v_min_f32_e32 v18, v1, v17
	v_max_f32_e32 v1, v1, v17
	v_cndmask_b32_e64 v1, v1, v18, s[30:31]
	v_and_b32_e32 v17, 0x7f800000, v1
	v_cmp_ne_u32_e32 vcc, s91, v17
                                        ; implicit-def: $vgpr17
	s_and_saveexec_b64 s[36:37], vcc
	s_xor_b64 vcc, exec, s[36:37]
; %bb.594:                              ;   in Loop: Header=BB4_586 Depth=4
	v_bfe_u32 v17, v1, 16, 1
	v_add3_u32 v17, v1, v17, s92
                                        ; implicit-def: $vgpr1
; %bb.595:                              ;   in Loop: Header=BB4_586 Depth=4
	s_andn2_saveexec_b64 s[36:37], vcc
; %bb.596:                              ;   in Loop: Header=BB4_586 Depth=4
	v_or_b32_e32 v17, 0x10000, v1
	v_cmp_eq_u32_sdwa vcc, v1, v42 src0_sel:WORD_0 src1_sel:DWORD
	v_cndmask_b32_e32 v17, v17, v1, vcc
; %bb.597:                              ;   in Loop: Header=BB4_586 Depth=4
	s_or_b64 exec, exec, s[36:37]
	s_waitcnt vmcnt(5)
	v_lshlrev_b32_e32 v1, 16, v21
	s_waitcnt vmcnt(2)
	v_lshlrev_b32_e32 v18, 16, v22
	v_max_f32_e32 v18, v18, v18
	v_max_f32_e32 v1, v1, v1
	v_min_f32_e32 v23, v1, v18
	v_max_f32_e32 v1, v1, v18
	v_cndmask_b32_e64 v1, v1, v23, s[30:31]
	v_and_b32_e32 v18, 0x7f800000, v1
	v_cmp_ne_u32_e32 vcc, s91, v18
                                        ; implicit-def: $vgpr18
	s_and_saveexec_b64 s[36:37], vcc
	s_xor_b64 vcc, exec, s[36:37]
; %bb.598:                              ;   in Loop: Header=BB4_586 Depth=4
	v_bfe_u32 v18, v1, 16, 1
	v_add3_u32 v18, v1, v18, s92
                                        ; implicit-def: $vgpr1
; %bb.599:                              ;   in Loop: Header=BB4_586 Depth=4
	s_andn2_saveexec_b64 s[36:37], vcc
; %bb.600:                              ;   in Loop: Header=BB4_586 Depth=4
	v_or_b32_e32 v18, 0x10000, v1
	v_cmp_eq_u32_sdwa vcc, v1, v42 src0_sel:WORD_0 src1_sel:DWORD
	v_cndmask_b32_e32 v18, v18, v1, vcc
; %bb.601:                              ;   in Loop: Header=BB4_586 Depth=4
	s_or_b64 exec, exec, s[36:37]
	v_and_b32_e32 v1, 0xffff0000, v21
	v_and_b32_e32 v21, 0xffff0000, v22
	v_max_f32_e32 v21, v21, v21
	v_max_f32_e32 v1, v1, v1
	v_min_f32_e32 v22, v1, v21
	v_max_f32_e32 v1, v1, v21
	v_cndmask_b32_e64 v1, v1, v22, s[30:31]
	v_and_b32_e32 v21, 0x7f800000, v1
	v_cmp_ne_u32_e32 vcc, s91, v21
                                        ; implicit-def: $vgpr21
	s_and_saveexec_b64 s[36:37], vcc
	s_xor_b64 vcc, exec, s[36:37]
; %bb.602:                              ;   in Loop: Header=BB4_586 Depth=4
	v_bfe_u32 v21, v1, 16, 1
	v_add3_u32 v21, v1, v21, s92
                                        ; implicit-def: $vgpr1
; %bb.603:                              ;   in Loop: Header=BB4_586 Depth=4
	s_andn2_saveexec_b64 s[36:37], vcc
; %bb.604:                              ;   in Loop: Header=BB4_586 Depth=4
	v_or_b32_e32 v21, 0x10000, v1
	v_cmp_eq_u32_sdwa vcc, v1, v42 src0_sel:WORD_0 src1_sel:DWORD
	v_cndmask_b32_e32 v21, v21, v1, vcc
; %bb.605:                              ;   in Loop: Header=BB4_586 Depth=4
	s_or_b64 exec, exec, s[36:37]
	v_lshlrev_b32_e32 v1, 16, v19
	s_waitcnt vmcnt(1)
	v_lshlrev_b32_e32 v22, 16, v20
	v_max_f32_e32 v22, v22, v22
	v_max_f32_e32 v1, v1, v1
	v_min_f32_e32 v23, v1, v22
	v_max_f32_e32 v1, v1, v22
	v_cndmask_b32_e64 v1, v1, v23, s[30:31]
	v_and_b32_e32 v22, 0x7f800000, v1
	v_cmp_ne_u32_e32 vcc, s91, v22
                                        ; implicit-def: $vgpr22
	s_and_saveexec_b64 s[36:37], vcc
	s_xor_b64 vcc, exec, s[36:37]
; %bb.606:                              ;   in Loop: Header=BB4_586 Depth=4
	v_bfe_u32 v22, v1, 16, 1
	v_add3_u32 v22, v1, v22, s92
                                        ; implicit-def: $vgpr1
; %bb.607:                              ;   in Loop: Header=BB4_586 Depth=4
	s_andn2_saveexec_b64 s[36:37], vcc
; %bb.608:                              ;   in Loop: Header=BB4_586 Depth=4
	v_or_b32_e32 v22, 0x10000, v1
	v_cmp_eq_u32_sdwa vcc, v1, v42 src0_sel:WORD_0 src1_sel:DWORD
	v_cndmask_b32_e32 v22, v22, v1, vcc
; %bb.609:                              ;   in Loop: Header=BB4_586 Depth=4
	s_or_b64 exec, exec, s[36:37]
	v_and_b32_e32 v1, 0xffff0000, v19
	v_and_b32_e32 v19, 0xffff0000, v20
	v_max_f32_e32 v19, v19, v19
	v_max_f32_e32 v1, v1, v1
	v_min_f32_e32 v20, v1, v19
	v_max_f32_e32 v1, v1, v19
	v_cndmask_b32_e64 v1, v1, v20, s[30:31]
	v_and_b32_e32 v19, 0x7f800000, v1
	v_cmp_ne_u32_e32 vcc, s91, v19
                                        ; implicit-def: $vgpr19
	s_and_saveexec_b64 s[36:37], vcc
	s_xor_b64 vcc, exec, s[36:37]
; %bb.610:                              ;   in Loop: Header=BB4_586 Depth=4
	v_bfe_u32 v19, v1, 16, 1
	v_add3_u32 v19, v1, v19, s92
                                        ; implicit-def: $vgpr1
; %bb.611:                              ;   in Loop: Header=BB4_586 Depth=4
	s_andn2_saveexec_b64 s[36:37], vcc
; %bb.612:                              ;   in Loop: Header=BB4_586 Depth=4
	v_or_b32_e32 v19, 0x10000, v1
	v_cmp_eq_u32_sdwa vcc, v1, v42 src0_sel:WORD_0 src1_sel:DWORD
	v_cndmask_b32_e32 v19, v19, v1, vcc
; %bb.613:                              ;   in Loop: Header=BB4_586 Depth=4
	s_or_b64 exec, exec, s[36:37]
	v_lshlrev_b32_e32 v1, 16, v5
	s_waitcnt vmcnt(0)
	v_lshlrev_b32_e32 v20, 16, v6
	v_max_f32_e32 v20, v20, v20
	v_max_f32_e32 v1, v1, v1
	v_min_f32_e32 v23, v1, v20
	v_max_f32_e32 v1, v1, v20
	v_cndmask_b32_e64 v20, v1, v23, s[30:31]
	v_and_b32_e32 v1, 0x7f800000, v20
	v_cmp_ne_u32_e32 vcc, s91, v1
                                        ; implicit-def: $vgpr1
	s_and_saveexec_b64 s[36:37], vcc
	s_xor_b64 vcc, exec, s[36:37]
; %bb.614:                              ;   in Loop: Header=BB4_586 Depth=4
	v_bfe_u32 v1, v20, 16, 1
	v_add3_u32 v1, v20, v1, s92
                                        ; implicit-def: $vgpr20
; %bb.615:                              ;   in Loop: Header=BB4_586 Depth=4
	s_andn2_saveexec_b64 s[36:37], vcc
; %bb.616:                              ;   in Loop: Header=BB4_586 Depth=4
	v_or_b32_e32 v1, 0x10000, v20
	v_cmp_eq_u32_sdwa vcc, v20, v42 src0_sel:WORD_0 src1_sel:DWORD
	v_cndmask_b32_e32 v1, v1, v20, vcc
; %bb.617:                              ;   in Loop: Header=BB4_586 Depth=4
	s_or_b64 exec, exec, s[36:37]
	v_and_b32_e32 v5, 0xffff0000, v5
	v_and_b32_e32 v6, 0xffff0000, v6
	v_max_f32_e32 v6, v6, v6
	v_max_f32_e32 v5, v5, v5
	v_min_f32_e32 v20, v5, v6
	v_max_f32_e32 v5, v5, v6
	v_cndmask_b32_e64 v6, v5, v20, s[30:31]
	v_and_b32_e32 v5, 0x7f800000, v6
	v_cmp_ne_u32_e32 vcc, s91, v5
                                        ; implicit-def: $vgpr5
	s_and_saveexec_b64 s[36:37], vcc
	s_xor_b64 vcc, exec, s[36:37]
; %bb.618:                              ;   in Loop: Header=BB4_586 Depth=4
	v_bfe_u32 v5, v6, 16, 1
	v_add3_u32 v5, v6, v5, s92
                                        ; implicit-def: $vgpr6
; %bb.619:                              ;   in Loop: Header=BB4_586 Depth=4
	s_andn2_saveexec_b64 s[36:37], vcc
; %bb.620:                              ;   in Loop: Header=BB4_586 Depth=4
	v_or_b32_e32 v5, 0x10000, v6
	v_cmp_eq_u32_sdwa vcc, v6, v42 src0_sel:WORD_0 src1_sel:DWORD
	v_cndmask_b32_e32 v5, v5, v6, vcc
; %bb.621:                              ;   in Loop: Header=BB4_586 Depth=4
	s_or_b64 exec, exec, s[36:37]
	v_lshrrev_b32_e32 v4, 16, v4
	v_lshrrev_b32_e32 v6, 16, v18
	v_and_or_b32 v20, v17, s93, v4
	v_lshrrev_b32_e32 v4, 16, v22
	v_lshrrev_b32_e32 v1, 16, v1
	v_and_or_b32 v21, v21, s93, v6
	v_and_or_b32 v22, v19, s93, v4
	;; [unrolled: 1-line block ×3, first 2 shown]
	v_accvgpr_read_b32 v1, a37
	buffer_store_dword v21, off, s[0:3], s33 offset:228
	buffer_store_dword v20, off, s[0:3], s33 offset:224
	;; [unrolled: 1-line block ×4, first 2 shown]
	global_store_dwordx4 v[2:3], v[20:23], off glc slc
	v_add_co_u32_e32 v2, vcc, v1, v2
	v_accvgpr_read_b32 v1, a38
	v_addc_co_u32_e32 v3, vcc, v1, v3, vcc
.LBB4_622:                              ;   in Loop: Header=BB4_586 Depth=4
	s_or_b64 exec, exec, s[34:35]
	v_accvgpr_read_b32 v4, a28
	v_add_co_u32_e32 v0, vcc, v0, v4
	v_accvgpr_read_b32 v1, a33
	v_addc_co_u32_e32 v9, vcc, v9, v1, vcc
	v_add_co_u32_e32 v8, vcc, v8, v4
	v_sub_u32_e32 v16, v16, v39
	v_addc_co_u32_e32 v11, vcc, v11, v1, vcc
	v_cmp_lt_i32_e64 s[68:69], 15, v16
	s_and_saveexec_b64 s[70:71], s[68:69]
	s_cbranch_execz .LBB4_625
; %bb.623:                              ;   in Loop: Header=BB4_586 Depth=4
	v_lshrrev_b32_e64 v1, 6, s33
	v_add_u32_e32 v1, 0xe0, v1
	s_mov_b64 s[74:75], 0
	s_mov_b64 s[72:73], -1
.LBB4_624:                              ;   Parent Loop BB4_47 Depth=1
                                        ;     Parent Loop BB4_302 Depth=2
                                        ;       Parent Loop BB4_305 Depth=3
                                        ;         Parent Loop BB4_586 Depth=4
                                        ; =>        This Inner Loop Header: Depth=5
	s_cmp_eq_u32 s74, 1
	s_cselect_b64 s[34:35], -1, 0
	v_cndmask_b32_e64 v5, v9, v11, s[34:35]
	v_cndmask_b32_e64 v4, v0, v8, s[34:35]
	global_load_dwordx4 v[18:21], v[4:5], off glc slc
	v_add_co_u32_e32 v4, vcc, s78, v4
	s_cmp_eq_u32 s74, 0
	v_addc_co_u32_e32 v5, vcc, 0, v5, vcc
	s_cselect_b64 vcc, -1, 0
	s_and_b64 s[36:37], exec, s[72:73]
	s_mov_b64 s[74:75], 1
	v_cndmask_b32_e64 v8, v8, v4, s[34:35]
	s_mov_b64 s[72:73], 0
	v_cndmask_b32_e32 v9, v9, v5, vcc
	v_cndmask_b32_e32 v0, v0, v4, vcc
	v_cndmask_b32_e64 v11, v11, v5, s[34:35]
	s_mov_b64 vcc, s[36:37]
	s_waitcnt vmcnt(0)
	buffer_store_dword v19, v1, s[0:3], 0 offen offset:4
	buffer_store_dword v18, v1, s[0:3], 0 offen
	buffer_store_dword v21, v1, s[0:3], 0 offen offset:12
	buffer_store_dword v20, v1, s[0:3], 0 offen offset:8
	v_mov_b32_e32 v1, v24
	s_cbranch_vccnz .LBB4_624
.LBB4_625:                              ;   in Loop: Header=BB4_586 Depth=4
	s_or_b64 exec, exec, s[70:71]
	buffer_load_dword v1, off, s[0:3], s33 offset:192
	buffer_load_dword v17, off, s[0:3], s33 offset:208
	;; [unrolled: 1-line block ×8, first 2 shown]
	s_waitcnt vmcnt(7)
	v_lshlrev_b32_e32 v4, 16, v1
	s_waitcnt vmcnt(6)
	v_lshlrev_b32_e32 v18, 16, v17
	v_max_f32_e32 v18, v18, v18
	v_max_f32_e32 v4, v4, v4
	v_min_f32_e32 v23, v4, v18
	v_max_f32_e32 v4, v4, v18
	v_cndmask_b32_e64 v18, v4, v23, s[30:31]
	v_and_b32_e32 v4, 0x7f800000, v18
	v_cmp_ne_u32_e32 vcc, s91, v4
                                        ; implicit-def: $vgpr4
	s_and_saveexec_b64 s[34:35], vcc
	s_xor_b64 vcc, exec, s[34:35]
; %bb.626:                              ;   in Loop: Header=BB4_586 Depth=4
	v_bfe_u32 v4, v18, 16, 1
	v_add3_u32 v4, v18, v4, s92
                                        ; implicit-def: $vgpr18
; %bb.627:                              ;   in Loop: Header=BB4_586 Depth=4
	s_andn2_saveexec_b64 s[34:35], vcc
; %bb.628:                              ;   in Loop: Header=BB4_586 Depth=4
	v_or_b32_e32 v4, 0x10000, v18
	v_cmp_eq_u32_sdwa vcc, v18, v42 src0_sel:WORD_0 src1_sel:DWORD
	v_cndmask_b32_e32 v4, v4, v18, vcc
; %bb.629:                              ;   in Loop: Header=BB4_586 Depth=4
	s_or_b64 exec, exec, s[34:35]
	v_and_b32_e32 v1, 0xffff0000, v1
	v_and_b32_e32 v17, 0xffff0000, v17
	v_max_f32_e32 v17, v17, v17
	v_max_f32_e32 v1, v1, v1
	v_min_f32_e32 v18, v1, v17
	v_max_f32_e32 v1, v1, v17
	v_cndmask_b32_e64 v1, v1, v18, s[30:31]
	v_and_b32_e32 v17, 0x7f800000, v1
	v_cmp_ne_u32_e32 vcc, s91, v17
                                        ; implicit-def: $vgpr17
	s_and_saveexec_b64 s[34:35], vcc
	s_xor_b64 vcc, exec, s[34:35]
; %bb.630:                              ;   in Loop: Header=BB4_586 Depth=4
	v_bfe_u32 v17, v1, 16, 1
	v_add3_u32 v17, v1, v17, s92
                                        ; implicit-def: $vgpr1
; %bb.631:                              ;   in Loop: Header=BB4_586 Depth=4
	s_andn2_saveexec_b64 s[34:35], vcc
; %bb.632:                              ;   in Loop: Header=BB4_586 Depth=4
	v_or_b32_e32 v17, 0x10000, v1
	v_cmp_eq_u32_sdwa vcc, v1, v42 src0_sel:WORD_0 src1_sel:DWORD
	v_cndmask_b32_e32 v17, v17, v1, vcc
; %bb.633:                              ;   in Loop: Header=BB4_586 Depth=4
	s_or_b64 exec, exec, s[34:35]
	s_waitcnt vmcnt(5)
	v_lshlrev_b32_e32 v1, 16, v21
	s_waitcnt vmcnt(2)
	v_lshlrev_b32_e32 v18, 16, v22
	v_max_f32_e32 v18, v18, v18
	v_max_f32_e32 v1, v1, v1
	v_min_f32_e32 v23, v1, v18
	v_max_f32_e32 v1, v1, v18
	v_cndmask_b32_e64 v1, v1, v23, s[30:31]
	v_and_b32_e32 v18, 0x7f800000, v1
	v_cmp_ne_u32_e32 vcc, s91, v18
                                        ; implicit-def: $vgpr18
	s_and_saveexec_b64 s[34:35], vcc
	s_xor_b64 vcc, exec, s[34:35]
; %bb.634:                              ;   in Loop: Header=BB4_586 Depth=4
	v_bfe_u32 v18, v1, 16, 1
	v_add3_u32 v18, v1, v18, s92
                                        ; implicit-def: $vgpr1
; %bb.635:                              ;   in Loop: Header=BB4_586 Depth=4
	s_andn2_saveexec_b64 s[34:35], vcc
; %bb.636:                              ;   in Loop: Header=BB4_586 Depth=4
	v_or_b32_e32 v18, 0x10000, v1
	v_cmp_eq_u32_sdwa vcc, v1, v42 src0_sel:WORD_0 src1_sel:DWORD
	v_cndmask_b32_e32 v18, v18, v1, vcc
; %bb.637:                              ;   in Loop: Header=BB4_586 Depth=4
	s_or_b64 exec, exec, s[34:35]
	v_and_b32_e32 v1, 0xffff0000, v21
	v_and_b32_e32 v21, 0xffff0000, v22
	v_max_f32_e32 v21, v21, v21
	v_max_f32_e32 v1, v1, v1
	v_min_f32_e32 v22, v1, v21
	v_max_f32_e32 v1, v1, v21
	v_cndmask_b32_e64 v1, v1, v22, s[30:31]
	v_and_b32_e32 v21, 0x7f800000, v1
	v_cmp_ne_u32_e32 vcc, s91, v21
                                        ; implicit-def: $vgpr21
	s_and_saveexec_b64 s[34:35], vcc
	s_xor_b64 vcc, exec, s[34:35]
; %bb.638:                              ;   in Loop: Header=BB4_586 Depth=4
	v_bfe_u32 v21, v1, 16, 1
	v_add3_u32 v21, v1, v21, s92
                                        ; implicit-def: $vgpr1
; %bb.639:                              ;   in Loop: Header=BB4_586 Depth=4
	s_andn2_saveexec_b64 s[34:35], vcc
; %bb.640:                              ;   in Loop: Header=BB4_586 Depth=4
	v_or_b32_e32 v21, 0x10000, v1
	v_cmp_eq_u32_sdwa vcc, v1, v42 src0_sel:WORD_0 src1_sel:DWORD
	v_cndmask_b32_e32 v21, v21, v1, vcc
; %bb.641:                              ;   in Loop: Header=BB4_586 Depth=4
	s_or_b64 exec, exec, s[34:35]
	v_lshlrev_b32_e32 v1, 16, v19
	s_waitcnt vmcnt(1)
	v_lshlrev_b32_e32 v22, 16, v20
	v_max_f32_e32 v22, v22, v22
	v_max_f32_e32 v1, v1, v1
	v_min_f32_e32 v23, v1, v22
	v_max_f32_e32 v1, v1, v22
	v_cndmask_b32_e64 v1, v1, v23, s[30:31]
	v_and_b32_e32 v22, 0x7f800000, v1
	v_cmp_ne_u32_e32 vcc, s91, v22
                                        ; implicit-def: $vgpr22
	s_and_saveexec_b64 s[34:35], vcc
	s_xor_b64 vcc, exec, s[34:35]
; %bb.642:                              ;   in Loop: Header=BB4_586 Depth=4
	v_bfe_u32 v22, v1, 16, 1
	v_add3_u32 v22, v1, v22, s92
                                        ; implicit-def: $vgpr1
; %bb.643:                              ;   in Loop: Header=BB4_586 Depth=4
	s_andn2_saveexec_b64 s[34:35], vcc
; %bb.644:                              ;   in Loop: Header=BB4_586 Depth=4
	v_or_b32_e32 v22, 0x10000, v1
	v_cmp_eq_u32_sdwa vcc, v1, v42 src0_sel:WORD_0 src1_sel:DWORD
	v_cndmask_b32_e32 v22, v22, v1, vcc
; %bb.645:                              ;   in Loop: Header=BB4_586 Depth=4
	s_or_b64 exec, exec, s[34:35]
	v_and_b32_e32 v1, 0xffff0000, v19
	v_and_b32_e32 v19, 0xffff0000, v20
	v_max_f32_e32 v19, v19, v19
	v_max_f32_e32 v1, v1, v1
	v_min_f32_e32 v20, v1, v19
	v_max_f32_e32 v1, v1, v19
	v_cndmask_b32_e64 v1, v1, v20, s[30:31]
	v_and_b32_e32 v19, 0x7f800000, v1
	v_cmp_ne_u32_e32 vcc, s91, v19
                                        ; implicit-def: $vgpr19
	s_and_saveexec_b64 s[34:35], vcc
	s_xor_b64 vcc, exec, s[34:35]
; %bb.646:                              ;   in Loop: Header=BB4_586 Depth=4
	v_bfe_u32 v19, v1, 16, 1
	v_add3_u32 v19, v1, v19, s92
                                        ; implicit-def: $vgpr1
; %bb.647:                              ;   in Loop: Header=BB4_586 Depth=4
	s_andn2_saveexec_b64 s[34:35], vcc
; %bb.648:                              ;   in Loop: Header=BB4_586 Depth=4
	v_or_b32_e32 v19, 0x10000, v1
	v_cmp_eq_u32_sdwa vcc, v1, v42 src0_sel:WORD_0 src1_sel:DWORD
	v_cndmask_b32_e32 v19, v19, v1, vcc
; %bb.649:                              ;   in Loop: Header=BB4_586 Depth=4
	s_or_b64 exec, exec, s[34:35]
	v_lshlrev_b32_e32 v1, 16, v5
	s_waitcnt vmcnt(0)
	v_lshlrev_b32_e32 v20, 16, v6
	v_max_f32_e32 v20, v20, v20
	v_max_f32_e32 v1, v1, v1
	v_min_f32_e32 v23, v1, v20
	v_max_f32_e32 v1, v1, v20
	v_cndmask_b32_e64 v20, v1, v23, s[30:31]
	v_and_b32_e32 v1, 0x7f800000, v20
	v_cmp_ne_u32_e32 vcc, s91, v1
                                        ; implicit-def: $vgpr1
	s_and_saveexec_b64 s[34:35], vcc
	s_xor_b64 vcc, exec, s[34:35]
; %bb.650:                              ;   in Loop: Header=BB4_586 Depth=4
	v_bfe_u32 v1, v20, 16, 1
	v_add3_u32 v1, v20, v1, s92
                                        ; implicit-def: $vgpr20
; %bb.651:                              ;   in Loop: Header=BB4_586 Depth=4
	s_andn2_saveexec_b64 s[34:35], vcc
; %bb.652:                              ;   in Loop: Header=BB4_586 Depth=4
	v_or_b32_e32 v1, 0x10000, v20
	v_cmp_eq_u32_sdwa vcc, v20, v42 src0_sel:WORD_0 src1_sel:DWORD
	v_cndmask_b32_e32 v1, v1, v20, vcc
; %bb.653:                              ;   in Loop: Header=BB4_586 Depth=4
	s_or_b64 exec, exec, s[34:35]
	v_and_b32_e32 v5, 0xffff0000, v5
	v_and_b32_e32 v6, 0xffff0000, v6
	v_max_f32_e32 v6, v6, v6
	v_max_f32_e32 v5, v5, v5
	v_min_f32_e32 v20, v5, v6
	v_max_f32_e32 v5, v5, v6
	v_cndmask_b32_e64 v6, v5, v20, s[30:31]
	v_and_b32_e32 v5, 0x7f800000, v6
	v_cmp_ne_u32_e32 vcc, s91, v5
                                        ; implicit-def: $vgpr5
	s_and_saveexec_b64 s[34:35], vcc
	s_xor_b64 vcc, exec, s[34:35]
; %bb.654:                              ;   in Loop: Header=BB4_586 Depth=4
	v_bfe_u32 v5, v6, 16, 1
	v_add3_u32 v5, v6, v5, s92
                                        ; implicit-def: $vgpr6
; %bb.655:                              ;   in Loop: Header=BB4_586 Depth=4
	s_andn2_saveexec_b64 s[34:35], vcc
; %bb.656:                              ;   in Loop: Header=BB4_586 Depth=4
	v_or_b32_e32 v5, 0x10000, v6
	v_cmp_eq_u32_sdwa vcc, v6, v42 src0_sel:WORD_0 src1_sel:DWORD
	v_cndmask_b32_e32 v5, v5, v6, vcc
; %bb.657:                              ;   in Loop: Header=BB4_586 Depth=4
	s_or_b64 exec, exec, s[34:35]
	v_lshrrev_b32_e32 v4, 16, v4
	v_lshrrev_b32_e32 v6, 16, v18
	v_and_or_b32 v20, v17, s93, v4
	v_lshrrev_b32_e32 v4, 16, v22
	v_lshrrev_b32_e32 v1, 16, v1
	v_and_or_b32 v21, v21, s93, v6
	v_and_or_b32 v22, v19, s93, v4
	;; [unrolled: 1-line block ×3, first 2 shown]
	buffer_store_dword v21, off, s[0:3], s33 offset:196
	buffer_store_dword v20, off, s[0:3], s33 offset:192
	;; [unrolled: 1-line block ×4, first 2 shown]
	global_store_dwordx4 v[2:3], v[20:23], off glc slc
	v_add_co_u32_e32 v2, vcc, 0x400, v2
	v_sub_u32_e32 v15, v15, v28
	v_addc_co_u32_e32 v3, vcc, 0, v3, vcc
	s_and_saveexec_b64 s[34:35], s[68:69]
	s_cbranch_execz .LBB4_585
; %bb.658:                              ;   in Loop: Header=BB4_586 Depth=4
	v_accvgpr_read_b32 v4, a28
	v_add_co_u32_e32 v0, vcc, v0, v4
	v_accvgpr_read_b32 v1, a33
	v_addc_co_u32_e32 v9, vcc, v9, v1, vcc
	v_add_co_u32_e32 v8, vcc, v8, v4
	v_addc_co_u32_e32 v11, vcc, v11, v1, vcc
	v_add_co_u32_e32 v2, vcc, v2, v4
	v_addc_co_u32_e32 v3, vcc, v3, v1, vcc
	v_sub_u32_e32 v16, v16, v39
	v_sub_u32_e32 v15, v15, v28
	s_branch .LBB4_585
.LBB4_659:                              ;   in Loop: Header=BB4_305 Depth=3
	s_or_b64 exec, exec, s[64:65]
	s_and_b64 s[30:31], s[66:67], exec
.LBB4_660:                              ;   in Loop: Header=BB4_305 Depth=3
	s_or_b64 exec, exec, s[62:63]
	s_and_saveexec_b64 s[34:35], s[30:31]
	s_cbranch_execz .LBB4_694
; %bb.661:                              ;   in Loop: Header=BB4_305 Depth=3
	buffer_load_dword v1, off, s[0:3], s33 offset:224
	buffer_load_dword v6, off, s[0:3], s33 offset:240
	;; [unrolled: 1-line block ×8, first 2 shown]
	v_cmp_eq_u16_e32 vcc, 0, v37
	s_waitcnt vmcnt(0)
	v_lshlrev_b32_e32 v0, 16, v1
	v_lshlrev_b32_e32 v8, 16, v6
	v_max_f32_e32 v8, v8, v8
	v_max_f32_e32 v0, v0, v0
	v_min_f32_e32 v18, v0, v8
	v_max_f32_e32 v0, v0, v8
	v_cndmask_b32_e32 v8, v0, v18, vcc
	v_and_b32_e32 v0, 0x7f800000, v8
	v_cmp_ne_u32_e64 s[30:31], s91, v0
                                        ; implicit-def: $vgpr0
	s_and_saveexec_b64 s[36:37], s[30:31]
	s_xor_b64 s[30:31], exec, s[36:37]
; %bb.662:                              ;   in Loop: Header=BB4_305 Depth=3
	v_bfe_u32 v0, v8, 16, 1
	v_add3_u32 v0, v8, v0, s92
                                        ; implicit-def: $vgpr8
; %bb.663:                              ;   in Loop: Header=BB4_305 Depth=3
	s_andn2_saveexec_b64 s[36:37], s[30:31]
; %bb.664:                              ;   in Loop: Header=BB4_305 Depth=3
	v_or_b32_e32 v0, 0x10000, v8
	v_cmp_eq_u32_sdwa s[30:31], v8, v42 src0_sel:WORD_0 src1_sel:DWORD
	v_cndmask_b32_e64 v0, v0, v8, s[30:31]
; %bb.665:                              ;   in Loop: Header=BB4_305 Depth=3
	s_or_b64 exec, exec, s[36:37]
	v_and_b32_e32 v1, 0xffff0000, v1
	v_and_b32_e32 v6, 0xffff0000, v6
	v_max_f32_e32 v6, v6, v6
	v_max_f32_e32 v1, v1, v1
	v_min_f32_e32 v8, v1, v6
	v_max_f32_e32 v1, v1, v6
	v_cndmask_b32_e32 v1, v1, v8, vcc
	v_and_b32_e32 v6, 0x7f800000, v1
	v_cmp_ne_u32_e64 s[30:31], s91, v6
                                        ; implicit-def: $vgpr6
	s_and_saveexec_b64 s[36:37], s[30:31]
	s_xor_b64 s[30:31], exec, s[36:37]
; %bb.666:                              ;   in Loop: Header=BB4_305 Depth=3
	v_bfe_u32 v6, v1, 16, 1
	v_add3_u32 v6, v1, v6, s92
                                        ; implicit-def: $vgpr1
; %bb.667:                              ;   in Loop: Header=BB4_305 Depth=3
	s_andn2_saveexec_b64 s[36:37], s[30:31]
; %bb.668:                              ;   in Loop: Header=BB4_305 Depth=3
	v_or_b32_e32 v6, 0x10000, v1
	v_cmp_eq_u32_sdwa s[30:31], v1, v42 src0_sel:WORD_0 src1_sel:DWORD
	v_cndmask_b32_e64 v6, v6, v1, s[30:31]
; %bb.669:                              ;   in Loop: Header=BB4_305 Depth=3
	s_or_b64 exec, exec, s[36:37]
	v_lshlrev_b32_e32 v1, 16, v16
	v_lshlrev_b32_e32 v8, 16, v17
	v_max_f32_e32 v8, v8, v8
	v_max_f32_e32 v1, v1, v1
	v_min_f32_e32 v18, v1, v8
	v_max_f32_e32 v1, v1, v8
	v_cndmask_b32_e32 v1, v1, v18, vcc
	v_and_b32_e32 v8, 0x7f800000, v1
	v_cmp_ne_u32_e64 s[30:31], s91, v8
                                        ; implicit-def: $vgpr8
	s_and_saveexec_b64 s[36:37], s[30:31]
	s_xor_b64 s[30:31], exec, s[36:37]
; %bb.670:                              ;   in Loop: Header=BB4_305 Depth=3
	v_bfe_u32 v8, v1, 16, 1
	v_add3_u32 v8, v1, v8, s92
                                        ; implicit-def: $vgpr1
; %bb.671:                              ;   in Loop: Header=BB4_305 Depth=3
	s_andn2_saveexec_b64 s[36:37], s[30:31]
; %bb.672:                              ;   in Loop: Header=BB4_305 Depth=3
	v_or_b32_e32 v8, 0x10000, v1
	v_cmp_eq_u32_sdwa s[30:31], v1, v42 src0_sel:WORD_0 src1_sel:DWORD
	v_cndmask_b32_e64 v8, v8, v1, s[30:31]
; %bb.673:                              ;   in Loop: Header=BB4_305 Depth=3
	s_or_b64 exec, exec, s[36:37]
	v_and_b32_e32 v1, 0xffff0000, v16
	v_and_b32_e32 v16, 0xffff0000, v17
	v_max_f32_e32 v16, v16, v16
	v_max_f32_e32 v1, v1, v1
	v_min_f32_e32 v17, v1, v16
	v_max_f32_e32 v1, v1, v16
	v_cndmask_b32_e32 v1, v1, v17, vcc
	v_and_b32_e32 v16, 0x7f800000, v1
	v_cmp_ne_u32_e64 s[30:31], s91, v16
                                        ; implicit-def: $vgpr16
	s_and_saveexec_b64 s[36:37], s[30:31]
	s_xor_b64 s[30:31], exec, s[36:37]
; %bb.674:                              ;   in Loop: Header=BB4_305 Depth=3
	v_bfe_u32 v16, v1, 16, 1
	v_add3_u32 v16, v1, v16, s92
                                        ; implicit-def: $vgpr1
; %bb.675:                              ;   in Loop: Header=BB4_305 Depth=3
	s_andn2_saveexec_b64 s[36:37], s[30:31]
; %bb.676:                              ;   in Loop: Header=BB4_305 Depth=3
	v_or_b32_e32 v16, 0x10000, v1
	v_cmp_eq_u32_sdwa s[30:31], v1, v42 src0_sel:WORD_0 src1_sel:DWORD
	v_cndmask_b32_e64 v16, v16, v1, s[30:31]
; %bb.677:                              ;   in Loop: Header=BB4_305 Depth=3
	s_or_b64 exec, exec, s[36:37]
	v_lshlrev_b32_e32 v1, 16, v9
	v_lshlrev_b32_e32 v17, 16, v11
	v_max_f32_e32 v17, v17, v17
	v_max_f32_e32 v1, v1, v1
	v_min_f32_e32 v18, v1, v17
	v_max_f32_e32 v1, v1, v17
	v_cndmask_b32_e32 v1, v1, v18, vcc
	v_and_b32_e32 v17, 0x7f800000, v1
	v_cmp_ne_u32_e64 s[30:31], s91, v17
                                        ; implicit-def: $vgpr17
	s_and_saveexec_b64 s[36:37], s[30:31]
	s_xor_b64 s[30:31], exec, s[36:37]
; %bb.678:                              ;   in Loop: Header=BB4_305 Depth=3
	v_bfe_u32 v17, v1, 16, 1
	v_add3_u32 v17, v1, v17, s92
                                        ; implicit-def: $vgpr1
; %bb.679:                              ;   in Loop: Header=BB4_305 Depth=3
	s_andn2_saveexec_b64 s[36:37], s[30:31]
; %bb.680:                              ;   in Loop: Header=BB4_305 Depth=3
	v_or_b32_e32 v17, 0x10000, v1
	v_cmp_eq_u32_sdwa s[30:31], v1, v42 src0_sel:WORD_0 src1_sel:DWORD
	v_cndmask_b32_e64 v17, v17, v1, s[30:31]
; %bb.681:                              ;   in Loop: Header=BB4_305 Depth=3
	s_or_b64 exec, exec, s[36:37]
	v_and_b32_e32 v1, 0xffff0000, v9
	v_and_b32_e32 v9, 0xffff0000, v11
	v_max_f32_e32 v9, v9, v9
	v_max_f32_e32 v1, v1, v1
	v_min_f32_e32 v11, v1, v9
	v_max_f32_e32 v1, v1, v9
	v_cndmask_b32_e32 v1, v1, v11, vcc
	v_and_b32_e32 v9, 0x7f800000, v1
	v_cmp_ne_u32_e64 s[30:31], s91, v9
                                        ; implicit-def: $vgpr9
	s_and_saveexec_b64 s[36:37], s[30:31]
	s_xor_b64 s[30:31], exec, s[36:37]
; %bb.682:                              ;   in Loop: Header=BB4_305 Depth=3
	v_bfe_u32 v9, v1, 16, 1
	v_add3_u32 v9, v1, v9, s92
                                        ; implicit-def: $vgpr1
; %bb.683:                              ;   in Loop: Header=BB4_305 Depth=3
	s_andn2_saveexec_b64 s[36:37], s[30:31]
; %bb.684:                              ;   in Loop: Header=BB4_305 Depth=3
	v_or_b32_e32 v9, 0x10000, v1
	v_cmp_eq_u32_sdwa s[30:31], v1, v42 src0_sel:WORD_0 src1_sel:DWORD
	v_cndmask_b32_e64 v9, v9, v1, s[30:31]
; %bb.685:                              ;   in Loop: Header=BB4_305 Depth=3
	s_or_b64 exec, exec, s[36:37]
	v_lshlrev_b32_e32 v1, 16, v4
	v_lshlrev_b32_e32 v11, 16, v5
	v_max_f32_e32 v11, v11, v11
	v_max_f32_e32 v1, v1, v1
	v_min_f32_e32 v18, v1, v11
	v_max_f32_e32 v1, v1, v11
	v_cndmask_b32_e32 v11, v1, v18, vcc
	v_and_b32_e32 v1, 0x7f800000, v11
	v_cmp_ne_u32_e64 s[30:31], s91, v1
                                        ; implicit-def: $vgpr1
	s_and_saveexec_b64 s[36:37], s[30:31]
	s_xor_b64 s[30:31], exec, s[36:37]
; %bb.686:                              ;   in Loop: Header=BB4_305 Depth=3
	v_bfe_u32 v1, v11, 16, 1
	v_add3_u32 v1, v11, v1, s92
                                        ; implicit-def: $vgpr11
; %bb.687:                              ;   in Loop: Header=BB4_305 Depth=3
	s_andn2_saveexec_b64 s[36:37], s[30:31]
; %bb.688:                              ;   in Loop: Header=BB4_305 Depth=3
	v_or_b32_e32 v1, 0x10000, v11
	v_cmp_eq_u32_sdwa s[30:31], v11, v42 src0_sel:WORD_0 src1_sel:DWORD
	v_cndmask_b32_e64 v1, v1, v11, s[30:31]
; %bb.689:                              ;   in Loop: Header=BB4_305 Depth=3
	s_or_b64 exec, exec, s[36:37]
	v_and_b32_e32 v4, 0xffff0000, v4
	v_and_b32_e32 v5, 0xffff0000, v5
	v_max_f32_e32 v5, v5, v5
	v_max_f32_e32 v4, v4, v4
	v_min_f32_e32 v11, v4, v5
	v_max_f32_e32 v4, v4, v5
	v_cndmask_b32_e32 v5, v4, v11, vcc
	v_and_b32_e32 v4, 0x7f800000, v5
	v_cmp_ne_u32_e32 vcc, s91, v4
                                        ; implicit-def: $vgpr4
	s_and_saveexec_b64 s[30:31], vcc
	s_xor_b64 vcc, exec, s[30:31]
; %bb.690:                              ;   in Loop: Header=BB4_305 Depth=3
	v_bfe_u32 v4, v5, 16, 1
	v_add3_u32 v4, v5, v4, s92
                                        ; implicit-def: $vgpr5
; %bb.691:                              ;   in Loop: Header=BB4_305 Depth=3
	s_andn2_saveexec_b64 s[30:31], vcc
; %bb.692:                              ;   in Loop: Header=BB4_305 Depth=3
	v_or_b32_e32 v4, 0x10000, v5
	v_cmp_eq_u32_sdwa vcc, v5, v42 src0_sel:WORD_0 src1_sel:DWORD
	v_cndmask_b32_e32 v4, v4, v5, vcc
; %bb.693:                              ;   in Loop: Header=BB4_305 Depth=3
	s_or_b64 exec, exec, s[30:31]
	v_lshrrev_b32_e32 v0, 16, v0
	v_and_or_b32 v18, v6, s93, v0
	v_lshrrev_b32_e32 v0, 16, v17
	v_lshrrev_b32_e32 v5, 16, v8
	v_and_or_b32 v20, v9, s93, v0
	v_lshrrev_b32_e32 v0, 16, v1
	v_and_or_b32 v19, v16, s93, v5
	v_and_or_b32 v21, v4, s93, v0
	global_store_dwordx4 v[2:3], v[18:21], off glc slc
.LBB4_694:                              ;   in Loop: Header=BB4_305 Depth=3
	s_or_b64 exec, exec, s[34:35]
	v_and_b32_e32 v0, 14, v36
	v_cndmask_b32_e64 v36, v14, v0, s[28:29]
	v_cmp_ne_u32_e32 vcc, 0, v36
	s_mov_b64 s[30:31], s[58:59]
                                        ; implicit-def: $vgpr16
                                        ; implicit-def: $vgpr17
                                        ; implicit-def: $vgpr4
	s_and_saveexec_b64 s[34:35], vcc
	s_cbranch_execz .LBB4_696
; %bb.695:                              ;   in Loop: Header=BB4_305 Depth=3
	v_sub_u32_e32 v0, v14, v0
	v_cndmask_b32_e64 v0, 0, v0, s[28:29]
	v_cmp_lt_i32_e32 vcc, 0, v15
	v_add3_u32 v16, v13, v10, v0
	v_cndmask_b32_e32 v0, 0, v28, vcc
	v_sub_u32_e32 v0, v0, v15
	v_lshl_add_u32 v0, v0, 6, v12
	v_ashrrev_i32_e32 v1, 31, v0
	v_lshrrev_b32_e32 v1, 26, v1
	v_add_u32_e32 v1, v0, v1
	v_ashrrev_i32_e32 v4, 6, v1
	v_and_b32_e32 v1, 0xffffffc0, v1
	v_sub_u32_e32 v17, v0, v1
	s_or_b64 s[30:31], s[58:59], exec
.LBB4_696:                              ;   in Loop: Header=BB4_305 Depth=3
	s_or_b64 exec, exec, s[34:35]
	s_andn2_b64 s[28:29], s[58:59], exec
	s_and_b64 vcc, s[30:31], exec
	s_or_b64 s[58:59], s[28:29], vcc
	v_mov_b32_e32 v12, v37
.LBB4_697:                              ;   in Loop: Header=BB4_305 Depth=3
	s_or_b64 exec, exec, s[60:61]
	s_and_saveexec_b64 s[36:37], s[58:59]
	s_cbranch_execz .LBB4_759
.LBB4_698:                              ;   in Loop: Header=BB4_305 Depth=3
	v_lshlrev_b32_e32 v0, 8, v4
	v_lshlrev_b32_e32 v1, 1, v17
	v_add3_u32 v0, v16, v1, v0
	s_trap 2
	ds_read_b64 v[2:3], v0
	v_ashrrev_i32_e32 v1, 31, v36
	v_add_u32_sdwa v1, v36, v1 dst_sel:DWORD dst_unused:UNUSED_PAD src0_sel:DWORD src1_sel:BYTE_3
	v_ashrrev_i32_e32 v13, 8, v1
	v_ashrrev_i32_e32 v11, 31, v0
	v_sub_u32_e32 v6, v13, v4
	s_waitcnt lgkmcnt(0)
	v_add_co_u32_e32 v4, vcc, v2, v0
	v_addc_co_u32_e32 v5, vcc, v3, v11, vcc
	v_cmp_lt_i32_e32 vcc, 0, v6
	s_mov_b64 s[28:29], 0
	v_mov_b32_e32 v9, 0
	v_mov_b32_e32 v1, 0
	v_mov_b32_e32 v10, 0
	v_mov_b32_e32 v8, 0
	s_and_saveexec_b64 s[30:31], vcc
	s_cbranch_execz .LBB4_722
; %bb.699:                              ;   in Loop: Header=BB4_305 Depth=3
	s_trap 2
	ds_read_b128 v[18:21], v0
	v_cmp_eq_u16_sdwa s[28:29], v12, v42 src0_sel:BYTE_0 src1_sel:DWORD
	s_mov_b64 s[60:61], 0
	s_mov_b64 s[58:59], 0
                                        ; implicit-def: $sgpr34_sgpr35
                                        ; implicit-def: $vgpr15
                                        ; implicit-def: $vgpr14
	s_waitcnt lgkmcnt(0)
	v_add_co_u32_e32 v8, vcc, v18, v0
	v_addc_co_u32_e32 v9, vcc, v19, v11, vcc
	v_add_co_u32_e32 v10, vcc, v20, v0
	v_addc_co_u32_e32 v11, vcc, v21, v11, vcc
                                        ; implicit-def: $vgpr18
                                        ; implicit-def: $vgpr0
	s_branch .LBB4_701
.LBB4_700:                              ;   in Loop: Header=BB4_701 Depth=4
	s_or_b64 exec, exec, s[62:63]
	flat_store_short_d16_hi v[4:5], v1 glc slc
	flat_store_short_d16_hi v[4:5], v20 offset:128 glc slc
	v_accvgpr_read_b32 v20, a48
	v_add_co_u32_e32 v1, vcc, v8, v20
	v_accvgpr_read_b32 v21, a49
	v_addc_co_u32_e32 v19, vcc, v9, v21, vcc
	v_add_co_u32_e32 v20, vcc, v10, v20
	v_addc_co_u32_e32 v21, vcc, v11, v21, vcc
	v_cndmask_b32_e64 v23, v27, v25, s[60:61]
	v_cndmask_b32_e64 v22, 0, v26, s[60:61]
	v_add_co_u32_e32 v4, vcc, v4, v23
	v_cndmask_b32_e64 v8, v8, v1, s[60:61]
	v_cndmask_b32_e64 v1, 0, v28, s[60:61]
	v_addc_co_u32_e32 v5, vcc, v5, v22, vcc
	v_sub_u32_e32 v6, v6, v1
	v_cmp_gt_i32_e32 vcc, 1, v6
	s_or_b64 s[58:59], vcc, s[58:59]
	s_andn2_b64 vcc, s[34:35], exec
	s_and_b64 s[34:35], s[60:61], exec
	v_cndmask_b32_e64 v9, v9, v19, s[60:61]
	v_cndmask_b32_e64 v11, v11, v21, s[60:61]
	;; [unrolled: 1-line block ×3, first 2 shown]
	s_or_b64 s[34:35], vcc, s[34:35]
	s_andn2_b64 exec, exec, s[58:59]
	s_cbranch_execz .LBB4_721
.LBB4_701:                              ;   Parent Loop BB4_47 Depth=1
                                        ;     Parent Loop BB4_302 Depth=2
                                        ;       Parent Loop BB4_305 Depth=3
                                        ; =>      This Inner Loop Header: Depth=4
	flat_load_ushort v21, v[8:9] glc slc
	flat_load_ushort v19, v[8:9] offset:128 glc slc
	flat_load_ushort v22, v[10:11] glc slc
	flat_load_ushort v20, v[10:11] offset:128 glc slc
	s_and_saveexec_b64 s[62:63], s[60:61]
	s_cbranch_execz .LBB4_711
; %bb.702:                              ;   in Loop: Header=BB4_701 Depth=4
	v_lshlrev_b32_e32 v1, 16, v18
	v_lshlrev_b32_e32 v18, 16, v0
	v_max_f32_e32 v18, v18, v18
	v_max_f32_e32 v1, v1, v1
	v_min_f32_e32 v23, v1, v18
	v_max_f32_e32 v1, v1, v18
	v_cndmask_b32_e64 v18, v1, v23, s[28:29]
	v_and_b32_e32 v1, 0x7f800000, v18
	v_cmp_ne_u32_e32 vcc, s91, v1
                                        ; implicit-def: $vgpr1
	s_and_saveexec_b64 s[60:61], vcc
	s_xor_b64 vcc, exec, s[60:61]
; %bb.703:                              ;   in Loop: Header=BB4_701 Depth=4
	v_bfe_u32 v1, v18, 16, 1
	v_add3_u32 v1, v18, v1, s92
                                        ; implicit-def: $vgpr18
; %bb.704:                              ;   in Loop: Header=BB4_701 Depth=4
	s_andn2_saveexec_b64 s[60:61], vcc
; %bb.705:                              ;   in Loop: Header=BB4_701 Depth=4
	v_or_b32_e32 v1, 0x10000, v18
	v_cmp_eq_u32_sdwa vcc, v18, v42 src0_sel:WORD_0 src1_sel:DWORD
	v_cndmask_b32_e32 v1, v1, v18, vcc
; %bb.706:                              ;   in Loop: Header=BB4_701 Depth=4
	s_or_b64 exec, exec, s[60:61]
	v_lshlrev_b32_e32 v15, 16, v15
	v_lshlrev_b32_e32 v18, 16, v14
	v_max_f32_e32 v18, v18, v18
	v_max_f32_e32 v15, v15, v15
	v_min_f32_e32 v23, v15, v18
	v_max_f32_e32 v15, v15, v18
	v_cndmask_b32_e64 v15, v15, v23, s[28:29]
	v_and_b32_e32 v18, 0x7f800000, v15
	v_cmp_ne_u32_e32 vcc, s91, v18
                                        ; implicit-def: $vgpr23
	s_and_saveexec_b64 s[60:61], vcc
	s_xor_b64 vcc, exec, s[60:61]
; %bb.707:                              ;   in Loop: Header=BB4_701 Depth=4
	v_bfe_u32 v18, v15, 16, 1
	v_add3_u32 v23, v15, v18, s92
                                        ; implicit-def: $vgpr15
; %bb.708:                              ;   in Loop: Header=BB4_701 Depth=4
	s_andn2_saveexec_b64 s[60:61], vcc
; %bb.709:                              ;   in Loop: Header=BB4_701 Depth=4
	v_or_b32_e32 v18, 0x10000, v15
	v_cmp_eq_u32_sdwa vcc, v15, v42 src0_sel:WORD_0 src1_sel:DWORD
	v_cndmask_b32_e32 v23, v18, v15, vcc
; %bb.710:                              ;   in Loop: Header=BB4_701 Depth=4
	s_or_b64 exec, exec, s[60:61]
	v_lshrrev_b32_e32 v18, 16, v1
	v_lshrrev_b32_e32 v15, 16, v23
	flat_store_short v[4:5], v18 glc slc
	flat_store_short v[4:5], v15 offset:128 glc slc
	v_add_co_u32_e32 v4, vcc, v4, v25
	v_addc_co_u32_e32 v5, vcc, v5, v26, vcc
.LBB4_711:                              ;   in Loop: Header=BB4_701 Depth=4
	s_or_b64 exec, exec, s[62:63]
	v_add_co_u32_e32 v8, vcc, v8, v25
	v_addc_co_u32_e32 v9, vcc, v9, v26, vcc
	v_add_co_u32_e32 v10, vcc, v10, v25
	v_sub_u32_e32 v6, v6, v28
	v_addc_co_u32_e32 v11, vcc, v11, v26, vcc
	v_cmp_lt_i32_e64 s[60:61], 0, v6
	s_and_saveexec_b64 s[62:63], s[60:61]
	s_cbranch_execz .LBB4_713
; %bb.712:                              ;   in Loop: Header=BB4_701 Depth=4
	flat_load_ushort v18, v[8:9] glc slc
	flat_load_ushort v15, v[8:9] offset:128 glc slc
	flat_load_ushort v0, v[10:11] glc slc
	flat_load_ushort v14, v[10:11] offset:128 glc slc
	v_add_co_u32_e32 v8, vcc, 0x100, v8
	v_addc_co_u32_e32 v9, vcc, 0, v9, vcc
	v_add_co_u32_e32 v10, vcc, 0x100, v10
	v_addc_co_u32_e32 v11, vcc, 0, v11, vcc
.LBB4_713:                              ;   in Loop: Header=BB4_701 Depth=4
	s_or_b64 exec, exec, s[62:63]
	s_waitcnt vmcnt(0) lgkmcnt(0)
	v_lshlrev_b32_e32 v1, 16, v21
	v_lshlrev_b32_e32 v21, 16, v22
	v_max_f32_e32 v21, v21, v21
	v_max_f32_e32 v1, v1, v1
	v_min_f32_e32 v22, v1, v21
	v_max_f32_e32 v1, v1, v21
	v_cndmask_b32_e64 v21, v1, v22, s[28:29]
	v_and_b32_e32 v1, 0x7f800000, v21
	v_cmp_ne_u32_e32 vcc, s91, v1
                                        ; implicit-def: $vgpr1
	s_and_saveexec_b64 s[62:63], vcc
	s_xor_b64 vcc, exec, s[62:63]
; %bb.714:                              ;   in Loop: Header=BB4_701 Depth=4
	v_bfe_u32 v1, v21, 16, 1
	v_add3_u32 v1, v21, v1, s92
                                        ; implicit-def: $vgpr21
; %bb.715:                              ;   in Loop: Header=BB4_701 Depth=4
	s_andn2_saveexec_b64 s[62:63], vcc
; %bb.716:                              ;   in Loop: Header=BB4_701 Depth=4
	v_or_b32_e32 v1, 0x10000, v21
	v_cmp_eq_u32_sdwa vcc, v21, v42 src0_sel:WORD_0 src1_sel:DWORD
	v_cndmask_b32_e32 v1, v1, v21, vcc
; %bb.717:                              ;   in Loop: Header=BB4_701 Depth=4
	s_or_b64 exec, exec, s[62:63]
	v_lshlrev_b32_e32 v19, 16, v19
	v_lshlrev_b32_e32 v20, 16, v20
	v_max_f32_e32 v20, v20, v20
	v_max_f32_e32 v19, v19, v19
	v_min_f32_e32 v21, v19, v20
	v_max_f32_e32 v19, v19, v20
	v_cndmask_b32_e64 v19, v19, v21, s[28:29]
	v_and_b32_e32 v20, 0x7f800000, v19
	v_cmp_ne_u32_e32 vcc, s91, v20
                                        ; implicit-def: $vgpr20
	s_and_saveexec_b64 s[62:63], vcc
	s_xor_b64 vcc, exec, s[62:63]
; %bb.718:                              ;   in Loop: Header=BB4_701 Depth=4
	v_bfe_u32 v20, v19, 16, 1
	v_add3_u32 v20, v19, v20, s92
                                        ; implicit-def: $vgpr19
; %bb.719:                              ;   in Loop: Header=BB4_701 Depth=4
	s_andn2_saveexec_b64 s[62:63], vcc
	s_cbranch_execz .LBB4_700
; %bb.720:                              ;   in Loop: Header=BB4_701 Depth=4
	v_or_b32_e32 v20, 0x10000, v19
	v_cmp_eq_u32_sdwa vcc, v19, v42 src0_sel:WORD_0 src1_sel:DWORD
	v_cndmask_b32_e32 v20, v20, v19, vcc
	s_branch .LBB4_700
.LBB4_721:                              ;   in Loop: Header=BB4_305 Depth=3
	s_or_b64 exec, exec, s[58:59]
	v_lshlrev_b32_e32 v9, 16, v18
	v_lshlrev_b32_e32 v10, 16, v0
	;; [unrolled: 1-line block ×4, first 2 shown]
	s_and_b64 s[28:29], s[34:35], exec
.LBB4_722:                              ;   in Loop: Header=BB4_305 Depth=3
	s_or_b64 exec, exec, s[30:31]
	s_and_saveexec_b64 s[30:31], s[28:29]
	s_cbranch_execz .LBB4_732
; %bb.723:                              ;   in Loop: Header=BB4_305 Depth=3
	v_max_f32_e32 v0, v10, v10
	v_max_f32_e32 v9, v9, v9
	v_min_f32_e32 v10, v9, v0
	v_max_f32_e32 v0, v9, v0
	v_cmp_eq_u16_sdwa vcc, v12, v42 src0_sel:BYTE_0 src1_sel:DWORD
	v_cndmask_b32_e32 v9, v0, v10, vcc
	v_and_b32_e32 v0, 0x7f800000, v9
	v_cmp_ne_u32_e64 s[28:29], s91, v0
                                        ; implicit-def: $vgpr0
	s_and_saveexec_b64 s[34:35], s[28:29]
	s_xor_b64 s[28:29], exec, s[34:35]
; %bb.724:                              ;   in Loop: Header=BB4_305 Depth=3
	v_bfe_u32 v0, v9, 16, 1
	v_add3_u32 v0, v9, v0, s92
                                        ; implicit-def: $vgpr9
; %bb.725:                              ;   in Loop: Header=BB4_305 Depth=3
	s_andn2_saveexec_b64 s[34:35], s[28:29]
; %bb.726:                              ;   in Loop: Header=BB4_305 Depth=3
	v_or_b32_e32 v0, 0x10000, v9
	v_cmp_eq_u32_sdwa s[28:29], v9, v42 src0_sel:WORD_0 src1_sel:DWORD
	v_cndmask_b32_e64 v0, v0, v9, s[28:29]
; %bb.727:                              ;   in Loop: Header=BB4_305 Depth=3
	s_or_b64 exec, exec, s[34:35]
	v_max_f32_e32 v8, v8, v8
	v_max_f32_e32 v1, v1, v1
	v_min_f32_e32 v9, v1, v8
	v_max_f32_e32 v1, v1, v8
	v_cndmask_b32_e32 v1, v1, v9, vcc
	v_and_b32_e32 v8, 0x7f800000, v1
	v_cmp_ne_u32_e32 vcc, s91, v8
                                        ; implicit-def: $vgpr8
	s_and_saveexec_b64 s[28:29], vcc
	s_xor_b64 s[28:29], exec, s[28:29]
; %bb.728:                              ;   in Loop: Header=BB4_305 Depth=3
	v_bfe_u32 v8, v1, 16, 1
	v_add3_u32 v8, v1, v8, s92
                                        ; implicit-def: $vgpr1
; %bb.729:                              ;   in Loop: Header=BB4_305 Depth=3
	s_andn2_saveexec_b64 s[28:29], s[28:29]
; %bb.730:                              ;   in Loop: Header=BB4_305 Depth=3
	v_or_b32_e32 v8, 0x10000, v1
	v_cmp_eq_u32_sdwa vcc, v1, v42 src0_sel:WORD_0 src1_sel:DWORD
	v_cndmask_b32_e32 v8, v8, v1, vcc
; %bb.731:                              ;   in Loop: Header=BB4_305 Depth=3
	s_or_b64 exec, exec, s[28:29]
	flat_store_short_d16_hi v[4:5], v0 glc slc
	flat_store_short_d16_hi v[4:5], v8 offset:128 glc slc
.LBB4_732:                              ;   in Loop: Header=BB4_305 Depth=3
	s_or_b64 exec, exec, s[30:31]
	v_lshlrev_b32_e32 v0, 8, v13
	v_cmp_ne_u32_e32 vcc, v36, v0
	s_and_saveexec_b64 s[58:59], vcc
	s_cbranch_execz .LBB4_758
; %bb.733:                              ;   in Loop: Header=BB4_305 Depth=3
	v_lshlrev_b32_e32 v1, 6, v6
	v_sub_u32_e32 v1, v17, v1
	v_ashrrev_i32_e32 v4, 31, v1
	v_lshrrev_b32_e32 v4, 26, v4
	v_add_u32_e32 v4, v1, v4
	v_and_b32_e32 v5, 0x7fffffc0, v4
	v_sub_u32_e32 v1, v1, v5
	v_lshlrev_b32_e32 v4, 1, v4
	v_and_b32_e32 v4, 0xffffff80, v4
	v_lshlrev_b32_e32 v1, 1, v1
	v_add3_u32 v0, v4, v1, v0
	v_add_u32_e32 v8, v0, v16
	v_ashrrev_i32_e32 v11, 31, v8
	v_add_co_u32_e32 v4, vcc, v8, v2
	v_sub_u32_e32 v6, v36, v0
	v_addc_co_u32_e32 v5, vcc, v11, v3, vcc
	v_cmp_lt_i32_e32 vcc, 1, v6
	s_mov_b64 s[28:29], 0
	s_and_saveexec_b64 s[60:61], vcc
	s_cbranch_execz .LBB4_752
; %bb.734:                              ;   in Loop: Header=BB4_305 Depth=3
	s_trap 2
	ds_read_b128 v[0:3], v0
	v_accvgpr_read_b32 v16, a30
	v_cmp_eq_u16_sdwa s[28:29], v12, v42 src0_sel:BYTE_0 src1_sel:DWORD
	s_mov_b64 s[66:67], 0
	s_mov_b64 s[62:63], 0
	s_waitcnt lgkmcnt(0)
	v_add_co_u32_e32 v0, vcc, v0, v8
	v_addc_co_u32_e32 v9, vcc, v1, v11, vcc
	v_add_co_u32_e32 v2, vcc, v2, v8
	v_addc_co_u32_e32 v3, vcc, v3, v11, vcc
	v_accvgpr_read_b32 v17, a31
                                        ; implicit-def: $sgpr64_sgpr65
	s_branch .LBB4_736
.LBB4_735:                              ;   in Loop: Header=BB4_736 Depth=4
	s_or_b64 exec, exec, s[30:31]
	v_lshrrev_b32_e32 v1, 16, v8
	buffer_store_short v1, off, s[0:3], s33 offset:192
	flat_store_short v[4:5], v1 glc slc
	v_add_co_u32_e32 v1, vcc, v0, v16
	v_addc_co_u32_e32 v8, vcc, v9, v17, vcc
	v_add_co_u32_e32 v10, vcc, v2, v16
	v_accvgpr_read_b32 v14, a39
	v_addc_co_u32_e32 v11, vcc, v3, v17, vcc
	v_accvgpr_read_b32 v13, a40
	v_cndmask_b32_e64 v14, v29, v14, s[66:67]
	v_cndmask_b32_e64 v13, 0, v13, s[66:67]
	v_add_co_u32_e32 v4, vcc, v4, v14
	v_cndmask_b32_e64 v0, v0, v1, s[66:67]
	v_cndmask_b32_e64 v1, 0, v51, s[66:67]
	v_addc_co_u32_e32 v5, vcc, v5, v13, vcc
	v_sub_u32_e32 v6, v6, v1
	v_cmp_gt_i32_e32 vcc, 2, v6
	s_or_b64 s[62:63], vcc, s[62:63]
	s_andn2_b64 vcc, s[64:65], exec
	s_and_b64 s[30:31], s[66:67], exec
	v_cndmask_b32_e64 v3, v3, v11, s[66:67]
	v_cndmask_b32_e64 v2, v2, v10, s[66:67]
	;; [unrolled: 1-line block ×3, first 2 shown]
	s_or_b64 s[64:65], vcc, s[30:31]
	s_andn2_b64 exec, exec, s[62:63]
	s_cbranch_execz .LBB4_751
.LBB4_736:                              ;   Parent Loop BB4_47 Depth=1
                                        ;     Parent Loop BB4_302 Depth=2
                                        ;       Parent Loop BB4_305 Depth=3
                                        ; =>      This Loop Header: Depth=4
                                        ;           Child Loop BB4_737 Depth 5
                                        ;           Child Loop BB4_746 Depth 5
	v_lshrrev_b32_e64 v1, 6, s33
	v_add_u32_e32 v1, 0xc0, v1
	s_mov_b64 s[68:69], -1
	s_mov_b64 s[70:71], 0
.LBB4_737:                              ;   Parent Loop BB4_47 Depth=1
                                        ;     Parent Loop BB4_302 Depth=2
                                        ;       Parent Loop BB4_305 Depth=3
                                        ;         Parent Loop BB4_736 Depth=4
                                        ; =>        This Inner Loop Header: Depth=5
	s_cmp_eq_u32 s70, 1
	s_cselect_b64 s[30:31], -1, 0
	v_cndmask_b32_e64 v11, v9, v3, s[30:31]
	v_cndmask_b32_e64 v10, v0, v2, s[30:31]
	flat_load_ushort v8, v[10:11] glc slc
	v_add_co_u32_e32 v10, vcc, 0x80, v10
	s_cmp_eq_u32 s70, 0
	v_addc_co_u32_e32 v11, vcc, 0, v11, vcc
	s_cselect_b64 vcc, -1, 0
	s_and_b64 s[34:35], exec, s[68:69]
	s_mov_b64 s[70:71], 1
	v_cndmask_b32_e64 v2, v2, v10, s[30:31]
	s_mov_b64 s[68:69], 0
	v_cndmask_b32_e64 v3, v3, v11, s[30:31]
	v_cndmask_b32_e32 v9, v9, v11, vcc
	v_cndmask_b32_e32 v0, v0, v10, vcc
	s_mov_b64 vcc, s[34:35]
	s_waitcnt vmcnt(0) lgkmcnt(0)
	buffer_store_short v8, v1, s[0:3], 0 offen
	v_lshrrev_b32_e64 v1, 6, s33
	v_add_u32_e32 v1, 0xe0, v1
	s_cbranch_vccnz .LBB4_737
; %bb.738:                              ;   in Loop: Header=BB4_736 Depth=4
	s_and_saveexec_b64 s[30:31], s[66:67]
	s_cbranch_execz .LBB4_744
; %bb.739:                              ;   in Loop: Header=BB4_736 Depth=4
	buffer_load_ushort v1, off, s[0:3], s33 offset:188
	buffer_load_ushort v8, off, s[0:3], s33 offset:190
	s_waitcnt vmcnt(1)
	v_lshlrev_b32_e32 v1, 16, v1
	s_waitcnt vmcnt(0)
	v_lshlrev_b32_e32 v8, 16, v8
	v_max_f32_e32 v8, v8, v8
	v_max_f32_e32 v1, v1, v1
	v_min_f32_e32 v10, v1, v8
	v_max_f32_e32 v1, v1, v8
	v_cndmask_b32_e64 v1, v1, v10, s[28:29]
	v_and_b32_e32 v8, 0x7f800000, v1
	v_cmp_ne_u32_e32 vcc, s91, v8
                                        ; implicit-def: $vgpr8
	s_and_saveexec_b64 s[34:35], vcc
	s_xor_b64 vcc, exec, s[34:35]
; %bb.740:                              ;   in Loop: Header=BB4_736 Depth=4
	v_bfe_u32 v8, v1, 16, 1
	v_add3_u32 v8, v1, v8, s92
                                        ; implicit-def: $vgpr1
; %bb.741:                              ;   in Loop: Header=BB4_736 Depth=4
	s_andn2_saveexec_b64 s[34:35], vcc
; %bb.742:                              ;   in Loop: Header=BB4_736 Depth=4
	v_or_b32_e32 v8, 0x10000, v1
	v_cmp_eq_u32_sdwa vcc, v1, v42 src0_sel:WORD_0 src1_sel:DWORD
	v_cndmask_b32_e32 v8, v8, v1, vcc
; %bb.743:                              ;   in Loop: Header=BB4_736 Depth=4
	s_or_b64 exec, exec, s[34:35]
	v_lshrrev_b32_e32 v1, 16, v8
	buffer_store_short v1, off, s[0:3], s33 offset:188
	flat_store_short v[4:5], v1 glc slc
	v_accvgpr_read_b32 v1, a39
	v_add_co_u32_e32 v4, vcc, v4, v1
	v_accvgpr_read_b32 v1, a40
	v_addc_co_u32_e32 v5, vcc, v5, v1, vcc
.LBB4_744:                              ;   in Loop: Header=BB4_736 Depth=4
	s_or_b64 exec, exec, s[30:31]
	v_add_co_u32_e32 v0, vcc, v0, v16
	v_addc_co_u32_e32 v9, vcc, v9, v17, vcc
	v_add_co_u32_e32 v2, vcc, v2, v16
	v_sub_u32_e32 v6, v6, v51
	v_addc_co_u32_e32 v3, vcc, v3, v17, vcc
	v_cmp_lt_i32_e64 s[66:67], 1, v6
	s_and_saveexec_b64 s[68:69], s[66:67]
	s_cbranch_execz .LBB4_747
; %bb.745:                              ;   in Loop: Header=BB4_736 Depth=4
	v_lshrrev_b32_e64 v1, 6, s33
	v_add_u32_e32 v1, 0xbc, v1
	s_mov_b64 s[72:73], 0
	s_mov_b64 s[70:71], -1
.LBB4_746:                              ;   Parent Loop BB4_47 Depth=1
                                        ;     Parent Loop BB4_302 Depth=2
                                        ;       Parent Loop BB4_305 Depth=3
                                        ;         Parent Loop BB4_736 Depth=4
                                        ; =>        This Inner Loop Header: Depth=5
	s_cmp_eq_u32 s72, 1
	s_cselect_b64 s[30:31], -1, 0
	v_cndmask_b32_e64 v11, v9, v3, s[30:31]
	v_cndmask_b32_e64 v10, v0, v2, s[30:31]
	flat_load_ushort v8, v[10:11] glc slc
	v_add_co_u32_e32 v10, vcc, 0x80, v10
	s_cmp_eq_u32 s72, 0
	v_addc_co_u32_e32 v11, vcc, 0, v11, vcc
	s_cselect_b64 vcc, -1, 0
	s_and_b64 s[34:35], exec, s[70:71]
	s_mov_b64 s[72:73], 1
	v_cndmask_b32_e64 v2, v2, v10, s[30:31]
	s_mov_b64 s[70:71], 0
	v_cndmask_b32_e32 v9, v9, v11, vcc
	v_cndmask_b32_e32 v0, v0, v10, vcc
	v_cndmask_b32_e64 v3, v3, v11, s[30:31]
	s_mov_b64 vcc, s[34:35]
	s_waitcnt vmcnt(0) lgkmcnt(0)
	buffer_store_short v8, v1, s[0:3], 0 offen
	v_lshrrev_b32_e64 v1, 6, s33
	v_add_u32_e32 v1, 0xbe, v1
	s_cbranch_vccnz .LBB4_746
.LBB4_747:                              ;   in Loop: Header=BB4_736 Depth=4
	s_or_b64 exec, exec, s[68:69]
	buffer_load_ushort v1, off, s[0:3], s33 offset:192
	buffer_load_ushort v8, off, s[0:3], s33 offset:224
	s_waitcnt vmcnt(0)
	v_lshlrev_b32_e32 v1, 16, v1
	v_lshlrev_b32_e32 v8, 16, v8
	v_max_f32_e32 v8, v8, v8
	v_max_f32_e32 v1, v1, v1
	v_min_f32_e32 v10, v1, v8
	v_max_f32_e32 v1, v1, v8
	v_cndmask_b32_e64 v1, v1, v10, s[28:29]
	v_and_b32_e32 v8, 0x7f800000, v1
	v_cmp_ne_u32_e32 vcc, s91, v8
                                        ; implicit-def: $vgpr8
	s_and_saveexec_b64 s[30:31], vcc
	s_xor_b64 vcc, exec, s[30:31]
; %bb.748:                              ;   in Loop: Header=BB4_736 Depth=4
	v_bfe_u32 v8, v1, 16, 1
	v_add3_u32 v8, v1, v8, s92
                                        ; implicit-def: $vgpr1
; %bb.749:                              ;   in Loop: Header=BB4_736 Depth=4
	s_andn2_saveexec_b64 s[30:31], vcc
	s_cbranch_execz .LBB4_735
; %bb.750:                              ;   in Loop: Header=BB4_736 Depth=4
	v_or_b32_e32 v8, 0x10000, v1
	v_cmp_eq_u32_sdwa vcc, v1, v42 src0_sel:WORD_0 src1_sel:DWORD
	v_cndmask_b32_e32 v8, v8, v1, vcc
	s_branch .LBB4_735
.LBB4_751:                              ;   in Loop: Header=BB4_305 Depth=3
	s_or_b64 exec, exec, s[62:63]
	s_and_b64 s[28:29], s[64:65], exec
.LBB4_752:                              ;   in Loop: Header=BB4_305 Depth=3
	s_or_b64 exec, exec, s[60:61]
	s_and_b64 exec, exec, s[28:29]
	s_cbranch_execz .LBB4_758
; %bb.753:                              ;   in Loop: Header=BB4_305 Depth=3
	buffer_load_ushort v0, off, s[0:3], s33 offset:188
	buffer_load_ushort v1, off, s[0:3], s33 offset:190
	v_cmp_eq_u16_sdwa vcc, v12, v42 src0_sel:BYTE_0 src1_sel:DWORD
	s_waitcnt vmcnt(0)
	v_lshlrev_b32_e32 v0, 16, v0
	v_lshlrev_b32_e32 v1, 16, v1
	v_max_f32_e32 v1, v1, v1
	v_max_f32_e32 v0, v0, v0
	v_min_f32_e32 v2, v0, v1
	v_max_f32_e32 v0, v0, v1
	v_cndmask_b32_e32 v0, v0, v2, vcc
	v_and_b32_e32 v1, 0x7f800000, v0
	v_cmp_ne_u32_e32 vcc, s91, v1
                                        ; implicit-def: $vgpr1
	s_and_saveexec_b64 s[28:29], vcc
	s_xor_b64 s[28:29], exec, s[28:29]
; %bb.754:                              ;   in Loop: Header=BB4_305 Depth=3
	v_bfe_u32 v1, v0, 16, 1
	v_add3_u32 v1, v0, v1, s92
                                        ; implicit-def: $vgpr0
; %bb.755:                              ;   in Loop: Header=BB4_305 Depth=3
	s_andn2_saveexec_b64 s[28:29], s[28:29]
; %bb.756:                              ;   in Loop: Header=BB4_305 Depth=3
	v_or_b32_e32 v1, 0x10000, v0
	v_cmp_eq_u32_sdwa vcc, v0, v42 src0_sel:WORD_0 src1_sel:DWORD
	v_cndmask_b32_e32 v1, v1, v0, vcc
; %bb.757:                              ;   in Loop: Header=BB4_305 Depth=3
	s_or_b64 exec, exec, s[28:29]
	flat_store_short_d16_hi v[4:5], v1 glc slc
.LBB4_758:                              ;   in Loop: Header=BB4_305 Depth=3
	s_or_b64 exec, exec, s[58:59]
.LBB4_759:                              ;   in Loop: Header=BB4_305 Depth=3
	s_or_b64 exec, exec, s[36:37]
	v_accvgpr_read_b32 v16, a30
	v_accvgpr_read_b32 v17, a31
.LBB4_760:                              ;   in Loop: Header=BB4_305 Depth=3
	s_and_saveexec_b64 s[28:29], s[10:11]
	s_cbranch_execz .LBB4_779
; %bb.761:                              ;   in Loop: Header=BB4_305 Depth=3
	s_and_saveexec_b64 vcc, s[44:45]
	s_xor_b64 s[30:31], exec, vcc
	s_cbranch_execz .LBB4_776
; %bb.762:                              ;   in Loop: Header=BB4_305 Depth=3
	s_and_saveexec_b64 s[34:35], s[16:17]
	s_cbranch_execz .LBB4_775
; %bb.763:                              ;   in Loop: Header=BB4_305 Depth=3
	s_mov_b64 s[58:59], exec
	v_mbcnt_lo_u32_b32 v0, s58, 0
	v_mbcnt_hi_u32_b32 v0, s59, v0
	v_cmp_eq_u32_e32 vcc, 0, v0
	s_waitcnt vmcnt(0) lgkmcnt(0)
	buffer_wbinvl1_vol
	s_and_saveexec_b64 s[36:37], vcc
	s_cbranch_execz .LBB4_765
; %bb.764:                              ;   in Loop: Header=BB4_305 Depth=3
	s_bcnt1_i32_b64 vcc_lo, s[58:59]
	v_mov_b32_e32 v0, vcc_lo
	v_mov_b32_e32 v1, v42
	ds_add_u64 v0, v[0:1]
	s_trap 2
.LBB4_765:                              ;   in Loop: Header=BB4_305 Depth=3
	s_or_b64 exec, exec, s[36:37]
	s_trap 2
	ds_read_b64 v[0:1], v0
	v_add_co_u32_e32 v40, vcc, v40, v28
	v_addc_co_u32_e32 v41, vcc, 0, v41, vcc
	s_waitcnt lgkmcnt(0)
	v_cmp_lt_u64_e32 vcc, v[0:1], v[40:41]
	s_and_saveexec_b64 s[36:37], vcc
	s_cbranch_execz .LBB4_774
; %bb.766:                              ;   in Loop: Header=BB4_305 Depth=3
	s_mov_b32 s68, 0
	s_mov_b64 s[58:59], 0
                                        ; implicit-def: $sgpr60_sgpr61
                                        ; implicit-def: $sgpr62_sgpr63
	s_branch .LBB4_768
.LBB4_767:                              ;   in Loop: Header=BB4_768 Depth=4
	s_or_b64 exec, exec, s[66:67]
	s_and_b64 vcc, exec, vcc
	s_or_b64 s[58:59], vcc, s[58:59]
	s_andn2_b64 vcc, s[60:61], exec
	s_and_b64 s[60:61], s[62:63], exec
	s_or_b64 s[60:61], vcc, s[60:61]
	s_andn2_b64 exec, exec, s[58:59]
	s_cbranch_execz .LBB4_772
.LBB4_768:                              ;   Parent Loop BB4_47 Depth=1
                                        ;     Parent Loop BB4_302 Depth=2
                                        ;       Parent Loop BB4_305 Depth=3
                                        ; =>      This Inner Loop Header: Depth=4
	s_add_i32 s68, s68, 1
	s_cmpk_lg_i32 s68, 0x2710
	s_cselect_b64 s[64:65], -1, 0
	s_and_b64 vcc, exec, s[64:65]
                                        ; implicit-def: $sgpr66_sgpr67
	s_cbranch_vccnz .LBB4_770
; %bb.769:                              ;   in Loop: Header=BB4_768 Depth=4
	s_trap 2
	ds_read_b64 v[0:1], v0
	s_andn2_b64 s[64:65], s[64:65], exec
	s_mov_b32 s68, 0
	s_mov_b64 s[66:67], -1
	s_waitcnt lgkmcnt(0)
	flat_load_dword v0, v[0:1] glc
	s_waitcnt vmcnt(0) lgkmcnt(0)
	buffer_invl2
	buffer_wbinvl1_vol
	v_cmp_eq_u32_e32 vcc, 0, v0
	s_and_b64 vcc, vcc, exec
	s_or_b64 s[64:65], s[64:65], vcc
.LBB4_770:                              ;   in Loop: Header=BB4_768 Depth=4
	s_andn2_b64 s[62:63], s[62:63], exec
	s_and_b64 s[66:67], s[66:67], exec
	s_mov_b64 vcc, -1
	s_or_b64 s[62:63], s[62:63], s[66:67]
	s_and_saveexec_b64 s[66:67], s[64:65]
	s_cbranch_execz .LBB4_767
; %bb.771:                              ;   in Loop: Header=BB4_768 Depth=4
	s_sleep 1
	s_trap 2
	ds_read_b64 v[0:1], v0
	s_andn2_b64 s[62:63], s[62:63], exec
	s_waitcnt lgkmcnt(0)
	v_cmp_ge_u64_e32 vcc, v[0:1], v[40:41]
	s_orn2_b64 vcc, vcc, exec
	s_branch .LBB4_767
.LBB4_772:                              ;   in Loop: Header=BB4_305 Depth=3
	s_or_b64 exec, exec, s[58:59]
	s_and_saveexec_b64 vcc, s[60:61]
	s_xor_b64 vcc, exec, vcc
	s_cbranch_execz .LBB4_774
; %bb.773:                              ;   in Loop: Header=BB4_305 Depth=3
	v_mov_b32_e32 v0, 1
	ds_write_b32 v0, v0
	s_trap 2
.LBB4_774:                              ;   in Loop: Header=BB4_305 Depth=3
	s_or_b64 exec, exec, s[36:37]
	;;#ASMSTART
	s_wakeup
	;;#ASMEND
.LBB4_775:                              ;   in Loop: Header=BB4_305 Depth=3
	s_or_b64 exec, exec, s[34:35]
.LBB4_776:                              ;   in Loop: Header=BB4_305 Depth=3
	s_andn2_saveexec_b64 vcc, s[30:31]
	s_cbranch_execz .LBB4_778
; %bb.777:                              ;   in Loop: Header=BB4_305 Depth=3
	s_waitcnt vmcnt(0) lgkmcnt(0)
	buffer_wbinvl1_vol
	s_barrier
.LBB4_778:                              ;   in Loop: Header=BB4_305 Depth=3
	s_or_b64 exec, exec, vcc
.LBB4_779:                              ;   in Loop: Header=BB4_305 Depth=3
	s_or_b64 exec, exec, s[28:29]
	v_and_b32_e32 v0, 16, v62
	s_and_saveexec_b64 s[28:29], s[24:25]
	s_xor_b64 s[30:31], exec, s[28:29]
	s_cbranch_execz .LBB4_783
; %bb.780:                              ;   in Loop: Header=BB4_305 Depth=3
	v_and_b32_e32 v1, 16, v62
	v_cmp_lt_i32_e32 vcc, 0, v33
	v_cmp_ne_u32_e64 s[28:29], 0, v1
	v_and_b32_e32 v0, 16, v62
	s_and_b64 vcc, s[28:29], vcc
	s_and_saveexec_b64 s[28:29], vcc
	s_cbranch_execz .LBB4_782
; %bb.781:                              ;   in Loop: Header=BB4_305 Depth=3
	v_mov_b32_e32 v0, 1
	s_waitcnt vmcnt(0) lgkmcnt(0)
	buffer_wbinvl1_vol
.LBB4_782:                              ;   in Loop: Header=BB4_305 Depth=3
	s_or_b64 exec, exec, s[28:29]
.LBB4_783:                              ;   in Loop: Header=BB4_305 Depth=3
	s_andn2_saveexec_b64 s[28:29], s[30:31]
	s_cbranch_execz .LBB4_802
; %bb.784:                              ;   in Loop: Header=BB4_305 Depth=3
	s_and_saveexec_b64 vcc, s[44:45]
	s_xor_b64 s[30:31], exec, vcc
	s_cbranch_execz .LBB4_799
; %bb.785:                              ;   in Loop: Header=BB4_305 Depth=3
	s_and_saveexec_b64 s[34:35], s[16:17]
	s_cbranch_execz .LBB4_798
; %bb.786:                              ;   in Loop: Header=BB4_305 Depth=3
	s_mov_b64 s[58:59], exec
	v_mbcnt_lo_u32_b32 v1, s58, 0
	v_mbcnt_hi_u32_b32 v1, s59, v1
	v_cmp_eq_u32_e32 vcc, 0, v1
	;;#ASMSTART
	s_waitcnt lgkmcnt(0) vmcnt(0)
	;;#ASMEND
	s_and_saveexec_b64 s[36:37], vcc
	s_cbranch_execz .LBB4_788
; %bb.787:                              ;   in Loop: Header=BB4_305 Depth=3
	s_bcnt1_i32_b64 vcc_lo, s[58:59]
	v_mov_b32_e32 v2, vcc_lo
	v_mov_b32_e32 v3, v42
	ds_add_u64 v0, v[2:3]
	s_trap 2
.LBB4_788:                              ;   in Loop: Header=BB4_305 Depth=3
	s_or_b64 exec, exec, s[36:37]
	s_trap 2
	ds_read_b64 v[2:3], v0
	v_add_co_u32_e32 v40, vcc, v40, v28
	v_addc_co_u32_e32 v41, vcc, 0, v41, vcc
	s_waitcnt lgkmcnt(0)
	v_cmp_lt_u64_e32 vcc, v[2:3], v[40:41]
	s_and_saveexec_b64 s[36:37], vcc
	s_cbranch_execz .LBB4_797
; %bb.789:                              ;   in Loop: Header=BB4_305 Depth=3
	s_mov_b32 s68, 0
	s_mov_b64 s[58:59], 0
                                        ; implicit-def: $sgpr60_sgpr61
                                        ; implicit-def: $sgpr62_sgpr63
	s_branch .LBB4_791
.LBB4_790:                              ;   in Loop: Header=BB4_791 Depth=4
	s_or_b64 exec, exec, s[66:67]
	s_and_b64 vcc, exec, vcc
	s_or_b64 s[58:59], vcc, s[58:59]
	s_andn2_b64 vcc, s[60:61], exec
	s_and_b64 s[60:61], s[62:63], exec
	s_or_b64 s[60:61], vcc, s[60:61]
	s_andn2_b64 exec, exec, s[58:59]
	s_cbranch_execz .LBB4_795
.LBB4_791:                              ;   Parent Loop BB4_47 Depth=1
                                        ;     Parent Loop BB4_302 Depth=2
                                        ;       Parent Loop BB4_305 Depth=3
                                        ; =>      This Inner Loop Header: Depth=4
	s_add_i32 s68, s68, 1
	s_cmpk_lg_i32 s68, 0x2710
	s_cselect_b64 s[64:65], -1, 0
	s_and_b64 vcc, exec, s[64:65]
                                        ; implicit-def: $sgpr66_sgpr67
	s_cbranch_vccnz .LBB4_793
; %bb.792:                              ;   in Loop: Header=BB4_791 Depth=4
	s_trap 2
	ds_read_b64 v[2:3], v0
	s_andn2_b64 s[64:65], s[64:65], exec
	s_mov_b32 s68, 0
	s_mov_b64 s[66:67], -1
	s_waitcnt vmcnt(0) lgkmcnt(0)
	flat_load_dword v1, v[2:3] glc
	s_waitcnt vmcnt(0) lgkmcnt(0)
	buffer_invl2
	buffer_wbinvl1_vol
	v_cmp_eq_u32_e32 vcc, 0, v1
	s_and_b64 vcc, vcc, exec
	s_or_b64 s[64:65], s[64:65], vcc
.LBB4_793:                              ;   in Loop: Header=BB4_791 Depth=4
	s_andn2_b64 s[62:63], s[62:63], exec
	s_and_b64 s[66:67], s[66:67], exec
	s_mov_b64 vcc, -1
	s_or_b64 s[62:63], s[62:63], s[66:67]
	s_and_saveexec_b64 s[66:67], s[64:65]
	s_cbranch_execz .LBB4_790
; %bb.794:                              ;   in Loop: Header=BB4_791 Depth=4
	s_sleep 1
	s_trap 2
	ds_read_b64 v[2:3], v0
	s_andn2_b64 s[62:63], s[62:63], exec
	s_waitcnt lgkmcnt(0)
	v_cmp_ge_u64_e32 vcc, v[2:3], v[40:41]
	s_orn2_b64 vcc, vcc, exec
	s_branch .LBB4_790
.LBB4_795:                              ;   in Loop: Header=BB4_305 Depth=3
	s_or_b64 exec, exec, s[58:59]
	s_and_saveexec_b64 vcc, s[60:61]
	s_xor_b64 vcc, exec, vcc
	s_cbranch_execz .LBB4_797
; %bb.796:                              ;   in Loop: Header=BB4_305 Depth=3
	v_mov_b32_e32 v1, 1
	ds_write_b32 v0, v1
	s_trap 2
.LBB4_797:                              ;   in Loop: Header=BB4_305 Depth=3
	s_or_b64 exec, exec, s[36:37]
	;;#ASMSTART
	s_wakeup
	;;#ASMEND
.LBB4_798:                              ;   in Loop: Header=BB4_305 Depth=3
	s_or_b64 exec, exec, s[34:35]
.LBB4_799:                              ;   in Loop: Header=BB4_305 Depth=3
	s_andn2_saveexec_b64 vcc, s[30:31]
	s_cbranch_execz .LBB4_801
; %bb.800:                              ;   in Loop: Header=BB4_305 Depth=3
	;;#ASMSTART
	s_waitcnt lgkmcnt(0) vmcnt(0)
	;;#ASMEND
	s_barrier
.LBB4_801:                              ;   in Loop: Header=BB4_305 Depth=3
	s_or_b64 exec, exec, vcc
.LBB4_802:                              ;   in Loop: Header=BB4_305 Depth=3
	s_or_b64 exec, exec, s[28:29]
	v_cmp_ne_u32_e32 vcc, 0, v0
	s_xor_b64 s[28:29], s[12:13], -1
	s_and_b64 vcc, vcc, s[28:29]
	s_and_saveexec_b64 s[28:29], vcc
	s_cbranch_execz .LBB4_804
; %bb.803:                              ;   in Loop: Header=BB4_305 Depth=3
	v_accvgpr_read_b32 v0, a18
	v_accvgpr_read_b32 v1, a19
	v_mov_b32_e32 v2, 1
	flat_store_dword v[0:1], v2
.LBB4_804:                              ;   in Loop: Header=BB4_305 Depth=3
	s_or_b64 exec, exec, s[28:29]
	v_and_b32_e32 v0, 48, v62
	v_cmp_ne_u32_e32 vcc, 0, v0
	s_and_saveexec_b64 s[28:29], vcc
	s_cbranch_execz .LBB4_304
; %bb.805:                              ;   in Loop: Header=BB4_305 Depth=3
	v_add_co_u32_e32 v44, vcc, 2, v44
	v_addc_co_u32_e32 v45, vcc, 0, v45, vcc
	flat_store_dwordx2 v[46:47], v[44:45]
	s_branch .LBB4_304
.LBB4_806:                              ;   in Loop: Header=BB4_302 Depth=2
	s_or_b64 exec, exec, s[52:53]
	v_cmp_gt_i32_e32 vcc, 2, v0
	s_and_saveexec_b64 s[30:31], vcc
	s_cbranch_execz .LBB4_301
	s_branch .LBB4_808
.LBB4_807:                              ;   in Loop: Header=BB4_302 Depth=2
	s_or_b64 exec, exec, s[54:55]
	s_or_b64 exec, exec, s[52:53]
	v_cmp_gt_i32_e32 vcc, 2, v0
	s_and_saveexec_b64 s[30:31], vcc
	s_cbranch_execz .LBB4_301
.LBB4_808:                              ;   in Loop: Header=BB4_302 Depth=2
	v_cmp_eq_u32_e64 s[28:29], 0, v0
	s_mov_b64 s[34:35], 0
	s_branch .LBB4_810
.LBB4_809:                              ;   in Loop: Header=BB4_810 Depth=3
	s_or_b64 exec, exec, s[28:29]
	v_add_u32_e32 v54, v52, v54
	s_mov_b64 s[28:29], 0
	s_andn2_b64 exec, exec, s[34:35]
	s_cbranch_execz .LBB4_300
.LBB4_810:                              ;   Parent Loop BB4_47 Depth=1
                                        ;     Parent Loop BB4_302 Depth=2
                                        ; =>    This Loop Header: Depth=3
                                        ;         Child Loop BB4_816 Depth 4
                                        ;         Child Loop BB4_856 Depth 4
	;; [unrolled: 1-line block ×3, first 2 shown]
	v_and_b32_e32 v0, 12, v62
	s_mov_b64 s[52:53], -1
	v_cmp_ne_u32_e32 vcc, 0, v0
	s_and_saveexec_b64 s[36:37], vcc
	s_cbranch_execz .LBB4_822
; %bb.811:                              ;   in Loop: Header=BB4_810 Depth=3
	v_and_b32_e32 v0, 8, v62
	v_add_co_u32_e32 v4, vcc, v60, v0
	v_addc_co_u32_e32 v5, vcc, 0, v61, vcc
	v_add_co_u32_e32 v2, vcc, 2, v44
	v_addc_co_u32_e32 v3, vcc, 0, v45, vcc
	v_cmp_lt_u64_e32 vcc, v[4:5], v[2:3]
	v_mov_b32_e32 v1, 1
	s_and_saveexec_b64 s[52:53], vcc
	s_cbranch_execz .LBB4_821
; %bb.812:                              ;   in Loop: Header=BB4_810 Depth=3
	s_mov_b64 s[54:55], 0
	v_mov_b32_e32 v1, 0
                                        ; implicit-def: $sgpr56_sgpr57
	s_branch .LBB4_816
.LBB4_813:                              ;   in Loop: Header=BB4_816 Depth=4
	s_or_b64 exec, exec, s[64:65]
	v_mov_b32_e32 v4, 0
	s_orn2_b64 s[62:63], s[62:63], exec
.LBB4_814:                              ;   in Loop: Header=BB4_816 Depth=4
	s_or_b64 exec, exec, s[60:61]
	s_andn2_b64 vcc, s[56:57], exec
	s_and_b64 s[56:57], s[62:63], exec
	s_or_b64 s[56:57], vcc, s[56:57]
	v_mov_b32_e32 v1, v4
.LBB4_815:                              ;   in Loop: Header=BB4_816 Depth=4
	s_or_b64 exec, exec, s[58:59]
	s_waitcnt vmcnt(0) lgkmcnt(0)
	v_add_co_u32_e32 v4, vcc, v60, v0
	v_addc_co_u32_e32 v5, vcc, 0, v61, vcc
	v_cmp_ge_u64_e32 vcc, v[4:5], v[2:3]
	s_xor_b64 s[58:59], s[56:57], -1
	s_or_b64 vcc, s[58:59], vcc
	s_and_b64 vcc, exec, vcc
	s_or_b64 s[54:55], vcc, s[54:55]
	s_andn2_b64 exec, exec, s[54:55]
	s_cbranch_execz .LBB4_820
.LBB4_816:                              ;   Parent Loop BB4_47 Depth=1
                                        ;     Parent Loop BB4_302 Depth=2
                                        ;       Parent Loop BB4_810 Depth=3
                                        ; =>      This Inner Loop Header: Depth=4
	s_sleep 1
	flat_load_dwordx2 v[60:61], v[46:47] glc
	v_and_b32_e32 v4, 64, v62
	v_cmp_eq_u32_e32 vcc, 0, v4
	s_andn2_b64 s[56:57], s[56:57], exec
	s_and_saveexec_b64 s[58:59], vcc
	s_cbranch_execz .LBB4_815
; %bb.817:                              ;   in Loop: Header=BB4_816 Depth=4
	v_add_u32_e32 v4, 1, v1
	v_cmp_lt_i32_e32 vcc, s89, v1
	s_mov_b64 s[62:63], -1
	s_and_saveexec_b64 s[60:61], vcc
	s_cbranch_execz .LBB4_814
; %bb.818:                              ;   in Loop: Header=BB4_816 Depth=4
	s_trap 2
	ds_read_b64 v[4:5], v0
	s_waitcnt vmcnt(0) lgkmcnt(0)
	flat_load_dword v1, v[4:5] glc
	s_waitcnt vmcnt(0) lgkmcnt(0)
	buffer_invl2
	buffer_wbinvl1_vol
	v_cmp_ne_u32_e32 vcc, 0, v1
	s_and_saveexec_b64 s[64:65], vcc
	s_cbranch_execz .LBB4_813
; %bb.819:                              ;   in Loop: Header=BB4_816 Depth=4
	v_or_b32_e32 v62, 64, v62
	s_xor_b64 s[62:63], exec, -1
	ds_write_b32 v0, v1
	s_trap 2
	s_branch .LBB4_813
.LBB4_820:                              ;   in Loop: Header=BB4_810 Depth=3
	s_or_b64 exec, exec, s[54:55]
	v_and_b32_e32 v1, 12, v62
.LBB4_821:                              ;   in Loop: Header=BB4_810 Depth=3
	s_or_b64 exec, exec, s[52:53]
	v_cmp_eq_u32_e32 vcc, 0, v1
	s_orn2_b64 s[52:53], vcc, exec
	;;#ASMSTART
	s_wakeup
	;;#ASMEND
.LBB4_822:                              ;   in Loop: Header=BB4_810 Depth=3
	s_or_b64 exec, exec, s[36:37]
	s_xor_b64 s[28:29], s[28:29], -1
	s_and_b64 s[28:29], exec, s[28:29]
	s_or_b64 s[34:35], s[28:29], s[34:35]
	v_sub_u32_e32 v0, v32, v54
	s_xor_b64 s[28:29], s[52:53], -1
	v_min_i32_e32 v52, v52, v0
	s_and_saveexec_b64 s[36:37], s[28:29]
	s_cbranch_execz .LBB4_848
; %bb.823:                              ;   in Loop: Header=BB4_810 Depth=3
	v_and_b32_e32 v0, 0x108, v62
	v_cmp_ne_u32_e32 vcc, s90, v0
	v_and_b32_e32 v0, 7, v44
	s_and_saveexec_b64 s[28:29], vcc
	s_xor_b64 s[28:29], exec, s[28:29]
                                        ; implicit-def: $vgpr2_vgpr3
; %bb.824:                              ;   in Loop: Header=BB4_810 Depth=3
	v_mov_b32_e32 v3, v42
; %bb.825:                              ;   in Loop: Header=BB4_810 Depth=3
	s_andn2_saveexec_b64 s[28:29], s[28:29]
	s_cbranch_execz .LBB4_827
; %bb.826:                              ;   in Loop: Header=BB4_810 Depth=3
	v_ashrrev_i32_e32 v53, 31, v52
	v_mov_b32_e32 v3, v42
	v_mad_u64_u32 v[4:5], vcc, v0, 24, v[48:49]
	v_lshlrev_b64 v[8:9], 1, v[52:53]
	flat_store_dwordx2 v[4:5], v[8:9] offset:8
.LBB4_827:                              ;   in Loop: Header=BB4_810 Depth=3
	s_or_b64 exec, exec, s[28:29]
	v_and_b32_e32 v1, 0x100, v62
	v_cmp_ne_u32_e32 vcc, 0, v1
	s_mov_b64 s[28:29], -1
                                        ; implicit-def: $vgpr4_vgpr5
	s_and_saveexec_b64 s[52:53], vcc
	s_cbranch_execz .LBB4_831
; %bb.828:                              ;   in Loop: Header=BB4_810 Depth=3
	v_mad_u64_u32 v[8:9], s[28:29], v0, 24, v[48:49]
	v_mov_b32_e32 v2, v9
	v_mad_u64_u32 v[4:5], s[28:29], v3, 24, v[2:3]
	v_mov_b32_e32 v9, v4
	flat_load_dword v1, v[8:9]
                                        ; implicit-def: $vgpr4_vgpr5
	s_waitcnt vmcnt(0) lgkmcnt(0)
	v_cmp_ne_u32_e32 vcc, 1, v1
	v_cmp_eq_u32_e64 s[28:29], 1, v1
	s_and_saveexec_b64 s[54:55], s[28:29]
	s_cbranch_execz .LBB4_830
; %bb.829:                              ;   in Loop: Header=BB4_810 Depth=3
	flat_load_dword v4, v[8:9] offset:4 glc
	s_waitcnt vmcnt(0) lgkmcnt(0)
	v_ashrrev_i32_e32 v5, 31, v4
	v_lshrrev_b64 v[4:5], 1, v[4:5]
.LBB4_830:                              ;   in Loop: Header=BB4_810 Depth=3
	s_or_b64 exec, exec, s[54:55]
	s_orn2_b64 s[28:29], vcc, exec
.LBB4_831:                              ;   in Loop: Header=BB4_810 Depth=3
	s_or_b64 exec, exec, s[52:53]
	s_and_saveexec_b64 vcc, s[28:29]
; %bb.832:                              ;   in Loop: Header=BB4_810 Depth=3
	v_accvgpr_read_b32 v4, a14
	v_mul_lo_u32 v1, v3, v4
	v_accvgpr_read_b32 v3, a53
	v_mul_lo_u32 v2, v0, v3
	v_mad_u64_u32 v[4:5], s[28:29], v0, v4, 0
	v_add3_u32 v5, v5, v2, v1
; %bb.833:                              ;   in Loop: Header=BB4_810 Depth=3
	s_or_b64 exec, exec, vcc
	v_lshlrev_b64 v[0:1], 1, v[4:5]
	v_accvgpr_read_b32 v2, a16
	v_accvgpr_read_b32 v3, a17
	v_add_co_u32_e32 v0, vcc, v2, v0
	v_addc_co_u32_e32 v1, vcc, v3, v1, vcc
	s_trap 2
	ds_write_b64 v0, v[0:1]
	v_and_b32_e32 v0, 0x2000, v62
	v_cmp_ne_u32_e32 vcc, 0, v0
	s_and_saveexec_b64 s[28:29], vcc
	s_cbranch_execz .LBB4_835
; %bb.834:                              ;   in Loop: Header=BB4_810 Depth=3
	ds_read_b64 v[0:1], v0 offset:584
	s_waitcnt lgkmcnt(0)
	v_add_co_u32_e32 v0, vcc, 1, v0
	v_addc_co_u32_e32 v1, vcc, 0, v1, vcc
	ds_write_b64 v0, v[0:1] offset:584
.LBB4_835:                              ;   in Loop: Header=BB4_810 Depth=3
	s_or_b64 exec, exec, s[28:29]
	v_add_co_u32_e32 v44, vcc, 2, v44
	v_addc_co_u32_e32 v45, vcc, 0, v45, vcc
	s_or_b64 exec, exec, s[36:37]
	s_and_saveexec_b64 s[28:29], s[10:11]
	s_cbranch_execnz .LBB4_849
.LBB4_836:                              ;   in Loop: Header=BB4_810 Depth=3
	s_or_b64 exec, exec, s[28:29]
                                        ; implicit-def: $vgpr0
	s_and_saveexec_b64 s[28:29], s[48:49]
	s_xor_b64 s[28:29], exec, s[28:29]
	s_cbranch_execz .LBB4_874
.LBB4_837:                              ;   in Loop: Header=BB4_810 Depth=3
	s_and_saveexec_b64 vcc, s[44:45]
	s_xor_b64 s[36:37], exec, vcc
	s_cbranch_execz .LBB4_864
; %bb.838:                              ;   in Loop: Header=BB4_810 Depth=3
	s_and_saveexec_b64 s[52:53], s[16:17]
	s_cbranch_execz .LBB4_863
; %bb.839:                              ;   in Loop: Header=BB4_810 Depth=3
	s_mov_b64 s[56:57], exec
	v_mbcnt_lo_u32_b32 v0, s56, 0
	v_mbcnt_hi_u32_b32 v0, s57, v0
	v_cmp_eq_u32_e32 vcc, 0, v0
	;;#ASMSTART
	s_waitcnt lgkmcnt(0) vmcnt(0)
	;;#ASMEND
	s_and_saveexec_b64 s[54:55], vcc
	s_cbranch_execz .LBB4_841
; %bb.840:                              ;   in Loop: Header=BB4_810 Depth=3
	s_bcnt1_i32_b64 vcc_lo, s[56:57]
	v_mov_b32_e32 v0, vcc_lo
	v_mov_b32_e32 v1, v42
	ds_add_u64 v0, v[0:1]
	s_trap 2
.LBB4_841:                              ;   in Loop: Header=BB4_810 Depth=3
	s_or_b64 exec, exec, s[54:55]
	s_trap 2
	ds_read_b64 v[0:1], v0
	v_add_co_u32_e32 v40, vcc, v40, v28
	v_addc_co_u32_e32 v41, vcc, 0, v41, vcc
	s_waitcnt lgkmcnt(0)
	v_cmp_lt_u64_e32 vcc, v[0:1], v[40:41]
	s_and_saveexec_b64 s[54:55], vcc
	s_cbranch_execz .LBB4_862
; %bb.842:                              ;   in Loop: Header=BB4_810 Depth=3
	s_mov_b32 s66, 0
	s_mov_b64 s[56:57], 0
                                        ; implicit-def: $sgpr58_sgpr59
                                        ; implicit-def: $sgpr60_sgpr61
	s_branch .LBB4_844
.LBB4_843:                              ;   in Loop: Header=BB4_844 Depth=4
	s_or_b64 exec, exec, s[64:65]
	s_and_b64 vcc, exec, vcc
	s_or_b64 s[56:57], vcc, s[56:57]
	s_andn2_b64 vcc, s[58:59], exec
	s_and_b64 s[58:59], s[60:61], exec
	s_or_b64 s[58:59], vcc, s[58:59]
	s_andn2_b64 exec, exec, s[56:57]
	s_cbranch_execz .LBB4_860
.LBB4_844:                              ;   Parent Loop BB4_47 Depth=1
                                        ;     Parent Loop BB4_302 Depth=2
                                        ;       Parent Loop BB4_810 Depth=3
                                        ; =>      This Inner Loop Header: Depth=4
	s_add_i32 s66, s66, 1
	s_cmpk_lg_i32 s66, 0x2710
	s_cselect_b64 s[62:63], -1, 0
	s_and_b64 vcc, exec, s[62:63]
                                        ; implicit-def: $sgpr64_sgpr65
	s_cbranch_vccnz .LBB4_846
; %bb.845:                              ;   in Loop: Header=BB4_844 Depth=4
	s_trap 2
	ds_read_b64 v[0:1], v0
	s_andn2_b64 s[62:63], s[62:63], exec
	s_mov_b32 s66, 0
	s_mov_b64 s[64:65], -1
	s_waitcnt vmcnt(0) lgkmcnt(0)
	flat_load_dword v0, v[0:1] glc
	s_waitcnt vmcnt(0) lgkmcnt(0)
	buffer_invl2
	buffer_wbinvl1_vol
	v_cmp_eq_u32_e32 vcc, 0, v0
	s_and_b64 vcc, vcc, exec
	s_or_b64 s[62:63], s[62:63], vcc
.LBB4_846:                              ;   in Loop: Header=BB4_844 Depth=4
	s_andn2_b64 s[60:61], s[60:61], exec
	s_and_b64 s[64:65], s[64:65], exec
	s_mov_b64 vcc, -1
	s_or_b64 s[60:61], s[60:61], s[64:65]
	s_and_saveexec_b64 s[64:65], s[62:63]
	s_cbranch_execz .LBB4_843
; %bb.847:                              ;   in Loop: Header=BB4_844 Depth=4
	s_sleep 1
	s_trap 2
	ds_read_b64 v[0:1], v0
	s_andn2_b64 s[60:61], s[60:61], exec
	s_waitcnt lgkmcnt(0)
	v_cmp_ge_u64_e32 vcc, v[0:1], v[40:41]
	s_orn2_b64 vcc, vcc, exec
	s_branch .LBB4_843
.LBB4_848:                              ;   in Loop: Header=BB4_810 Depth=3
	s_or_b64 exec, exec, s[36:37]
	s_and_saveexec_b64 s[28:29], s[10:11]
	s_cbranch_execz .LBB4_836
.LBB4_849:                              ;   in Loop: Header=BB4_810 Depth=3
	s_and_saveexec_b64 vcc, s[44:45]
	s_xor_b64 s[36:37], exec, vcc
	s_cbranch_execz .LBB4_871
; %bb.850:                              ;   in Loop: Header=BB4_810 Depth=3
	s_and_saveexec_b64 s[52:53], s[16:17]
	s_cbranch_execz .LBB4_870
; %bb.851:                              ;   in Loop: Header=BB4_810 Depth=3
	s_mov_b64 s[56:57], exec
	v_mbcnt_lo_u32_b32 v0, s56, 0
	v_mbcnt_hi_u32_b32 v0, s57, v0
	v_cmp_eq_u32_e32 vcc, 0, v0
	s_waitcnt vmcnt(0) lgkmcnt(0)
	buffer_wbinvl1_vol
	s_and_saveexec_b64 s[54:55], vcc
	s_cbranch_execz .LBB4_853
; %bb.852:                              ;   in Loop: Header=BB4_810 Depth=3
	s_bcnt1_i32_b64 vcc_lo, s[56:57]
	v_mov_b32_e32 v0, vcc_lo
	v_mov_b32_e32 v1, v42
	ds_add_u64 v0, v[0:1]
	s_trap 2
.LBB4_853:                              ;   in Loop: Header=BB4_810 Depth=3
	s_or_b64 exec, exec, s[54:55]
	s_trap 2
	ds_read_b64 v[0:1], v0
	v_add_co_u32_e32 v40, vcc, v40, v28
	v_addc_co_u32_e32 v41, vcc, 0, v41, vcc
	s_waitcnt lgkmcnt(0)
	v_cmp_lt_u64_e32 vcc, v[0:1], v[40:41]
	s_and_saveexec_b64 s[54:55], vcc
	s_cbranch_execz .LBB4_869
; %bb.854:                              ;   in Loop: Header=BB4_810 Depth=3
	s_mov_b32 s66, 0
	s_mov_b64 s[56:57], 0
                                        ; implicit-def: $sgpr58_sgpr59
                                        ; implicit-def: $sgpr60_sgpr61
	s_branch .LBB4_856
.LBB4_855:                              ;   in Loop: Header=BB4_856 Depth=4
	s_or_b64 exec, exec, s[64:65]
	s_and_b64 vcc, exec, vcc
	s_or_b64 s[56:57], vcc, s[56:57]
	s_andn2_b64 vcc, s[58:59], exec
	s_and_b64 s[58:59], s[60:61], exec
	s_or_b64 s[58:59], vcc, s[58:59]
	s_andn2_b64 exec, exec, s[56:57]
	s_cbranch_execz .LBB4_867
.LBB4_856:                              ;   Parent Loop BB4_47 Depth=1
                                        ;     Parent Loop BB4_302 Depth=2
                                        ;       Parent Loop BB4_810 Depth=3
                                        ; =>      This Inner Loop Header: Depth=4
	s_add_i32 s66, s66, 1
	s_cmpk_lg_i32 s66, 0x2710
	s_cselect_b64 s[62:63], -1, 0
	s_and_b64 vcc, exec, s[62:63]
                                        ; implicit-def: $sgpr64_sgpr65
	s_cbranch_vccnz .LBB4_858
; %bb.857:                              ;   in Loop: Header=BB4_856 Depth=4
	s_trap 2
	ds_read_b64 v[0:1], v0
	s_andn2_b64 s[62:63], s[62:63], exec
	s_mov_b32 s66, 0
	s_mov_b64 s[64:65], -1
	s_waitcnt lgkmcnt(0)
	flat_load_dword v0, v[0:1] glc
	s_waitcnt vmcnt(0) lgkmcnt(0)
	buffer_invl2
	buffer_wbinvl1_vol
	v_cmp_eq_u32_e32 vcc, 0, v0
	s_and_b64 vcc, vcc, exec
	s_or_b64 s[62:63], s[62:63], vcc
.LBB4_858:                              ;   in Loop: Header=BB4_856 Depth=4
	s_andn2_b64 s[60:61], s[60:61], exec
	s_and_b64 s[64:65], s[64:65], exec
	s_mov_b64 vcc, -1
	s_or_b64 s[60:61], s[60:61], s[64:65]
	s_and_saveexec_b64 s[64:65], s[62:63]
	s_cbranch_execz .LBB4_855
; %bb.859:                              ;   in Loop: Header=BB4_856 Depth=4
	s_sleep 1
	s_trap 2
	ds_read_b64 v[0:1], v0
	s_andn2_b64 s[60:61], s[60:61], exec
	s_waitcnt lgkmcnt(0)
	v_cmp_ge_u64_e32 vcc, v[0:1], v[40:41]
	s_orn2_b64 vcc, vcc, exec
	s_branch .LBB4_855
.LBB4_860:                              ;   in Loop: Header=BB4_810 Depth=3
	s_or_b64 exec, exec, s[56:57]
	s_and_saveexec_b64 vcc, s[58:59]
	s_xor_b64 vcc, exec, vcc
	s_cbranch_execz .LBB4_862
; %bb.861:                              ;   in Loop: Header=BB4_810 Depth=3
	v_mov_b32_e32 v0, 1
	ds_write_b32 v0, v0
	s_trap 2
.LBB4_862:                              ;   in Loop: Header=BB4_810 Depth=3
	s_or_b64 exec, exec, s[54:55]
	;;#ASMSTART
	s_wakeup
	;;#ASMEND
.LBB4_863:                              ;   in Loop: Header=BB4_810 Depth=3
	s_or_b64 exec, exec, s[52:53]
.LBB4_864:                              ;   in Loop: Header=BB4_810 Depth=3
	s_andn2_saveexec_b64 vcc, s[36:37]
	s_cbranch_execz .LBB4_866
; %bb.865:                              ;   in Loop: Header=BB4_810 Depth=3
	;;#ASMSTART
	s_waitcnt lgkmcnt(0) vmcnt(0)
	;;#ASMEND
	s_barrier
.LBB4_866:                              ;   in Loop: Header=BB4_810 Depth=3
	s_or_b64 exec, exec, vcc
	v_and_b32_e32 v0, 16, v62
	s_andn2_saveexec_b64 s[28:29], s[28:29]
	s_cbranch_execz .LBB4_878
	s_branch .LBB4_875
.LBB4_867:                              ;   in Loop: Header=BB4_810 Depth=3
	s_or_b64 exec, exec, s[56:57]
	s_and_saveexec_b64 vcc, s[58:59]
	s_xor_b64 vcc, exec, vcc
	s_cbranch_execz .LBB4_869
; %bb.868:                              ;   in Loop: Header=BB4_810 Depth=3
	v_mov_b32_e32 v0, 1
	ds_write_b32 v0, v0
	s_trap 2
.LBB4_869:                              ;   in Loop: Header=BB4_810 Depth=3
	s_or_b64 exec, exec, s[54:55]
	;;#ASMSTART
	s_wakeup
	;;#ASMEND
.LBB4_870:                              ;   in Loop: Header=BB4_810 Depth=3
	s_or_b64 exec, exec, s[52:53]
.LBB4_871:                              ;   in Loop: Header=BB4_810 Depth=3
	s_andn2_saveexec_b64 vcc, s[36:37]
	s_cbranch_execz .LBB4_873
; %bb.872:                              ;   in Loop: Header=BB4_810 Depth=3
	s_waitcnt vmcnt(0) lgkmcnt(0)
	buffer_wbinvl1_vol
	s_barrier
.LBB4_873:                              ;   in Loop: Header=BB4_810 Depth=3
	s_or_b64 exec, exec, vcc
	s_or_b64 exec, exec, s[28:29]
                                        ; implicit-def: $vgpr0
	s_and_saveexec_b64 s[28:29], s[48:49]
	s_xor_b64 s[28:29], exec, s[28:29]
	s_cbranch_execnz .LBB4_837
.LBB4_874:                              ;   in Loop: Header=BB4_810 Depth=3
	s_andn2_saveexec_b64 s[28:29], s[28:29]
	s_cbranch_execz .LBB4_878
.LBB4_875:                              ;   in Loop: Header=BB4_810 Depth=3
	s_trap 2
	ds_read_b32 v1, v0
	v_cmp_lt_i32_e32 vcc, 0, v52
	v_and_b32_e32 v2, 16, v62
	v_and_b32_e32 v0, 16, v62
	s_waitcnt lgkmcnt(0)
	v_readfirstlane_b32 s36, v1
	s_cmp_eq_u32 s36, 0
	s_cselect_b64 s[36:37], -1, 0
	s_and_b64 s[36:37], vcc, s[36:37]
	v_cmp_ne_u32_e32 vcc, 0, v2
	s_and_b64 s[36:37], vcc, s[36:37]
	s_and_saveexec_b64 vcc, s[36:37]
	s_cbranch_execz .LBB4_877
; %bb.876:                              ;   in Loop: Header=BB4_810 Depth=3
	v_mov_b32_e32 v0, 1
	s_waitcnt vmcnt(0)
	buffer_wbinvl1_vol
.LBB4_877:                              ;   in Loop: Header=BB4_810 Depth=3
	s_or_b64 exec, exec, vcc
.LBB4_878:                              ;   in Loop: Header=BB4_810 Depth=3
	s_or_b64 exec, exec, s[28:29]
	v_cmp_ne_u32_e32 vcc, 0, v0
	s_xor_b64 s[28:29], s[12:13], -1
	s_and_b64 vcc, vcc, s[28:29]
	s_and_saveexec_b64 s[28:29], vcc
	s_cbranch_execz .LBB4_880
; %bb.879:                              ;   in Loop: Header=BB4_810 Depth=3
	v_accvgpr_read_b32 v0, a18
	v_accvgpr_read_b32 v1, a19
	v_mov_b32_e32 v2, 1
	flat_store_dword v[0:1], v2
.LBB4_880:                              ;   in Loop: Header=BB4_810 Depth=3
	s_or_b64 exec, exec, s[28:29]
	v_and_b32_e32 v0, 48, v62
	v_cmp_ne_u32_e32 vcc, 0, v0
	s_and_saveexec_b64 s[28:29], vcc
	s_cbranch_execz .LBB4_809
; %bb.881:                              ;   in Loop: Header=BB4_810 Depth=3
	v_add_co_u32_e32 v44, vcc, 2, v44
	v_addc_co_u32_e32 v45, vcc, 0, v45, vcc
	flat_store_dwordx2 v[46:47], v[44:45]
	s_branch .LBB4_809
.LBB4_882:                              ;   in Loop: Header=BB4_47 Depth=1
	v_accvgpr_read_b32 v53, a17
	v_accvgpr_read_b32 v55, a23
	v_accvgpr_read_b32 v38, a14
	v_accvgpr_read_b32 v52, a16
	v_accvgpr_read_b32 v50, a20
	v_accvgpr_read_b32 v54, a22
.LBB4_883:                              ;   in Loop: Header=BB4_47 Depth=1
	v_accvgpr_read_b32 v4, a60
	v_accvgpr_read_b32 v5, a61
	v_mul_lo_u32 v0, v5, s76
	v_mul_lo_u32 v1, v4, s77
	v_mad_u64_u32 v[2:3], s[28:29], v4, s76, 0
	v_add3_u32 v3, v3, v1, v0
	v_accvgpr_read_b32 v0, a62
	v_accvgpr_read_b32 v1, a63
	v_sub_co_u32_e32 v0, vcc, v0, v2
	v_subb_co_u32_e32 v1, vcc, v1, v3, vcc
	v_cmp_lt_i64_e32 vcc, v[4:5], v[0:1]
	v_cndmask_b32_e32 v0, v0, v4, vcc
	v_max_i32_e32 v29, 0, v0
	v_add_u32_e32 v1, 31, v29
	v_lshrrev_b32_e32 v1, 1, v1
	v_and_b32_e32 v1, 0x3ffffff0, v1
	v_cmp_lt_i32_e32 vcc, 0, v0
	v_max_i32_e32 v30, s85, v1
	s_and_b64 s[28:29], s[50:51], vcc
	v_mov_b32_e32 v0, 0
	v_mov_b32_e32 v4, 0
	buffer_store_dword v4, off, s[0:3], s33 offset:256 ; 4-byte Folded Spill
	s_nop 0
	buffer_store_dword v5, off, s[0:3], s33 offset:260 ; 4-byte Folded Spill
	s_and_saveexec_b64 s[52:53], s[28:29]
	s_cbranch_execz .LBB4_1793
; %bb.884:                              ;   in Loop: Header=BB4_47 Depth=1
	v_accvgpr_read_b32 v0, a8
	v_accvgpr_read_b32 v1, a9
	v_add_co_u32_e32 v0, vcc, v2, v0
	v_addc_co_u32_e32 v1, vcc, v3, v1, vcc
	v_lshlrev_b64 v[0:1], 1, v[0:1]
	v_accvgpr_write_b32 a11, v1
	s_mov_b32 s94, 1
	s_mov_b64 s[56:57], -1
	s_mov_b64 s[54:55], 0
	v_mov_b32_e32 v2, 0
	v_accvgpr_write_b32 a10, v0
	v_accvgpr_write_b32 a52, v29
	buffer_store_dword v2, off, s[0:3], s33 offset:256 ; 4-byte Folded Spill
	s_nop 0
	buffer_store_dword v3, off, s[0:3], s33 offset:260 ; 4-byte Folded Spill
	s_branch .LBB4_886
.LBB4_885:                              ;   in Loop: Header=BB4_886 Depth=2
	s_or_b64 exec, exec, s[28:29]
	buffer_load_dword v0, off, s[0:3], s33 offset:256 ; 4-byte Folded Reload
	buffer_load_dword v1, off, s[0:3], s33 offset:260 ; 4-byte Folded Reload
	s_xor_b64 s[28:29], s[56:57], -1
	s_mov_b64 s[56:57], 0
	s_waitcnt vmcnt(0)
	v_mov_b32_e32 v2, v0
	v_add_u32_e32 v2, v30, v2
	v_cmp_ge_i32_e32 vcc, v2, v29
	v_mov_b32_e32 v0, v2
	s_or_b64 s[28:29], s[28:29], vcc
	buffer_store_dword v0, off, s[0:3], s33 offset:256 ; 4-byte Folded Spill
	s_nop 0
	buffer_store_dword v1, off, s[0:3], s33 offset:260 ; 4-byte Folded Spill
	s_and_b64 s[28:29], exec, s[28:29]
	s_or_b64 s[54:55], s[28:29], s[54:55]
	v_mov_b32_e32 v0, s94
	s_mov_b32 s94, 2
	s_andn2_b64 exec, exec, s[54:55]
	s_cbranch_execz .LBB4_1868
.LBB4_886:                              ;   Parent Loop BB4_47 Depth=1
                                        ; =>  This Loop Header: Depth=2
                                        ;       Child Loop BB4_894 Depth 3
                                        ;       Child Loop BB4_922 Depth 3
	;; [unrolled: 1-line block ×5, first 2 shown]
                                        ;         Child Loop BB4_1574 Depth 4
                                        ;         Child Loop BB4_1611 Depth 4
                                        ;       Child Loop BB4_1688 Depth 3
                                        ;       Child Loop BB4_1723 Depth 3
                                        ;         Child Loop BB4_1724 Depth 4
                                        ;         Child Loop BB4_1733 Depth 4
                                        ;       Child Loop BB4_963 Depth 3
                                        ;       Child Loop BB4_1171 Depth 3
                                        ;         Child Loop BB4_1172 Depth 4
                                        ;         Child Loop BB4_1207 Depth 4
	;; [unrolled: 1-line block ×4, first 2 shown]
                                        ;       Child Loop BB4_1283 Depth 3
                                        ;       Child Loop BB4_1291 Depth 3
	;; [unrolled: 1-line block ×3, first 2 shown]
                                        ;         Child Loop BB4_1329 Depth 4
                                        ;         Child Loop BB4_1336 Depth 4
	;; [unrolled: 1-line block ×4, first 2 shown]
                                        ;       Child Loop BB4_1356 Depth 3
                                        ;       Child Loop BB4_1755 Depth 3
	;; [unrolled: 1-line block ×3, first 2 shown]
	s_and_saveexec_b64 s[28:29], s[4:5]
	s_cbranch_execz .LBB4_888
; %bb.887:                              ;   in Loop: Header=BB4_886 Depth=2
	s_trap 2
	ds_read2_b64 v[0:3], v0 offset1:1
	v_accvgpr_read_b32 v13, a11
	v_accvgpr_read_b32 v12, a10
	s_waitcnt lgkmcnt(0)
	v_add_co_u32_e32 v6, vcc, v0, v12
	ds_read_b64 v[4:5], v0
	v_addc_co_u32_e32 v9, vcc, v1, v13, vcc
	buffer_load_dword v0, off, s[0:3], s33 offset:256 ; 4-byte Folded Reload
	buffer_load_dword v1, off, s[0:3], s33 offset:260 ; 4-byte Folded Reload
	s_waitcnt vmcnt(0)
	v_mov_b32_e32 v10, v0
	v_ashrrev_i32_e32 v11, 31, v10
	buffer_store_dword v0, off, s[0:3], s33 offset:256 ; 4-byte Folded Spill
	s_nop 0
	buffer_store_dword v1, off, s[0:3], s33 offset:260 ; 4-byte Folded Spill
	v_lshlrev_b64 v[0:1], 1, v[10:11]
	v_add_co_u32_e32 v8, vcc, v6, v0
	v_addc_co_u32_e32 v9, vcc, v9, v1, vcc
	v_add_co_u32_e32 v2, vcc, v2, v12
	v_addc_co_u32_e32 v3, vcc, v3, v13, vcc
	;; [unrolled: 2-line block ×3, first 2 shown]
	ds_write_b64 v0, v[2:3]
	s_waitcnt lgkmcnt(1)
	v_add_co_u32_e32 v2, vcc, v4, v12
	v_addc_co_u32_e32 v3, vcc, v5, v13, vcc
	ds_write_b64 v0, v[8:9]
	v_add_co_u32_e32 v0, vcc, v2, v0
	v_addc_co_u32_e32 v1, vcc, v3, v1, vcc
	v_cmp_ne_u64_e32 vcc, 0, v[4:5]
	v_cndmask_b32_e32 v1, 0, v1, vcc
	v_cndmask_b32_e32 v0, 0, v0, vcc
	ds_write_b64 v0, v[0:1]
.LBB4_888:                              ;   in Loop: Header=BB4_886 Depth=2
	s_or_b64 exec, exec, s[28:29]
	v_and_b32_e32 v0, 12, v62
	v_cmp_ne_u32_e32 vcc, 0, v0
	s_mov_b64 s[30:31], -1
	s_and_saveexec_b64 s[28:29], vcc
	s_cbranch_execz .LBB4_900
; %bb.889:                              ;   in Loop: Header=BB4_886 Depth=2
	v_and_b32_e32 v0, 8, v62
	v_add_co_u32_e32 v4, vcc, v60, v0
	v_addc_co_u32_e32 v5, vcc, 0, v61, vcc
	v_add_co_u32_e32 v2, vcc, 2, v44
	v_addc_co_u32_e32 v3, vcc, 0, v45, vcc
	v_cmp_lt_u64_e32 vcc, v[4:5], v[2:3]
	v_mov_b32_e32 v1, 1
	s_and_saveexec_b64 s[30:31], vcc
	s_cbranch_execz .LBB4_899
; %bb.890:                              ;   in Loop: Header=BB4_886 Depth=2
	s_mov_b64 s[34:35], 0
	v_mov_b32_e32 v1, 0
                                        ; implicit-def: $sgpr36_sgpr37
	s_branch .LBB4_894
.LBB4_891:                              ;   in Loop: Header=BB4_894 Depth=3
	s_or_b64 exec, exec, s[64:65]
	v_mov_b32_e32 v4, 0
	s_orn2_b64 s[62:63], s[62:63], exec
.LBB4_892:                              ;   in Loop: Header=BB4_894 Depth=3
	s_or_b64 exec, exec, s[60:61]
	s_andn2_b64 vcc, s[36:37], exec
	s_and_b64 s[36:37], s[62:63], exec
	s_or_b64 s[36:37], vcc, s[36:37]
	v_mov_b32_e32 v1, v4
.LBB4_893:                              ;   in Loop: Header=BB4_894 Depth=3
	s_or_b64 exec, exec, s[58:59]
	s_waitcnt vmcnt(0) lgkmcnt(0)
	v_add_co_u32_e32 v4, vcc, v60, v0
	v_addc_co_u32_e32 v5, vcc, 0, v61, vcc
	v_cmp_ge_u64_e32 vcc, v[4:5], v[2:3]
	s_xor_b64 s[58:59], s[36:37], -1
	s_or_b64 vcc, s[58:59], vcc
	s_and_b64 vcc, exec, vcc
	s_or_b64 s[34:35], vcc, s[34:35]
	s_andn2_b64 exec, exec, s[34:35]
	s_cbranch_execz .LBB4_898
.LBB4_894:                              ;   Parent Loop BB4_47 Depth=1
                                        ;     Parent Loop BB4_886 Depth=2
                                        ; =>    This Inner Loop Header: Depth=3
	s_sleep 1
	flat_load_dwordx2 v[60:61], v[46:47] glc
	v_and_b32_e32 v4, 64, v62
	v_cmp_eq_u32_e32 vcc, 0, v4
	s_andn2_b64 s[36:37], s[36:37], exec
	s_and_saveexec_b64 s[58:59], vcc
	s_cbranch_execz .LBB4_893
; %bb.895:                              ;   in Loop: Header=BB4_894 Depth=3
	v_add_u32_e32 v4, 1, v1
	v_cmp_lt_i32_e32 vcc, s89, v1
	s_mov_b64 s[62:63], -1
	s_and_saveexec_b64 s[60:61], vcc
	s_cbranch_execz .LBB4_892
; %bb.896:                              ;   in Loop: Header=BB4_894 Depth=3
	s_trap 2
	ds_read_b64 v[4:5], v0
	s_waitcnt vmcnt(0) lgkmcnt(0)
	flat_load_dword v1, v[4:5] glc
	s_waitcnt vmcnt(0) lgkmcnt(0)
	buffer_invl2
	buffer_wbinvl1_vol
	v_cmp_ne_u32_e32 vcc, 0, v1
	s_and_saveexec_b64 s[64:65], vcc
	s_cbranch_execz .LBB4_891
; %bb.897:                              ;   in Loop: Header=BB4_894 Depth=3
	v_or_b32_e32 v62, 64, v62
	s_xor_b64 s[62:63], exec, -1
	ds_write_b32 v0, v1
	s_trap 2
	s_branch .LBB4_891
.LBB4_898:                              ;   in Loop: Header=BB4_886 Depth=2
	s_or_b64 exec, exec, s[34:35]
	v_and_b32_e32 v1, 12, v62
.LBB4_899:                              ;   in Loop: Header=BB4_886 Depth=2
	s_or_b64 exec, exec, s[30:31]
	v_cmp_eq_u32_e32 vcc, 0, v1
	s_orn2_b64 s[30:31], vcc, exec
	;;#ASMSTART
	s_wakeup
	;;#ASMEND
.LBB4_900:                              ;   in Loop: Header=BB4_886 Depth=2
	s_or_b64 exec, exec, s[28:29]
	buffer_load_dword v0, off, s[0:3], s33 offset:256 ; 4-byte Folded Reload
	buffer_load_dword v1, off, s[0:3], s33 offset:260 ; 4-byte Folded Reload
	s_xor_b64 s[28:29], s[30:31], -1
	s_waitcnt vmcnt(0)
	v_sub_u32_e32 v0, v29, v0
	v_min_i32_e32 v30, v30, v0
	s_and_saveexec_b64 s[30:31], s[28:29]
	s_cbranch_execz .LBB4_914
; %bb.901:                              ;   in Loop: Header=BB4_886 Depth=2
	v_and_b32_e32 v0, 0x108, v62
	v_cmp_ne_u32_e32 vcc, s90, v0
	v_and_b32_e32 v0, 7, v44
	s_and_saveexec_b64 s[28:29], vcc
	s_xor_b64 s[28:29], exec, s[28:29]
                                        ; implicit-def: $vgpr2_vgpr3
; %bb.902:                              ;   in Loop: Header=BB4_886 Depth=2
	v_mov_b32_e32 v3, v42
; %bb.903:                              ;   in Loop: Header=BB4_886 Depth=2
	s_andn2_saveexec_b64 s[28:29], s[28:29]
	s_cbranch_execz .LBB4_905
; %bb.904:                              ;   in Loop: Header=BB4_886 Depth=2
	v_ashrrev_i32_e32 v31, 31, v30
	v_mov_b32_e32 v3, v42
	v_mad_u64_u32 v[4:5], vcc, v0, 24, v[48:49]
	v_lshlrev_b64 v[8:9], 1, v[30:31]
	flat_store_dwordx2 v[4:5], v[8:9] offset:8
.LBB4_905:                              ;   in Loop: Header=BB4_886 Depth=2
	s_or_b64 exec, exec, s[28:29]
	v_and_b32_e32 v1, 0x100, v62
	v_cmp_ne_u32_e32 vcc, 0, v1
	s_mov_b64 s[28:29], -1
                                        ; implicit-def: $vgpr4_vgpr5
	s_and_saveexec_b64 s[34:35], vcc
	s_cbranch_execz .LBB4_909
; %bb.906:                              ;   in Loop: Header=BB4_886 Depth=2
	v_mad_u64_u32 v[8:9], s[28:29], v0, 24, v[48:49]
	v_mov_b32_e32 v2, v9
	v_mad_u64_u32 v[4:5], s[28:29], v3, 24, v[2:3]
	v_mov_b32_e32 v9, v4
	flat_load_dword v1, v[8:9]
                                        ; implicit-def: $vgpr4_vgpr5
	s_waitcnt vmcnt(0) lgkmcnt(0)
	v_cmp_ne_u32_e32 vcc, 1, v1
	v_cmp_eq_u32_e64 s[28:29], 1, v1
	s_and_saveexec_b64 s[36:37], s[28:29]
	s_cbranch_execz .LBB4_908
; %bb.907:                              ;   in Loop: Header=BB4_886 Depth=2
	flat_load_dword v4, v[8:9] offset:4 glc
	s_waitcnt vmcnt(0) lgkmcnt(0)
	v_ashrrev_i32_e32 v5, 31, v4
	v_lshrrev_b64 v[4:5], 1, v[4:5]
.LBB4_908:                              ;   in Loop: Header=BB4_886 Depth=2
	s_or_b64 exec, exec, s[36:37]
	s_orn2_b64 s[28:29], vcc, exec
.LBB4_909:                              ;   in Loop: Header=BB4_886 Depth=2
	s_or_b64 exec, exec, s[34:35]
	s_and_saveexec_b64 vcc, s[28:29]
; %bb.910:                              ;   in Loop: Header=BB4_886 Depth=2
	v_mul_lo_u32 v1, v3, v38
	v_accvgpr_read_b32 v3, a53
	v_mul_lo_u32 v2, v0, v3
	v_mad_u64_u32 v[4:5], s[28:29], v0, v38, 0
	v_add3_u32 v5, v5, v2, v1
; %bb.911:                              ;   in Loop: Header=BB4_886 Depth=2
	s_or_b64 exec, exec, vcc
	v_lshlrev_b64 v[0:1], 1, v[4:5]
	v_add_co_u32_e32 v0, vcc, v52, v0
	v_addc_co_u32_e32 v1, vcc, v53, v1, vcc
	s_trap 2
	ds_write_b64 v0, v[0:1]
	v_and_b32_e32 v0, 0x2000, v62
	v_cmp_ne_u32_e32 vcc, 0, v0
	s_and_saveexec_b64 s[28:29], vcc
	s_cbranch_execz .LBB4_913
; %bb.912:                              ;   in Loop: Header=BB4_886 Depth=2
	ds_read_b64 v[0:1], v0 offset:584
	s_waitcnt lgkmcnt(0)
	v_add_co_u32_e32 v0, vcc, 1, v0
	v_addc_co_u32_e32 v1, vcc, 0, v1, vcc
	ds_write_b64 v0, v[0:1] offset:584
.LBB4_913:                              ;   in Loop: Header=BB4_886 Depth=2
	s_or_b64 exec, exec, s[28:29]
	v_add_co_u32_e32 v44, vcc, 2, v44
	v_addc_co_u32_e32 v45, vcc, 0, v45, vcc
.LBB4_914:                              ;   in Loop: Header=BB4_886 Depth=2
	s_or_b64 exec, exec, s[30:31]
	s_and_saveexec_b64 s[28:29], s[10:11]
	s_cbranch_execz .LBB4_933
; %bb.915:                              ;   in Loop: Header=BB4_886 Depth=2
	s_and_saveexec_b64 vcc, s[44:45]
	s_xor_b64 s[30:31], exec, vcc
	s_cbranch_execz .LBB4_930
; %bb.916:                              ;   in Loop: Header=BB4_886 Depth=2
	s_and_saveexec_b64 s[34:35], s[16:17]
	s_cbranch_execz .LBB4_929
; %bb.917:                              ;   in Loop: Header=BB4_886 Depth=2
	s_mov_b64 s[58:59], exec
	v_mbcnt_lo_u32_b32 v0, s58, 0
	v_mbcnt_hi_u32_b32 v0, s59, v0
	v_cmp_eq_u32_e32 vcc, 0, v0
	s_waitcnt vmcnt(0) lgkmcnt(0)
	buffer_wbinvl1_vol
	s_and_saveexec_b64 s[36:37], vcc
	s_cbranch_execz .LBB4_919
; %bb.918:                              ;   in Loop: Header=BB4_886 Depth=2
	s_bcnt1_i32_b64 vcc_lo, s[58:59]
	v_mov_b32_e32 v0, vcc_lo
	v_mov_b32_e32 v1, v42
	ds_add_u64 v0, v[0:1]
	s_trap 2
.LBB4_919:                              ;   in Loop: Header=BB4_886 Depth=2
	s_or_b64 exec, exec, s[36:37]
	s_trap 2
	ds_read_b64 v[0:1], v0
	v_add_co_u32_e32 v40, vcc, v40, v28
	v_addc_co_u32_e32 v41, vcc, 0, v41, vcc
	s_waitcnt lgkmcnt(0)
	v_cmp_lt_u64_e32 vcc, v[0:1], v[40:41]
	s_and_saveexec_b64 s[36:37], vcc
	s_cbranch_execz .LBB4_928
; %bb.920:                              ;   in Loop: Header=BB4_886 Depth=2
	s_mov_b32 s68, 0
	s_mov_b64 s[58:59], 0
                                        ; implicit-def: $sgpr60_sgpr61
                                        ; implicit-def: $sgpr62_sgpr63
	s_branch .LBB4_922
.LBB4_921:                              ;   in Loop: Header=BB4_922 Depth=3
	s_or_b64 exec, exec, s[66:67]
	s_and_b64 vcc, exec, vcc
	s_or_b64 s[58:59], vcc, s[58:59]
	s_andn2_b64 vcc, s[60:61], exec
	s_and_b64 s[60:61], s[62:63], exec
	s_or_b64 s[60:61], vcc, s[60:61]
	s_andn2_b64 exec, exec, s[58:59]
	s_cbranch_execz .LBB4_926
.LBB4_922:                              ;   Parent Loop BB4_47 Depth=1
                                        ;     Parent Loop BB4_886 Depth=2
                                        ; =>    This Inner Loop Header: Depth=3
	s_add_i32 s68, s68, 1
	s_cmpk_lg_i32 s68, 0x2710
	s_cselect_b64 s[64:65], -1, 0
	s_and_b64 vcc, exec, s[64:65]
                                        ; implicit-def: $sgpr66_sgpr67
	s_cbranch_vccnz .LBB4_924
; %bb.923:                              ;   in Loop: Header=BB4_922 Depth=3
	s_trap 2
	ds_read_b64 v[0:1], v0
	s_andn2_b64 s[64:65], s[64:65], exec
	s_mov_b32 s68, 0
	s_mov_b64 s[66:67], -1
	s_waitcnt lgkmcnt(0)
	flat_load_dword v0, v[0:1] glc
	s_waitcnt vmcnt(0) lgkmcnt(0)
	buffer_invl2
	buffer_wbinvl1_vol
	v_cmp_eq_u32_e32 vcc, 0, v0
	s_and_b64 vcc, vcc, exec
	s_or_b64 s[64:65], s[64:65], vcc
.LBB4_924:                              ;   in Loop: Header=BB4_922 Depth=3
	s_andn2_b64 s[62:63], s[62:63], exec
	s_and_b64 s[66:67], s[66:67], exec
	s_mov_b64 vcc, -1
	s_or_b64 s[62:63], s[62:63], s[66:67]
	s_and_saveexec_b64 s[66:67], s[64:65]
	s_cbranch_execz .LBB4_921
; %bb.925:                              ;   in Loop: Header=BB4_922 Depth=3
	s_sleep 1
	s_trap 2
	ds_read_b64 v[0:1], v0
	s_andn2_b64 s[62:63], s[62:63], exec
	s_waitcnt lgkmcnt(0)
	v_cmp_ge_u64_e32 vcc, v[0:1], v[40:41]
	s_orn2_b64 vcc, vcc, exec
	s_branch .LBB4_921
.LBB4_926:                              ;   in Loop: Header=BB4_886 Depth=2
	s_or_b64 exec, exec, s[58:59]
	s_and_saveexec_b64 vcc, s[60:61]
	s_xor_b64 vcc, exec, vcc
	s_cbranch_execz .LBB4_928
; %bb.927:                              ;   in Loop: Header=BB4_886 Depth=2
	v_mov_b32_e32 v0, 1
	ds_write_b32 v0, v0
	s_trap 2
.LBB4_928:                              ;   in Loop: Header=BB4_886 Depth=2
	s_or_b64 exec, exec, s[36:37]
	;;#ASMSTART
	s_wakeup
	;;#ASMEND
.LBB4_929:                              ;   in Loop: Header=BB4_886 Depth=2
	s_or_b64 exec, exec, s[34:35]
.LBB4_930:                              ;   in Loop: Header=BB4_886 Depth=2
	s_andn2_saveexec_b64 vcc, s[30:31]
	s_cbranch_execz .LBB4_932
; %bb.931:                              ;   in Loop: Header=BB4_886 Depth=2
	s_waitcnt vmcnt(0) lgkmcnt(0)
	buffer_wbinvl1_vol
	s_barrier
.LBB4_932:                              ;   in Loop: Header=BB4_886 Depth=2
	s_or_b64 exec, exec, vcc
.LBB4_933:                              ;   in Loop: Header=BB4_886 Depth=2
	s_or_b64 exec, exec, s[28:29]
	s_trap 2
	ds_read_b32 v0, v0
	v_and_b32_e32 v1, 0x4000, v62
	v_cmp_ne_u32_e32 vcc, 0, v1
	s_xor_b64 s[28:29], s[6:7], -1
	s_and_b64 vcc, s[28:29], vcc
	s_and_saveexec_b64 s[28:29], vcc
	s_cbranch_execz .LBB4_952
; %bb.934:                              ;   in Loop: Header=BB4_886 Depth=2
	s_and_saveexec_b64 vcc, s[44:45]
	s_xor_b64 s[30:31], exec, vcc
	s_cbranch_execz .LBB4_949
; %bb.935:                              ;   in Loop: Header=BB4_886 Depth=2
	s_and_saveexec_b64 s[34:35], s[16:17]
	s_cbranch_execz .LBB4_948
; %bb.936:                              ;   in Loop: Header=BB4_886 Depth=2
	s_mov_b64 s[58:59], exec
	v_mbcnt_lo_u32_b32 v1, s58, 0
	v_mbcnt_hi_u32_b32 v1, s59, v1
	v_cmp_eq_u32_e32 vcc, 0, v1
	s_waitcnt vmcnt(0) lgkmcnt(0)
	buffer_wbinvl1_vol
	s_and_saveexec_b64 s[36:37], vcc
	s_cbranch_execz .LBB4_938
; %bb.937:                              ;   in Loop: Header=BB4_886 Depth=2
	s_bcnt1_i32_b64 vcc_lo, s[58:59]
	v_mov_b32_e32 v2, vcc_lo
	v_mov_b32_e32 v3, v42
	ds_add_u64 v0, v[2:3]
	s_trap 2
.LBB4_938:                              ;   in Loop: Header=BB4_886 Depth=2
	s_or_b64 exec, exec, s[36:37]
	s_trap 2
	ds_read_b64 v[2:3], v0
	v_add_co_u32_e32 v40, vcc, v40, v28
	v_addc_co_u32_e32 v41, vcc, 0, v41, vcc
	s_waitcnt lgkmcnt(0)
	v_cmp_lt_u64_e32 vcc, v[2:3], v[40:41]
	s_and_saveexec_b64 s[36:37], vcc
	s_cbranch_execz .LBB4_947
; %bb.939:                              ;   in Loop: Header=BB4_886 Depth=2
	s_mov_b32 s68, 0
	s_mov_b64 s[58:59], 0
                                        ; implicit-def: $sgpr60_sgpr61
                                        ; implicit-def: $sgpr62_sgpr63
	s_branch .LBB4_941
.LBB4_940:                              ;   in Loop: Header=BB4_941 Depth=3
	s_or_b64 exec, exec, s[66:67]
	s_and_b64 vcc, exec, vcc
	s_or_b64 s[58:59], vcc, s[58:59]
	s_andn2_b64 vcc, s[60:61], exec
	s_and_b64 s[60:61], s[62:63], exec
	s_or_b64 s[60:61], vcc, s[60:61]
	s_andn2_b64 exec, exec, s[58:59]
	s_cbranch_execz .LBB4_945
.LBB4_941:                              ;   Parent Loop BB4_47 Depth=1
                                        ;     Parent Loop BB4_886 Depth=2
                                        ; =>    This Inner Loop Header: Depth=3
	s_add_i32 s68, s68, 1
	s_cmpk_lg_i32 s68, 0x2710
	s_cselect_b64 s[64:65], -1, 0
	s_and_b64 vcc, exec, s[64:65]
                                        ; implicit-def: $sgpr66_sgpr67
	s_cbranch_vccnz .LBB4_943
; %bb.942:                              ;   in Loop: Header=BB4_941 Depth=3
	s_trap 2
	ds_read_b64 v[2:3], v0
	s_andn2_b64 s[64:65], s[64:65], exec
	s_mov_b32 s68, 0
	s_mov_b64 s[66:67], -1
	s_waitcnt lgkmcnt(0)
	flat_load_dword v1, v[2:3] glc
	s_waitcnt vmcnt(0) lgkmcnt(0)
	buffer_invl2
	buffer_wbinvl1_vol
	v_cmp_eq_u32_e32 vcc, 0, v1
	s_and_b64 vcc, vcc, exec
	s_or_b64 s[64:65], s[64:65], vcc
.LBB4_943:                              ;   in Loop: Header=BB4_941 Depth=3
	s_andn2_b64 s[62:63], s[62:63], exec
	s_and_b64 s[66:67], s[66:67], exec
	s_mov_b64 vcc, -1
	s_or_b64 s[62:63], s[62:63], s[66:67]
	s_and_saveexec_b64 s[66:67], s[64:65]
	s_cbranch_execz .LBB4_940
; %bb.944:                              ;   in Loop: Header=BB4_941 Depth=3
	s_sleep 1
	s_trap 2
	ds_read_b64 v[2:3], v0
	s_andn2_b64 s[62:63], s[62:63], exec
	s_waitcnt lgkmcnt(0)
	v_cmp_ge_u64_e32 vcc, v[2:3], v[40:41]
	s_orn2_b64 vcc, vcc, exec
	s_branch .LBB4_940
.LBB4_945:                              ;   in Loop: Header=BB4_886 Depth=2
	s_or_b64 exec, exec, s[58:59]
	s_and_saveexec_b64 vcc, s[60:61]
	s_xor_b64 vcc, exec, vcc
	s_cbranch_execz .LBB4_947
; %bb.946:                              ;   in Loop: Header=BB4_886 Depth=2
	v_mov_b32_e32 v1, 1
	ds_write_b32 v0, v1
	s_trap 2
.LBB4_947:                              ;   in Loop: Header=BB4_886 Depth=2
	s_or_b64 exec, exec, s[36:37]
	;;#ASMSTART
	s_wakeup
	;;#ASMEND
.LBB4_948:                              ;   in Loop: Header=BB4_886 Depth=2
	s_or_b64 exec, exec, s[34:35]
.LBB4_949:                              ;   in Loop: Header=BB4_886 Depth=2
	s_andn2_saveexec_b64 vcc, s[30:31]
	s_cbranch_execz .LBB4_951
; %bb.950:                              ;   in Loop: Header=BB4_886 Depth=2
	s_waitcnt vmcnt(0) lgkmcnt(0)
	buffer_wbinvl1_vol
	s_barrier
.LBB4_951:                              ;   in Loop: Header=BB4_886 Depth=2
	s_or_b64 exec, exec, vcc
.LBB4_952:                              ;   in Loop: Header=BB4_886 Depth=2
	s_or_b64 exec, exec, s[28:29]
	s_trap 2
	s_waitcnt lgkmcnt(0)
	ds_read_b64 v[2:3], v0
	v_mov_b32_e32 v31, 0
	s_waitcnt lgkmcnt(0)
	v_readfirstlane_b32 s28, v2
	v_readfirstlane_b32 s29, v3
	s_cmp_eq_u64 s[28:29], 0
	s_cselect_b64 s[28:29], -1, 0
	s_or_b64 s[28:29], s[28:29], s[28:29]
	s_and_b64 vcc, exec, s[28:29]
	s_cbranch_vccnz .LBB4_1747
; %bb.953:                              ;   in Loop: Header=BB4_886 Depth=2
	s_trap 2
	ds_read_b64 v[32:33], v0
	v_cmp_eq_u32_e32 vcc, 0, v0
	v_cndmask_b32_e32 v31, 0, v30, vcc
	v_lshlrev_b32_e32 v0, 1, v31
	v_accvgpr_write_b32 a0, v0
	s_waitcnt lgkmcnt(0)
	v_cmp_ne_u64_e32 vcc, 0, v[32:33]
	s_cbranch_vccz .LBB4_1097
; %bb.954:                              ;   in Loop: Header=BB4_886 Depth=2
	s_mov_b64 s[30:31], -1
	s_and_saveexec_b64 s[28:29], s[22:23]
	s_cbranch_execz .LBB4_956
; %bb.955:                              ;   in Loop: Header=BB4_886 Depth=2
	ds_read_b32 v0, v0 offset:720
	s_waitcnt lgkmcnt(0)
	v_and_b32_e32 v0, 15, v0
	v_cmp_eq_u32_e32 vcc, 0, v0
	s_orn2_b64 s[30:31], vcc, exec
.LBB4_956:                              ;   in Loop: Header=BB4_886 Depth=2
	s_or_b64 exec, exec, s[28:29]
	s_and_saveexec_b64 s[28:29], s[22:23]
	s_cbranch_execz .LBB4_958
; %bb.957:                              ;   in Loop: Header=BB4_886 Depth=2
	ds_read_b32 v0, v0 offset:784
	s_waitcnt lgkmcnt(0)
	v_and_b32_e32 v0, 15, v0
	v_cmp_eq_u32_e32 vcc, 0, v0
	s_and_b64 vcc, s[30:31], vcc
	s_andn2_b64 s[30:31], s[30:31], exec
	s_and_b64 vcc, vcc, exec
	s_or_b64 s[30:31], s[30:31], vcc
.LBB4_958:                              ;   in Loop: Header=BB4_886 Depth=2
	s_or_b64 exec, exec, s[28:29]
	s_xor_b64 vcc, s[30:31], -1
	v_cndmask_b32_e64 v0, 0, 1, vcc
	s_mov_b64 s[28:29], -1
	;;#ASMSTART
	;;#ASMEND
	v_cmp_ne_u32_e32 vcc, 0, v0
	s_cbranch_vccz .LBB4_1098
; %bb.959:                              ;   in Loop: Header=BB4_886 Depth=2
	v_and_b32_e32 v0, 1, v32
	v_accvgpr_write_b32 a1, v0
	s_mov_b64 s[58:59], -1
	s_mov_b32 s30, 0
	s_cbranch_execnz .LBB4_1099
.LBB4_960:                              ;   in Loop: Header=BB4_886 Depth=2
	v_accvgpr_read_b32 v1, a0
	v_ashrrev_i32_e32 v0, 31, v1
	v_lshrrev_b32_e32 v0, 21, v0
	s_trap 2
	ds_read_b128 v[10:13], v0
	v_add_u32_e32 v0, v1, v0
	v_ashrrev_i32_e32 v1, 11, v0
	v_accvgpr_read_b32 v0, a29
	v_accvgpr_read_b32 v4, a42
	v_accvgpr_write_b32 a47, v1
	v_sub_u32_e32 v0, v1, v0
	s_waitcnt lgkmcnt(0)
	v_add_co_u32_e32 v2, vcc, v10, v4
	v_accvgpr_read_b32 v1, a57
	v_addc_co_u32_e32 v3, vcc, v11, v1, vcc
	v_add_co_u32_e32 v8, vcc, v12, v4
	v_accvgpr_write_b32 a4, v10
	v_addc_co_u32_e32 v9, vcc, v13, v1, vcc
	v_and_b32_e32 v1, 1, v32
	v_accvgpr_write_b32 a5, v11
	v_accvgpr_write_b32 a6, v12
	;; [unrolled: 1-line block ×4, first 2 shown]
	v_cmp_lt_i32_e32 vcc, 0, v0
	s_mov_b64 s[28:29], 0
                                        ; implicit-def: $vgpr24_vgpr25
                                        ; implicit-def: $vgpr16_vgpr17
                                        ; implicit-def: $vgpr20_vgpr21
                                        ; implicit-def: $vgpr12_vgpr13
	s_and_saveexec_b64 s[30:31], vcc
	s_cbranch_execz .LBB4_1101
; %bb.961:                              ;   in Loop: Header=BB4_886 Depth=2
	s_trap 2
	ds_read_b128 v[10:13], v0
	v_accvgpr_read_b32 v4, a42
	v_accvgpr_read_b32 v1, a57
	v_accvgpr_write_b32 a54, v30
	v_accvgpr_write_b32 a56, v31
	s_waitcnt lgkmcnt(0)
	v_add_co_u32_e32 v10, vcc, v10, v4
	v_addc_co_u32_e32 v11, vcc, v11, v1, vcc
	v_add_co_u32_e32 v30, vcc, v12, v4
	v_addc_co_u32_e32 v31, vcc, v13, v1, vcc
	v_accvgpr_read_b32 v1, a1
	v_accvgpr_write_b32 a46, v32
	v_cmp_eq_u16_e64 s[28:29], 0, v1
	s_mov_b64 s[60:61], 0
	s_mov_b64 s[34:35], 0
                                        ; implicit-def: $sgpr36_sgpr37
                                        ; implicit-def: $vgpr24_vgpr25
                                        ; implicit-def: $vgpr16_vgpr17
                                        ; implicit-def: $vgpr20_vgpr21
                                        ; implicit-def: $vgpr12_vgpr13
	s_branch .LBB4_963
.LBB4_962:                              ;   in Loop: Header=BB4_963 Depth=3
	s_or_b64 exec, exec, s[62:63]
	v_cmp_gt_i32_e32 vcc, 1, v0
	s_or_b64 s[34:35], vcc, s[34:35]
	s_andn2_b64 vcc, s[36:37], exec
	s_and_b64 s[36:37], s[60:61], exec
	s_or_b64 s[36:37], vcc, s[36:37]
	s_andn2_b64 exec, exec, s[34:35]
	s_cbranch_execz .LBB4_1100
.LBB4_963:                              ;   Parent Loop BB4_47 Depth=1
                                        ;     Parent Loop BB4_886 Depth=2
                                        ; =>    This Inner Loop Header: Depth=3
	global_load_dwordx4 v[48:51], v[10:11], off glc slc
	global_load_dwordx4 v[32:35], v[10:11], off offset:1024 glc slc
	global_load_dwordx4 v[52:55], v[30:31], off glc slc
	global_load_dwordx4 v[36:39], v[30:31], off offset:1024 glc slc
	s_and_saveexec_b64 s[62:63], s[60:61]
	s_cbranch_execz .LBB4_1029
; %bb.964:                              ;   in Loop: Header=BB4_963 Depth=3
	v_lshlrev_b32_e32 v1, 16, v24
	v_lshlrev_b32_e32 v4, 16, v20
	v_max_f32_e32 v4, v4, v4
	v_max_f32_e32 v1, v1, v1
	v_min_f32_e32 v5, v1, v4
	v_max_f32_e32 v1, v1, v4
	v_cndmask_b32_e64 v1, v1, v5, s[28:29]
	v_and_b32_e32 v4, 0x7f800000, v1
	v_cmp_ne_u32_e32 vcc, s91, v4
                                        ; implicit-def: $vgpr5
	s_and_saveexec_b64 s[60:61], vcc
	s_xor_b64 vcc, exec, s[60:61]
; %bb.965:                              ;   in Loop: Header=BB4_963 Depth=3
	v_bfe_u32 v4, v1, 16, 1
	v_add3_u32 v5, v1, v4, s92
                                        ; implicit-def: $vgpr1
; %bb.966:                              ;   in Loop: Header=BB4_963 Depth=3
	s_andn2_saveexec_b64 s[60:61], vcc
; %bb.967:                              ;   in Loop: Header=BB4_963 Depth=3
	v_or_b32_e32 v4, 0x10000, v1
	v_cmp_eq_u32_sdwa vcc, v1, v42 src0_sel:WORD_0 src1_sel:DWORD
	v_cndmask_b32_e32 v5, v4, v1, vcc
; %bb.968:                              ;   in Loop: Header=BB4_963 Depth=3
	s_or_b64 exec, exec, s[60:61]
	v_and_b32_e32 v1, 0xffff0000, v24
	v_and_b32_e32 v4, 0xffff0000, v20
	v_max_f32_e32 v4, v4, v4
	v_max_f32_e32 v1, v1, v1
	v_min_f32_e32 v6, v1, v4
	v_max_f32_e32 v1, v1, v4
	v_cndmask_b32_e64 v1, v1, v6, s[28:29]
	v_and_b32_e32 v4, 0x7f800000, v1
	v_cmp_ne_u32_e32 vcc, s91, v4
                                        ; implicit-def: $vgpr24
	s_and_saveexec_b64 s[60:61], vcc
	s_xor_b64 vcc, exec, s[60:61]
; %bb.969:                              ;   in Loop: Header=BB4_963 Depth=3
	v_bfe_u32 v4, v1, 16, 1
	v_add3_u32 v24, v1, v4, s92
                                        ; implicit-def: $vgpr1
; %bb.970:                              ;   in Loop: Header=BB4_963 Depth=3
	s_andn2_saveexec_b64 s[60:61], vcc
; %bb.971:                              ;   in Loop: Header=BB4_963 Depth=3
	v_or_b32_e32 v4, 0x10000, v1
	v_cmp_eq_u32_sdwa vcc, v1, v42 src0_sel:WORD_0 src1_sel:DWORD
	v_cndmask_b32_e32 v24, v4, v1, vcc
; %bb.972:                              ;   in Loop: Header=BB4_963 Depth=3
	s_or_b64 exec, exec, s[60:61]
	v_lshlrev_b32_e32 v1, 16, v25
	v_lshlrev_b32_e32 v4, 16, v21
	v_max_f32_e32 v4, v4, v4
	v_max_f32_e32 v1, v1, v1
	v_min_f32_e32 v6, v1, v4
	v_max_f32_e32 v1, v1, v4
	v_cndmask_b32_e64 v1, v1, v6, s[28:29]
	v_and_b32_e32 v4, 0x7f800000, v1
	v_cmp_ne_u32_e32 vcc, s91, v4
                                        ; implicit-def: $vgpr4
	s_and_saveexec_b64 s[60:61], vcc
	s_xor_b64 vcc, exec, s[60:61]
; %bb.973:                              ;   in Loop: Header=BB4_963 Depth=3
	v_bfe_u32 v4, v1, 16, 1
	v_add3_u32 v4, v1, v4, s92
                                        ; implicit-def: $vgpr1
; %bb.974:                              ;   in Loop: Header=BB4_963 Depth=3
	s_andn2_saveexec_b64 s[60:61], vcc
; %bb.975:                              ;   in Loop: Header=BB4_963 Depth=3
	v_or_b32_e32 v4, 0x10000, v1
	v_cmp_eq_u32_sdwa vcc, v1, v42 src0_sel:WORD_0 src1_sel:DWORD
	v_cndmask_b32_e32 v4, v4, v1, vcc
; %bb.976:                              ;   in Loop: Header=BB4_963 Depth=3
	s_or_b64 exec, exec, s[60:61]
	v_and_b32_e32 v1, 0xffff0000, v25
	v_and_b32_e32 v6, 0xffff0000, v21
	v_max_f32_e32 v6, v6, v6
	v_max_f32_e32 v1, v1, v1
	v_min_f32_e32 v25, v1, v6
	v_max_f32_e32 v1, v1, v6
	v_cndmask_b32_e64 v1, v1, v25, s[28:29]
	v_and_b32_e32 v6, 0x7f800000, v1
	v_cmp_ne_u32_e32 vcc, s91, v6
                                        ; implicit-def: $vgpr25
	s_and_saveexec_b64 s[60:61], vcc
	s_xor_b64 vcc, exec, s[60:61]
; %bb.977:                              ;   in Loop: Header=BB4_963 Depth=3
	v_bfe_u32 v6, v1, 16, 1
	v_add3_u32 v25, v1, v6, s92
                                        ; implicit-def: $vgpr1
; %bb.978:                              ;   in Loop: Header=BB4_963 Depth=3
	s_andn2_saveexec_b64 s[60:61], vcc
; %bb.979:                              ;   in Loop: Header=BB4_963 Depth=3
	v_or_b32_e32 v6, 0x10000, v1
	v_cmp_eq_u32_sdwa vcc, v1, v42 src0_sel:WORD_0 src1_sel:DWORD
	v_cndmask_b32_e32 v25, v6, v1, vcc
; %bb.980:                              ;   in Loop: Header=BB4_963 Depth=3
	s_or_b64 exec, exec, s[60:61]
	v_lshlrev_b32_e32 v1, 16, v26
	v_lshlrev_b32_e32 v6, 16, v22
	v_max_f32_e32 v6, v6, v6
	v_max_f32_e32 v1, v1, v1
	v_min_f32_e32 v29, v1, v6
	v_max_f32_e32 v1, v1, v6
	v_cndmask_b32_e64 v1, v1, v29, s[28:29]
	v_and_b32_e32 v6, 0x7f800000, v1
	v_cmp_ne_u32_e32 vcc, s91, v6
                                        ; implicit-def: $vgpr43
	s_and_saveexec_b64 s[60:61], vcc
	s_xor_b64 vcc, exec, s[60:61]
; %bb.981:                              ;   in Loop: Header=BB4_963 Depth=3
	v_bfe_u32 v6, v1, 16, 1
	v_add3_u32 v43, v1, v6, s92
                                        ; implicit-def: $vgpr1
; %bb.982:                              ;   in Loop: Header=BB4_963 Depth=3
	s_andn2_saveexec_b64 s[60:61], vcc
; %bb.983:                              ;   in Loop: Header=BB4_963 Depth=3
	v_or_b32_e32 v6, 0x10000, v1
	v_cmp_eq_u32_sdwa vcc, v1, v42 src0_sel:WORD_0 src1_sel:DWORD
	v_cndmask_b32_e32 v43, v6, v1, vcc
; %bb.984:                              ;   in Loop: Header=BB4_963 Depth=3
	s_or_b64 exec, exec, s[60:61]
	v_and_b32_e32 v1, 0xffff0000, v26
	v_and_b32_e32 v6, 0xffff0000, v22
	v_max_f32_e32 v6, v6, v6
	v_max_f32_e32 v1, v1, v1
	v_min_f32_e32 v26, v1, v6
	v_max_f32_e32 v1, v1, v6
	v_cndmask_b32_e64 v1, v1, v26, s[28:29]
	v_and_b32_e32 v6, 0x7f800000, v1
	v_cmp_ne_u32_e32 vcc, s91, v6
                                        ; implicit-def: $vgpr6
	s_and_saveexec_b64 s[60:61], vcc
	s_xor_b64 vcc, exec, s[60:61]
; %bb.985:                              ;   in Loop: Header=BB4_963 Depth=3
	v_bfe_u32 v6, v1, 16, 1
	v_add3_u32 v6, v1, v6, s92
                                        ; implicit-def: $vgpr1
; %bb.986:                              ;   in Loop: Header=BB4_963 Depth=3
	s_andn2_saveexec_b64 s[60:61], vcc
; %bb.987:                              ;   in Loop: Header=BB4_963 Depth=3
	v_or_b32_e32 v6, 0x10000, v1
	v_cmp_eq_u32_sdwa vcc, v1, v42 src0_sel:WORD_0 src1_sel:DWORD
	v_cndmask_b32_e32 v6, v6, v1, vcc
; %bb.988:                              ;   in Loop: Header=BB4_963 Depth=3
	s_or_b64 exec, exec, s[60:61]
	v_lshlrev_b32_e32 v1, 16, v27
	v_lshlrev_b32_e32 v26, 16, v23
	v_max_f32_e32 v26, v26, v26
	v_max_f32_e32 v1, v1, v1
	v_min_f32_e32 v29, v1, v26
	v_max_f32_e32 v1, v1, v26
	v_cndmask_b32_e64 v1, v1, v29, s[28:29]
	v_and_b32_e32 v26, 0x7f800000, v1
	v_cmp_ne_u32_e32 vcc, s91, v26
                                        ; implicit-def: $vgpr56
	s_and_saveexec_b64 s[60:61], vcc
	s_xor_b64 vcc, exec, s[60:61]
; %bb.989:                              ;   in Loop: Header=BB4_963 Depth=3
	v_bfe_u32 v26, v1, 16, 1
	v_add3_u32 v56, v1, v26, s92
                                        ; implicit-def: $vgpr1
; %bb.990:                              ;   in Loop: Header=BB4_963 Depth=3
	s_andn2_saveexec_b64 s[60:61], vcc
; %bb.991:                              ;   in Loop: Header=BB4_963 Depth=3
	v_or_b32_e32 v26, 0x10000, v1
	v_cmp_eq_u32_sdwa vcc, v1, v42 src0_sel:WORD_0 src1_sel:DWORD
	v_cndmask_b32_e32 v56, v26, v1, vcc
; %bb.992:                              ;   in Loop: Header=BB4_963 Depth=3
	s_or_b64 exec, exec, s[60:61]
	v_and_b32_e32 v1, 0xffff0000, v27
	v_and_b32_e32 v26, 0xffff0000, v23
	v_max_f32_e32 v26, v26, v26
	v_max_f32_e32 v1, v1, v1
	v_min_f32_e32 v27, v1, v26
	v_max_f32_e32 v1, v1, v26
	v_cndmask_b32_e64 v1, v1, v27, s[28:29]
	v_and_b32_e32 v26, 0x7f800000, v1
	v_cmp_ne_u32_e32 vcc, s91, v26
                                        ; implicit-def: $vgpr27
	s_and_saveexec_b64 s[60:61], vcc
	s_xor_b64 vcc, exec, s[60:61]
; %bb.993:                              ;   in Loop: Header=BB4_963 Depth=3
	v_bfe_u32 v26, v1, 16, 1
	v_add3_u32 v27, v1, v26, s92
                                        ; implicit-def: $vgpr1
; %bb.994:                              ;   in Loop: Header=BB4_963 Depth=3
	s_andn2_saveexec_b64 s[60:61], vcc
; %bb.995:                              ;   in Loop: Header=BB4_963 Depth=3
	v_or_b32_e32 v26, 0x10000, v1
	v_cmp_eq_u32_sdwa vcc, v1, v42 src0_sel:WORD_0 src1_sel:DWORD
	v_cndmask_b32_e32 v27, v26, v1, vcc
; %bb.996:                              ;   in Loop: Header=BB4_963 Depth=3
	s_or_b64 exec, exec, s[60:61]
	v_lshlrev_b32_e32 v1, 16, v16
	v_lshlrev_b32_e32 v26, 16, v12
	v_max_f32_e32 v26, v26, v26
	v_max_f32_e32 v1, v1, v1
	v_min_f32_e32 v29, v1, v26
	v_max_f32_e32 v1, v1, v26
	v_cndmask_b32_e64 v1, v1, v29, s[28:29]
	v_and_b32_e32 v26, 0x7f800000, v1
	v_cmp_ne_u32_e32 vcc, s91, v26
                                        ; implicit-def: $vgpr29
	s_and_saveexec_b64 s[60:61], vcc
	s_xor_b64 vcc, exec, s[60:61]
; %bb.997:                              ;   in Loop: Header=BB4_963 Depth=3
	v_bfe_u32 v26, v1, 16, 1
	v_add3_u32 v29, v1, v26, s92
                                        ; implicit-def: $vgpr1
; %bb.998:                              ;   in Loop: Header=BB4_963 Depth=3
	s_andn2_saveexec_b64 s[60:61], vcc
; %bb.999:                              ;   in Loop: Header=BB4_963 Depth=3
	v_or_b32_e32 v26, 0x10000, v1
	v_cmp_eq_u32_sdwa vcc, v1, v42 src0_sel:WORD_0 src1_sel:DWORD
	v_cndmask_b32_e32 v29, v26, v1, vcc
; %bb.1000:                             ;   in Loop: Header=BB4_963 Depth=3
	s_or_b64 exec, exec, s[60:61]
	v_and_b32_e32 v1, 0xffff0000, v16
	v_and_b32_e32 v16, 0xffff0000, v12
	v_max_f32_e32 v16, v16, v16
	v_max_f32_e32 v1, v1, v1
	v_min_f32_e32 v26, v1, v16
	v_max_f32_e32 v1, v1, v16
	v_cndmask_b32_e64 v1, v1, v26, s[28:29]
	v_and_b32_e32 v16, 0x7f800000, v1
	v_cmp_ne_u32_e32 vcc, s91, v16
                                        ; implicit-def: $vgpr16
	s_and_saveexec_b64 s[60:61], vcc
	s_xor_b64 vcc, exec, s[60:61]
; %bb.1001:                             ;   in Loop: Header=BB4_963 Depth=3
	v_bfe_u32 v16, v1, 16, 1
	v_add3_u32 v16, v1, v16, s92
                                        ; implicit-def: $vgpr1
; %bb.1002:                             ;   in Loop: Header=BB4_963 Depth=3
	s_andn2_saveexec_b64 s[60:61], vcc
; %bb.1003:                             ;   in Loop: Header=BB4_963 Depth=3
	v_or_b32_e32 v16, 0x10000, v1
	v_cmp_eq_u32_sdwa vcc, v1, v42 src0_sel:WORD_0 src1_sel:DWORD
	v_cndmask_b32_e32 v16, v16, v1, vcc
; %bb.1004:                             ;   in Loop: Header=BB4_963 Depth=3
	s_or_b64 exec, exec, s[60:61]
	v_lshlrev_b32_e32 v1, 16, v17
	v_lshlrev_b32_e32 v26, 16, v13
	v_max_f32_e32 v26, v26, v26
	v_max_f32_e32 v1, v1, v1
	v_min_f32_e32 v57, v1, v26
	v_max_f32_e32 v1, v1, v26
	v_cndmask_b32_e64 v1, v1, v57, s[28:29]
	v_and_b32_e32 v26, 0x7f800000, v1
	v_cmp_ne_u32_e32 vcc, s91, v26
                                        ; implicit-def: $vgpr58
	s_and_saveexec_b64 s[60:61], vcc
	s_xor_b64 vcc, exec, s[60:61]
; %bb.1005:                             ;   in Loop: Header=BB4_963 Depth=3
	v_bfe_u32 v26, v1, 16, 1
	v_add3_u32 v58, v1, v26, s92
                                        ; implicit-def: $vgpr1
; %bb.1006:                             ;   in Loop: Header=BB4_963 Depth=3
	s_andn2_saveexec_b64 s[60:61], vcc
; %bb.1007:                             ;   in Loop: Header=BB4_963 Depth=3
	v_or_b32_e32 v26, 0x10000, v1
	v_cmp_eq_u32_sdwa vcc, v1, v42 src0_sel:WORD_0 src1_sel:DWORD
	v_cndmask_b32_e32 v58, v26, v1, vcc
; %bb.1008:                             ;   in Loop: Header=BB4_963 Depth=3
	s_or_b64 exec, exec, s[60:61]
	v_and_b32_e32 v1, 0xffff0000, v17
	v_and_b32_e32 v17, 0xffff0000, v13
	v_max_f32_e32 v17, v17, v17
	v_max_f32_e32 v1, v1, v1
	v_min_f32_e32 v26, v1, v17
	v_max_f32_e32 v1, v1, v17
	v_cndmask_b32_e64 v1, v1, v26, s[28:29]
	v_and_b32_e32 v17, 0x7f800000, v1
	v_cmp_ne_u32_e32 vcc, s91, v17
                                        ; implicit-def: $vgpr17
	s_and_saveexec_b64 s[60:61], vcc
	s_xor_b64 vcc, exec, s[60:61]
; %bb.1009:                             ;   in Loop: Header=BB4_963 Depth=3
	v_bfe_u32 v17, v1, 16, 1
	v_add3_u32 v17, v1, v17, s92
                                        ; implicit-def: $vgpr1
; %bb.1010:                             ;   in Loop: Header=BB4_963 Depth=3
	s_andn2_saveexec_b64 s[60:61], vcc
; %bb.1011:                             ;   in Loop: Header=BB4_963 Depth=3
	v_or_b32_e32 v17, 0x10000, v1
	v_cmp_eq_u32_sdwa vcc, v1, v42 src0_sel:WORD_0 src1_sel:DWORD
	v_cndmask_b32_e32 v17, v17, v1, vcc
; %bb.1012:                             ;   in Loop: Header=BB4_963 Depth=3
	s_or_b64 exec, exec, s[60:61]
	v_lshlrev_b32_e32 v1, 16, v18
	v_lshlrev_b32_e32 v26, 16, v14
	v_max_f32_e32 v26, v26, v26
	v_max_f32_e32 v1, v1, v1
	v_min_f32_e32 v57, v1, v26
	v_max_f32_e32 v1, v1, v26
	v_cndmask_b32_e64 v1, v1, v57, s[28:29]
	v_and_b32_e32 v26, 0x7f800000, v1
	v_cmp_ne_u32_e32 vcc, s91, v26
                                        ; implicit-def: $vgpr59
	s_and_saveexec_b64 s[60:61], vcc
	s_xor_b64 vcc, exec, s[60:61]
; %bb.1013:                             ;   in Loop: Header=BB4_963 Depth=3
	v_bfe_u32 v26, v1, 16, 1
	v_add3_u32 v59, v1, v26, s92
                                        ; implicit-def: $vgpr1
; %bb.1014:                             ;   in Loop: Header=BB4_963 Depth=3
	s_andn2_saveexec_b64 s[60:61], vcc
; %bb.1015:                             ;   in Loop: Header=BB4_963 Depth=3
	v_or_b32_e32 v26, 0x10000, v1
	v_cmp_eq_u32_sdwa vcc, v1, v42 src0_sel:WORD_0 src1_sel:DWORD
	v_cndmask_b32_e32 v59, v26, v1, vcc
; %bb.1016:                             ;   in Loop: Header=BB4_963 Depth=3
	s_or_b64 exec, exec, s[60:61]
	v_and_b32_e32 v1, 0xffff0000, v18
	v_and_b32_e32 v18, 0xffff0000, v14
	v_max_f32_e32 v18, v18, v18
	v_max_f32_e32 v1, v1, v1
	v_min_f32_e32 v26, v1, v18
	v_max_f32_e32 v1, v1, v18
	v_cndmask_b32_e64 v1, v1, v26, s[28:29]
	v_and_b32_e32 v18, 0x7f800000, v1
	v_cmp_ne_u32_e32 vcc, s91, v18
                                        ; implicit-def: $vgpr18
	s_and_saveexec_b64 s[60:61], vcc
	s_xor_b64 vcc, exec, s[60:61]
; %bb.1017:                             ;   in Loop: Header=BB4_963 Depth=3
	v_bfe_u32 v18, v1, 16, 1
	v_add3_u32 v18, v1, v18, s92
                                        ; implicit-def: $vgpr1
; %bb.1018:                             ;   in Loop: Header=BB4_963 Depth=3
	s_andn2_saveexec_b64 s[60:61], vcc
; %bb.1019:                             ;   in Loop: Header=BB4_963 Depth=3
	v_or_b32_e32 v18, 0x10000, v1
	v_cmp_eq_u32_sdwa vcc, v1, v42 src0_sel:WORD_0 src1_sel:DWORD
	v_cndmask_b32_e32 v18, v18, v1, vcc
; %bb.1020:                             ;   in Loop: Header=BB4_963 Depth=3
	s_or_b64 exec, exec, s[60:61]
	v_lshlrev_b32_e32 v1, 16, v19
	v_lshlrev_b32_e32 v26, 16, v15
	v_max_f32_e32 v26, v26, v26
	v_max_f32_e32 v1, v1, v1
	v_min_f32_e32 v57, v1, v26
	v_max_f32_e32 v1, v1, v26
	v_cndmask_b32_e64 v1, v1, v57, s[28:29]
	v_and_b32_e32 v26, 0x7f800000, v1
	v_cmp_ne_u32_e32 vcc, s91, v26
                                        ; implicit-def: $vgpr57
	s_and_saveexec_b64 s[60:61], vcc
	s_xor_b64 vcc, exec, s[60:61]
; %bb.1021:                             ;   in Loop: Header=BB4_963 Depth=3
	v_bfe_u32 v26, v1, 16, 1
	v_add3_u32 v57, v1, v26, s92
                                        ; implicit-def: $vgpr1
; %bb.1022:                             ;   in Loop: Header=BB4_963 Depth=3
	s_andn2_saveexec_b64 s[60:61], vcc
; %bb.1023:                             ;   in Loop: Header=BB4_963 Depth=3
	v_or_b32_e32 v26, 0x10000, v1
	v_cmp_eq_u32_sdwa vcc, v1, v42 src0_sel:WORD_0 src1_sel:DWORD
	v_cndmask_b32_e32 v57, v26, v1, vcc
; %bb.1024:                             ;   in Loop: Header=BB4_963 Depth=3
	s_or_b64 exec, exec, s[60:61]
	v_and_b32_e32 v1, 0xffff0000, v19
	v_and_b32_e32 v19, 0xffff0000, v15
	v_max_f32_e32 v19, v19, v19
	v_max_f32_e32 v1, v1, v1
	v_min_f32_e32 v26, v1, v19
	v_max_f32_e32 v1, v1, v19
	v_cndmask_b32_e64 v19, v1, v26, s[28:29]
	v_and_b32_e32 v1, 0x7f800000, v19
	v_cmp_ne_u32_e32 vcc, s91, v1
                                        ; implicit-def: $vgpr1
	s_and_saveexec_b64 s[60:61], vcc
	s_xor_b64 vcc, exec, s[60:61]
; %bb.1025:                             ;   in Loop: Header=BB4_963 Depth=3
	v_bfe_u32 v1, v19, 16, 1
	v_add3_u32 v1, v19, v1, s92
                                        ; implicit-def: $vgpr19
; %bb.1026:                             ;   in Loop: Header=BB4_963 Depth=3
	s_andn2_saveexec_b64 s[60:61], vcc
; %bb.1027:                             ;   in Loop: Header=BB4_963 Depth=3
	v_or_b32_e32 v1, 0x10000, v19
	v_cmp_eq_u32_sdwa vcc, v19, v42 src0_sel:WORD_0 src1_sel:DWORD
	v_cndmask_b32_e32 v1, v1, v19, vcc
; %bb.1028:                             ;   in Loop: Header=BB4_963 Depth=3
	s_or_b64 exec, exec, s[60:61]
	v_lshrrev_b32_e32 v4, 16, v4
	v_and_or_b32 v25, v25, s93, v4
	v_lshrrev_b32_e32 v4, 16, v5
	v_and_or_b32 v24, v24, s93, v4
	;; [unrolled: 2-line block ×8, first 2 shown]
	v_accvgpr_read_b32 v1, a41
	global_store_dwordx4 v[2:3], v[24:27], off glc slc
	global_store_dwordx4 v[2:3], v[16:19], off offset:1024 glc slc
	global_store_dwordx4 v[8:9], v[24:27], off glc slc
	global_store_dwordx4 v[8:9], v[16:19], off offset:1024 glc slc
	v_add_co_u32_e32 v2, vcc, v2, v1
	v_accvgpr_read_b32 v4, a43
	v_addc_co_u32_e32 v3, vcc, v3, v4, vcc
	v_add_co_u32_e32 v8, vcc, v8, v1
	v_addc_co_u32_e32 v9, vcc, v9, v4, vcc
.LBB4_1029:                             ;   in Loop: Header=BB4_963 Depth=3
	s_or_b64 exec, exec, s[62:63]
	v_accvgpr_read_b32 v1, a41
	v_add_co_u32_e32 v10, vcc, v10, v1
	v_accvgpr_read_b32 v4, a43
	v_addc_co_u32_e32 v11, vcc, v11, v4, vcc
	v_add_co_u32_e32 v30, vcc, v30, v1
	v_sub_u32_e32 v0, v0, v28
	v_addc_co_u32_e32 v31, vcc, v31, v4, vcc
	v_cmp_lt_i32_e64 s[60:61], 0, v0
	s_and_saveexec_b64 s[62:63], s[60:61]
	s_cbranch_execz .LBB4_1031
; %bb.1030:                             ;   in Loop: Header=BB4_963 Depth=3
	global_load_dwordx4 v[24:27], v[10:11], off glc slc
	global_load_dwordx4 v[16:19], v[10:11], off offset:1024 glc slc
	global_load_dwordx4 v[20:23], v[30:31], off glc slc
	global_load_dwordx4 v[12:15], v[30:31], off offset:1024 glc slc
	v_add_co_u32_e32 v10, vcc, s79, v10
	v_addc_co_u32_e32 v11, vcc, 0, v11, vcc
	v_add_co_u32_e32 v30, vcc, 0x800, v30
	v_addc_co_u32_e32 v31, vcc, 0, v31, vcc
.LBB4_1031:                             ;   in Loop: Header=BB4_963 Depth=3
	s_or_b64 exec, exec, s[62:63]
	s_waitcnt vmcnt(0)
	v_lshlrev_b32_e32 v1, 16, v48
	v_lshlrev_b32_e32 v4, 16, v52
	v_max_f32_e32 v4, v4, v4
	v_max_f32_e32 v1, v1, v1
	v_min_f32_e32 v5, v1, v4
	v_max_f32_e32 v1, v1, v4
	v_cndmask_b32_e64 v1, v1, v5, s[28:29]
	v_and_b32_e32 v4, 0x7f800000, v1
	v_cmp_ne_u32_e32 vcc, s91, v4
                                        ; implicit-def: $vgpr5
	s_and_saveexec_b64 s[62:63], vcc
	s_xor_b64 vcc, exec, s[62:63]
; %bb.1032:                             ;   in Loop: Header=BB4_963 Depth=3
	v_bfe_u32 v4, v1, 16, 1
	v_add3_u32 v5, v1, v4, s92
                                        ; implicit-def: $vgpr1
; %bb.1033:                             ;   in Loop: Header=BB4_963 Depth=3
	s_andn2_saveexec_b64 s[62:63], vcc
; %bb.1034:                             ;   in Loop: Header=BB4_963 Depth=3
	v_or_b32_e32 v4, 0x10000, v1
	v_cmp_eq_u32_sdwa vcc, v1, v42 src0_sel:WORD_0 src1_sel:DWORD
	v_cndmask_b32_e32 v5, v4, v1, vcc
; %bb.1035:                             ;   in Loop: Header=BB4_963 Depth=3
	s_or_b64 exec, exec, s[62:63]
	v_and_b32_e32 v1, 0xffff0000, v48
	v_and_b32_e32 v4, 0xffff0000, v52
	v_max_f32_e32 v4, v4, v4
	v_max_f32_e32 v1, v1, v1
	v_min_f32_e32 v6, v1, v4
	v_max_f32_e32 v1, v1, v4
	v_cndmask_b32_e64 v1, v1, v6, s[28:29]
	v_and_b32_e32 v4, 0x7f800000, v1
	v_cmp_ne_u32_e32 vcc, s91, v4
                                        ; implicit-def: $vgpr48
	s_and_saveexec_b64 s[62:63], vcc
	s_xor_b64 vcc, exec, s[62:63]
; %bb.1036:                             ;   in Loop: Header=BB4_963 Depth=3
	v_bfe_u32 v4, v1, 16, 1
	v_add3_u32 v48, v1, v4, s92
                                        ; implicit-def: $vgpr1
; %bb.1037:                             ;   in Loop: Header=BB4_963 Depth=3
	s_andn2_saveexec_b64 s[62:63], vcc
; %bb.1038:                             ;   in Loop: Header=BB4_963 Depth=3
	v_or_b32_e32 v4, 0x10000, v1
	v_cmp_eq_u32_sdwa vcc, v1, v42 src0_sel:WORD_0 src1_sel:DWORD
	v_cndmask_b32_e32 v48, v4, v1, vcc
; %bb.1039:                             ;   in Loop: Header=BB4_963 Depth=3
	s_or_b64 exec, exec, s[62:63]
	v_lshlrev_b32_e32 v1, 16, v49
	v_lshlrev_b32_e32 v4, 16, v53
	v_max_f32_e32 v4, v4, v4
	v_max_f32_e32 v1, v1, v1
	v_min_f32_e32 v6, v1, v4
	v_max_f32_e32 v1, v1, v4
	v_cndmask_b32_e64 v1, v1, v6, s[28:29]
	v_and_b32_e32 v4, 0x7f800000, v1
	v_cmp_ne_u32_e32 vcc, s91, v4
                                        ; implicit-def: $vgpr4
	s_and_saveexec_b64 s[62:63], vcc
	s_xor_b64 vcc, exec, s[62:63]
; %bb.1040:                             ;   in Loop: Header=BB4_963 Depth=3
	v_bfe_u32 v4, v1, 16, 1
	v_add3_u32 v4, v1, v4, s92
                                        ; implicit-def: $vgpr1
; %bb.1041:                             ;   in Loop: Header=BB4_963 Depth=3
	s_andn2_saveexec_b64 s[62:63], vcc
; %bb.1042:                             ;   in Loop: Header=BB4_963 Depth=3
	v_or_b32_e32 v4, 0x10000, v1
	v_cmp_eq_u32_sdwa vcc, v1, v42 src0_sel:WORD_0 src1_sel:DWORD
	v_cndmask_b32_e32 v4, v4, v1, vcc
; %bb.1043:                             ;   in Loop: Header=BB4_963 Depth=3
	s_or_b64 exec, exec, s[62:63]
	v_and_b32_e32 v1, 0xffff0000, v49
	v_and_b32_e32 v6, 0xffff0000, v53
	v_max_f32_e32 v6, v6, v6
	v_max_f32_e32 v1, v1, v1
	v_min_f32_e32 v29, v1, v6
	v_max_f32_e32 v1, v1, v6
	v_cndmask_b32_e64 v1, v1, v29, s[28:29]
	v_and_b32_e32 v6, 0x7f800000, v1
	v_cmp_ne_u32_e32 vcc, s91, v6
                                        ; implicit-def: $vgpr49
	s_and_saveexec_b64 s[62:63], vcc
	s_xor_b64 vcc, exec, s[62:63]
; %bb.1044:                             ;   in Loop: Header=BB4_963 Depth=3
	v_bfe_u32 v6, v1, 16, 1
	v_add3_u32 v49, v1, v6, s92
                                        ; implicit-def: $vgpr1
; %bb.1045:                             ;   in Loop: Header=BB4_963 Depth=3
	s_andn2_saveexec_b64 s[62:63], vcc
; %bb.1046:                             ;   in Loop: Header=BB4_963 Depth=3
	v_or_b32_e32 v6, 0x10000, v1
	v_cmp_eq_u32_sdwa vcc, v1, v42 src0_sel:WORD_0 src1_sel:DWORD
	v_cndmask_b32_e32 v49, v6, v1, vcc
; %bb.1047:                             ;   in Loop: Header=BB4_963 Depth=3
	s_or_b64 exec, exec, s[62:63]
	v_lshlrev_b32_e32 v1, 16, v50
	v_lshlrev_b32_e32 v6, 16, v54
	v_max_f32_e32 v6, v6, v6
	v_max_f32_e32 v1, v1, v1
	v_min_f32_e32 v29, v1, v6
	v_max_f32_e32 v1, v1, v6
	v_cndmask_b32_e64 v1, v1, v29, s[28:29]
	v_and_b32_e32 v6, 0x7f800000, v1
	v_cmp_ne_u32_e32 vcc, s91, v6
                                        ; implicit-def: $vgpr6
	s_and_saveexec_b64 s[62:63], vcc
	s_xor_b64 vcc, exec, s[62:63]
; %bb.1048:                             ;   in Loop: Header=BB4_963 Depth=3
	v_bfe_u32 v6, v1, 16, 1
	v_add3_u32 v6, v1, v6, s92
                                        ; implicit-def: $vgpr1
; %bb.1049:                             ;   in Loop: Header=BB4_963 Depth=3
	s_andn2_saveexec_b64 s[62:63], vcc
; %bb.1050:                             ;   in Loop: Header=BB4_963 Depth=3
	v_or_b32_e32 v6, 0x10000, v1
	v_cmp_eq_u32_sdwa vcc, v1, v42 src0_sel:WORD_0 src1_sel:DWORD
	v_cndmask_b32_e32 v6, v6, v1, vcc
; %bb.1051:                             ;   in Loop: Header=BB4_963 Depth=3
	s_or_b64 exec, exec, s[62:63]
	v_and_b32_e32 v1, 0xffff0000, v50
	v_and_b32_e32 v29, 0xffff0000, v54
	v_max_f32_e32 v29, v29, v29
	v_max_f32_e32 v1, v1, v1
	v_min_f32_e32 v50, v1, v29
	v_max_f32_e32 v1, v1, v29
	v_cndmask_b32_e64 v1, v1, v50, s[28:29]
	v_and_b32_e32 v29, 0x7f800000, v1
	v_cmp_ne_u32_e32 vcc, s91, v29
                                        ; implicit-def: $vgpr50
	s_and_saveexec_b64 s[62:63], vcc
	s_xor_b64 vcc, exec, s[62:63]
; %bb.1052:                             ;   in Loop: Header=BB4_963 Depth=3
	v_bfe_u32 v29, v1, 16, 1
	v_add3_u32 v50, v1, v29, s92
                                        ; implicit-def: $vgpr1
; %bb.1053:                             ;   in Loop: Header=BB4_963 Depth=3
	s_andn2_saveexec_b64 s[62:63], vcc
; %bb.1054:                             ;   in Loop: Header=BB4_963 Depth=3
	v_or_b32_e32 v29, 0x10000, v1
	v_cmp_eq_u32_sdwa vcc, v1, v42 src0_sel:WORD_0 src1_sel:DWORD
	v_cndmask_b32_e32 v50, v29, v1, vcc
; %bb.1055:                             ;   in Loop: Header=BB4_963 Depth=3
	s_or_b64 exec, exec, s[62:63]
	v_lshlrev_b32_e32 v1, 16, v51
	v_lshlrev_b32_e32 v29, 16, v55
	v_max_f32_e32 v29, v29, v29
	v_max_f32_e32 v1, v1, v1
	v_min_f32_e32 v52, v1, v29
	v_max_f32_e32 v1, v1, v29
	v_cndmask_b32_e64 v1, v1, v52, s[28:29]
	v_and_b32_e32 v29, 0x7f800000, v1
	v_cmp_ne_u32_e32 vcc, s91, v29
                                        ; implicit-def: $vgpr29
	s_and_saveexec_b64 s[62:63], vcc
	s_xor_b64 vcc, exec, s[62:63]
; %bb.1056:                             ;   in Loop: Header=BB4_963 Depth=3
	v_bfe_u32 v29, v1, 16, 1
	v_add3_u32 v29, v1, v29, s92
                                        ; implicit-def: $vgpr1
; %bb.1057:                             ;   in Loop: Header=BB4_963 Depth=3
	s_andn2_saveexec_b64 s[62:63], vcc
; %bb.1058:                             ;   in Loop: Header=BB4_963 Depth=3
	v_or_b32_e32 v29, 0x10000, v1
	v_cmp_eq_u32_sdwa vcc, v1, v42 src0_sel:WORD_0 src1_sel:DWORD
	v_cndmask_b32_e32 v29, v29, v1, vcc
; %bb.1059:                             ;   in Loop: Header=BB4_963 Depth=3
	s_or_b64 exec, exec, s[62:63]
	v_and_b32_e32 v1, 0xffff0000, v51
	v_and_b32_e32 v51, 0xffff0000, v55
	v_max_f32_e32 v51, v51, v51
	v_max_f32_e32 v1, v1, v1
	v_min_f32_e32 v52, v1, v51
	v_max_f32_e32 v1, v1, v51
	v_cndmask_b32_e64 v1, v1, v52, s[28:29]
	v_and_b32_e32 v51, 0x7f800000, v1
	v_cmp_ne_u32_e32 vcc, s91, v51
                                        ; implicit-def: $vgpr51
	s_and_saveexec_b64 s[62:63], vcc
	s_xor_b64 vcc, exec, s[62:63]
; %bb.1060:                             ;   in Loop: Header=BB4_963 Depth=3
	v_bfe_u32 v51, v1, 16, 1
	v_add3_u32 v51, v1, v51, s92
                                        ; implicit-def: $vgpr1
; %bb.1061:                             ;   in Loop: Header=BB4_963 Depth=3
	s_andn2_saveexec_b64 s[62:63], vcc
; %bb.1062:                             ;   in Loop: Header=BB4_963 Depth=3
	v_or_b32_e32 v51, 0x10000, v1
	v_cmp_eq_u32_sdwa vcc, v1, v42 src0_sel:WORD_0 src1_sel:DWORD
	v_cndmask_b32_e32 v51, v51, v1, vcc
; %bb.1063:                             ;   in Loop: Header=BB4_963 Depth=3
	s_or_b64 exec, exec, s[62:63]
	v_lshlrev_b32_e32 v1, 16, v32
	v_lshlrev_b32_e32 v52, 16, v36
	v_max_f32_e32 v52, v52, v52
	v_max_f32_e32 v1, v1, v1
	v_min_f32_e32 v53, v1, v52
	v_max_f32_e32 v1, v1, v52
	v_cndmask_b32_e64 v1, v1, v53, s[28:29]
	v_and_b32_e32 v52, 0x7f800000, v1
	v_cmp_ne_u32_e32 vcc, s91, v52
                                        ; implicit-def: $vgpr52
	s_and_saveexec_b64 s[62:63], vcc
	s_xor_b64 vcc, exec, s[62:63]
; %bb.1064:                             ;   in Loop: Header=BB4_963 Depth=3
	v_bfe_u32 v52, v1, 16, 1
	v_add3_u32 v52, v1, v52, s92
                                        ; implicit-def: $vgpr1
; %bb.1065:                             ;   in Loop: Header=BB4_963 Depth=3
	s_andn2_saveexec_b64 s[62:63], vcc
; %bb.1066:                             ;   in Loop: Header=BB4_963 Depth=3
	v_or_b32_e32 v52, 0x10000, v1
	v_cmp_eq_u32_sdwa vcc, v1, v42 src0_sel:WORD_0 src1_sel:DWORD
	v_cndmask_b32_e32 v52, v52, v1, vcc
; %bb.1067:                             ;   in Loop: Header=BB4_963 Depth=3
	s_or_b64 exec, exec, s[62:63]
	v_and_b32_e32 v1, 0xffff0000, v32
	v_and_b32_e32 v32, 0xffff0000, v36
	v_max_f32_e32 v32, v32, v32
	v_max_f32_e32 v1, v1, v1
	v_min_f32_e32 v36, v1, v32
	v_max_f32_e32 v1, v1, v32
	v_cndmask_b32_e64 v1, v1, v36, s[28:29]
	v_and_b32_e32 v32, 0x7f800000, v1
	v_cmp_ne_u32_e32 vcc, s91, v32
                                        ; implicit-def: $vgpr32
	s_and_saveexec_b64 s[62:63], vcc
	s_xor_b64 vcc, exec, s[62:63]
; %bb.1068:                             ;   in Loop: Header=BB4_963 Depth=3
	v_bfe_u32 v32, v1, 16, 1
	v_add3_u32 v32, v1, v32, s92
                                        ; implicit-def: $vgpr1
; %bb.1069:                             ;   in Loop: Header=BB4_963 Depth=3
	s_andn2_saveexec_b64 s[62:63], vcc
; %bb.1070:                             ;   in Loop: Header=BB4_963 Depth=3
	v_or_b32_e32 v32, 0x10000, v1
	v_cmp_eq_u32_sdwa vcc, v1, v42 src0_sel:WORD_0 src1_sel:DWORD
	v_cndmask_b32_e32 v32, v32, v1, vcc
; %bb.1071:                             ;   in Loop: Header=BB4_963 Depth=3
	s_or_b64 exec, exec, s[62:63]
	v_lshlrev_b32_e32 v1, 16, v33
	v_lshlrev_b32_e32 v36, 16, v37
	v_max_f32_e32 v36, v36, v36
	v_max_f32_e32 v1, v1, v1
	v_min_f32_e32 v53, v1, v36
	v_max_f32_e32 v1, v1, v36
	v_cndmask_b32_e64 v1, v1, v53, s[28:29]
	v_and_b32_e32 v36, 0x7f800000, v1
	v_cmp_ne_u32_e32 vcc, s91, v36
                                        ; implicit-def: $vgpr36
	s_and_saveexec_b64 s[62:63], vcc
	s_xor_b64 vcc, exec, s[62:63]
; %bb.1072:                             ;   in Loop: Header=BB4_963 Depth=3
	v_bfe_u32 v36, v1, 16, 1
	v_add3_u32 v36, v1, v36, s92
                                        ; implicit-def: $vgpr1
; %bb.1073:                             ;   in Loop: Header=BB4_963 Depth=3
	s_andn2_saveexec_b64 s[62:63], vcc
; %bb.1074:                             ;   in Loop: Header=BB4_963 Depth=3
	v_or_b32_e32 v36, 0x10000, v1
	v_cmp_eq_u32_sdwa vcc, v1, v42 src0_sel:WORD_0 src1_sel:DWORD
	v_cndmask_b32_e32 v36, v36, v1, vcc
; %bb.1075:                             ;   in Loop: Header=BB4_963 Depth=3
	s_or_b64 exec, exec, s[62:63]
	v_and_b32_e32 v1, 0xffff0000, v33
	v_and_b32_e32 v33, 0xffff0000, v37
	v_max_f32_e32 v33, v33, v33
	v_max_f32_e32 v1, v1, v1
	v_min_f32_e32 v37, v1, v33
	v_max_f32_e32 v1, v1, v33
	v_cndmask_b32_e64 v1, v1, v37, s[28:29]
	v_and_b32_e32 v33, 0x7f800000, v1
	v_cmp_ne_u32_e32 vcc, s91, v33
                                        ; implicit-def: $vgpr33
	s_and_saveexec_b64 s[62:63], vcc
	s_xor_b64 vcc, exec, s[62:63]
; %bb.1076:                             ;   in Loop: Header=BB4_963 Depth=3
	v_bfe_u32 v33, v1, 16, 1
	v_add3_u32 v33, v1, v33, s92
                                        ; implicit-def: $vgpr1
; %bb.1077:                             ;   in Loop: Header=BB4_963 Depth=3
	s_andn2_saveexec_b64 s[62:63], vcc
; %bb.1078:                             ;   in Loop: Header=BB4_963 Depth=3
	v_or_b32_e32 v33, 0x10000, v1
	v_cmp_eq_u32_sdwa vcc, v1, v42 src0_sel:WORD_0 src1_sel:DWORD
	v_cndmask_b32_e32 v33, v33, v1, vcc
; %bb.1079:                             ;   in Loop: Header=BB4_963 Depth=3
	s_or_b64 exec, exec, s[62:63]
	v_lshlrev_b32_e32 v1, 16, v34
	v_lshlrev_b32_e32 v37, 16, v38
	v_max_f32_e32 v37, v37, v37
	v_max_f32_e32 v1, v1, v1
	v_min_f32_e32 v53, v1, v37
	v_max_f32_e32 v1, v1, v37
	v_cndmask_b32_e64 v1, v1, v53, s[28:29]
	v_and_b32_e32 v37, 0x7f800000, v1
	v_cmp_ne_u32_e32 vcc, s91, v37
                                        ; implicit-def: $vgpr37
	s_and_saveexec_b64 s[62:63], vcc
	s_xor_b64 vcc, exec, s[62:63]
; %bb.1080:                             ;   in Loop: Header=BB4_963 Depth=3
	v_bfe_u32 v37, v1, 16, 1
	v_add3_u32 v37, v1, v37, s92
                                        ; implicit-def: $vgpr1
; %bb.1081:                             ;   in Loop: Header=BB4_963 Depth=3
	s_andn2_saveexec_b64 s[62:63], vcc
; %bb.1082:                             ;   in Loop: Header=BB4_963 Depth=3
	v_or_b32_e32 v37, 0x10000, v1
	v_cmp_eq_u32_sdwa vcc, v1, v42 src0_sel:WORD_0 src1_sel:DWORD
	v_cndmask_b32_e32 v37, v37, v1, vcc
; %bb.1083:                             ;   in Loop: Header=BB4_963 Depth=3
	s_or_b64 exec, exec, s[62:63]
	v_and_b32_e32 v1, 0xffff0000, v34
	v_and_b32_e32 v34, 0xffff0000, v38
	v_max_f32_e32 v34, v34, v34
	v_max_f32_e32 v1, v1, v1
	v_min_f32_e32 v38, v1, v34
	v_max_f32_e32 v1, v1, v34
	v_cndmask_b32_e64 v1, v1, v38, s[28:29]
	v_and_b32_e32 v34, 0x7f800000, v1
	v_cmp_ne_u32_e32 vcc, s91, v34
                                        ; implicit-def: $vgpr34
	s_and_saveexec_b64 s[62:63], vcc
	s_xor_b64 vcc, exec, s[62:63]
; %bb.1084:                             ;   in Loop: Header=BB4_963 Depth=3
	v_bfe_u32 v34, v1, 16, 1
	v_add3_u32 v34, v1, v34, s92
                                        ; implicit-def: $vgpr1
; %bb.1085:                             ;   in Loop: Header=BB4_963 Depth=3
	s_andn2_saveexec_b64 s[62:63], vcc
; %bb.1086:                             ;   in Loop: Header=BB4_963 Depth=3
	v_or_b32_e32 v34, 0x10000, v1
	v_cmp_eq_u32_sdwa vcc, v1, v42 src0_sel:WORD_0 src1_sel:DWORD
	v_cndmask_b32_e32 v34, v34, v1, vcc
; %bb.1087:                             ;   in Loop: Header=BB4_963 Depth=3
	s_or_b64 exec, exec, s[62:63]
	v_lshlrev_b32_e32 v1, 16, v35
	v_lshlrev_b32_e32 v38, 16, v39
	v_max_f32_e32 v38, v38, v38
	v_max_f32_e32 v1, v1, v1
	v_min_f32_e32 v53, v1, v38
	v_max_f32_e32 v1, v1, v38
	v_cndmask_b32_e64 v38, v1, v53, s[28:29]
	v_and_b32_e32 v1, 0x7f800000, v38
	v_cmp_ne_u32_e32 vcc, s91, v1
                                        ; implicit-def: $vgpr1
	s_and_saveexec_b64 s[62:63], vcc
	s_xor_b64 vcc, exec, s[62:63]
; %bb.1088:                             ;   in Loop: Header=BB4_963 Depth=3
	v_bfe_u32 v1, v38, 16, 1
	v_add3_u32 v1, v38, v1, s92
                                        ; implicit-def: $vgpr38
; %bb.1089:                             ;   in Loop: Header=BB4_963 Depth=3
	s_andn2_saveexec_b64 s[62:63], vcc
; %bb.1090:                             ;   in Loop: Header=BB4_963 Depth=3
	v_or_b32_e32 v1, 0x10000, v38
	v_cmp_eq_u32_sdwa vcc, v38, v42 src0_sel:WORD_0 src1_sel:DWORD
	v_cndmask_b32_e32 v1, v1, v38, vcc
; %bb.1091:                             ;   in Loop: Header=BB4_963 Depth=3
	s_or_b64 exec, exec, s[62:63]
	v_and_b32_e32 v35, 0xffff0000, v35
	v_and_b32_e32 v38, 0xffff0000, v39
	v_max_f32_e32 v38, v38, v38
	v_max_f32_e32 v35, v35, v35
	v_min_f32_e32 v39, v35, v38
	v_max_f32_e32 v35, v35, v38
	v_cndmask_b32_e64 v38, v35, v39, s[28:29]
	v_and_b32_e32 v35, 0x7f800000, v38
	v_cmp_ne_u32_e32 vcc, s91, v35
                                        ; implicit-def: $vgpr35
	s_and_saveexec_b64 s[62:63], vcc
	s_xor_b64 vcc, exec, s[62:63]
; %bb.1092:                             ;   in Loop: Header=BB4_963 Depth=3
	v_bfe_u32 v35, v38, 16, 1
	v_add3_u32 v35, v38, v35, s92
                                        ; implicit-def: $vgpr38
; %bb.1093:                             ;   in Loop: Header=BB4_963 Depth=3
	s_andn2_saveexec_b64 s[62:63], vcc
; %bb.1094:                             ;   in Loop: Header=BB4_963 Depth=3
	v_or_b32_e32 v35, 0x10000, v38
	v_cmp_eq_u32_sdwa vcc, v38, v42 src0_sel:WORD_0 src1_sel:DWORD
	v_cndmask_b32_e32 v35, v35, v38, vcc
; %bb.1095:                             ;   in Loop: Header=BB4_963 Depth=3
	s_or_b64 exec, exec, s[62:63]
	v_lshrrev_b32_e32 v4, 16, v4
	v_and_or_b32 v49, v49, s93, v4
	v_lshrrev_b32_e32 v4, 16, v5
	v_and_or_b32 v48, v48, s93, v4
	;; [unrolled: 2-line block ×6, first 2 shown]
	v_lshrrev_b32_e32 v4, 16, v37
	v_lshrrev_b32_e32 v1, 16, v1
	v_and_or_b32 v34, v34, s93, v4
	v_and_or_b32 v35, v35, s93, v1
	global_store_dwordx4 v[2:3], v[48:51], off glc slc
	global_store_dwordx4 v[2:3], v[32:35], off offset:1024 glc slc
	v_add_co_u32_e32 v2, vcc, 0x800, v2
	v_addc_co_u32_e32 v3, vcc, 0, v3, vcc
	global_store_dwordx4 v[8:9], v[48:51], off glc slc
	global_store_dwordx4 v[8:9], v[32:35], off offset:1024 glc slc
	v_add_co_u32_e32 v8, vcc, 0x800, v8
	v_addc_co_u32_e32 v9, vcc, 0, v9, vcc
	s_and_saveexec_b64 s[62:63], s[60:61]
	s_cbranch_execz .LBB4_962
; %bb.1096:                             ;   in Loop: Header=BB4_963 Depth=3
	v_accvgpr_read_b32 v4, a26
	v_add_co_u32_e32 v2, vcc, v2, v4
	v_accvgpr_read_b32 v1, a27
	v_addc_co_u32_e32 v3, vcc, v3, v1, vcc
	v_add_co_u32_e32 v8, vcc, v8, v4
	v_addc_co_u32_e32 v9, vcc, v9, v1, vcc
	v_add_co_u32_e32 v10, vcc, v10, v4
	;; [unrolled: 2-line block ×3, first 2 shown]
	v_addc_co_u32_e32 v31, vcc, v31, v1, vcc
	v_sub_u32_e32 v0, v0, v28
	s_branch .LBB4_962
.LBB4_1097:                             ;   in Loop: Header=BB4_886 Depth=2
	s_cbranch_execnz .LBB4_1359
	s_branch .LBB4_1747
.LBB4_1098:                             ;   in Loop: Header=BB4_886 Depth=2
	s_mov_b64 s[58:59], 0
                                        ; implicit-def: $sgpr30
                                        ; implicit-def: $agpr1
	s_andn2_b64 vcc, exec, s[28:29]
	s_cbranch_vccz .LBB4_960
.LBB4_1099:                             ;   in Loop: Header=BB4_886 Depth=2
	v_mov_b32_e32 v22, s30
	v_accvgpr_read_b32 v17, a0
	v_accvgpr_read_b32 v23, a35
	;; [unrolled: 1-line block ×3, first 2 shown]
	s_and_saveexec_b64 s[36:37], s[58:59]
	s_cbranch_execnz .LBB4_1288
	s_branch .LBB4_1358
.LBB4_1100:                             ;   in Loop: Header=BB4_886 Depth=2
	s_or_b64 exec, exec, s[34:35]
	v_accvgpr_read_b32 v49, a13
	v_accvgpr_read_b32 v53, a17
	;; [unrolled: 1-line block ×3, first 2 shown]
	s_and_b64 s[28:29], s[36:37], exec
	v_accvgpr_read_b32 v48, a12
	v_accvgpr_read_b32 v38, a14
	v_accvgpr_read_b32 v52, a16
	v_accvgpr_read_b32 v50, a20
	v_accvgpr_read_b32 v54, a22
	v_accvgpr_read_b32 v39, a3
	v_accvgpr_read_b32 v51, a15
	v_accvgpr_read_b32 v29, a52
	v_accvgpr_read_b32 v30, a54
	v_accvgpr_read_b32 v31, a56
	v_accvgpr_read_b32 v32, a46
.LBB4_1101:                             ;   in Loop: Header=BB4_886 Depth=2
	s_or_b64 exec, exec, s[30:31]
	s_and_saveexec_b64 s[30:31], s[28:29]
	s_cbranch_execz .LBB4_1167
; %bb.1102:                             ;   in Loop: Header=BB4_886 Depth=2
	v_lshlrev_b32_e32 v1, 16, v24
	v_lshlrev_b32_e32 v4, 16, v20
	v_max_f32_e32 v4, v4, v4
	v_max_f32_e32 v1, v1, v1
	v_min_f32_e32 v5, v1, v4
	v_max_f32_e32 v1, v1, v4
	v_accvgpr_read_b32 v4, a1
	v_cmp_eq_u16_e32 vcc, 0, v4
	v_cndmask_b32_e32 v1, v1, v5, vcc
	v_and_b32_e32 v4, 0x7f800000, v1
	v_cmp_ne_u32_e64 s[28:29], s91, v4
                                        ; implicit-def: $vgpr5
	s_and_saveexec_b64 s[34:35], s[28:29]
	s_xor_b64 s[28:29], exec, s[34:35]
; %bb.1103:                             ;   in Loop: Header=BB4_886 Depth=2
	v_bfe_u32 v4, v1, 16, 1
	v_add3_u32 v5, v1, v4, s92
                                        ; implicit-def: $vgpr1
; %bb.1104:                             ;   in Loop: Header=BB4_886 Depth=2
	s_andn2_saveexec_b64 s[34:35], s[28:29]
; %bb.1105:                             ;   in Loop: Header=BB4_886 Depth=2
	v_or_b32_e32 v4, 0x10000, v1
	v_cmp_eq_u32_sdwa s[28:29], v1, v42 src0_sel:WORD_0 src1_sel:DWORD
	v_cndmask_b32_e64 v5, v4, v1, s[28:29]
; %bb.1106:                             ;   in Loop: Header=BB4_886 Depth=2
	s_or_b64 exec, exec, s[34:35]
	v_and_b32_e32 v1, 0xffff0000, v24
	v_and_b32_e32 v4, 0xffff0000, v20
	v_max_f32_e32 v4, v4, v4
	v_max_f32_e32 v1, v1, v1
	v_min_f32_e32 v6, v1, v4
	v_max_f32_e32 v1, v1, v4
	v_cndmask_b32_e32 v1, v1, v6, vcc
	v_and_b32_e32 v4, 0x7f800000, v1
	v_cmp_ne_u32_e64 s[28:29], s91, v4
                                        ; implicit-def: $vgpr10
	s_and_saveexec_b64 s[34:35], s[28:29]
	s_xor_b64 s[28:29], exec, s[34:35]
; %bb.1107:                             ;   in Loop: Header=BB4_886 Depth=2
	v_bfe_u32 v4, v1, 16, 1
	v_add3_u32 v10, v1, v4, s92
                                        ; implicit-def: $vgpr1
; %bb.1108:                             ;   in Loop: Header=BB4_886 Depth=2
	s_andn2_saveexec_b64 s[34:35], s[28:29]
; %bb.1109:                             ;   in Loop: Header=BB4_886 Depth=2
	v_or_b32_e32 v4, 0x10000, v1
	v_cmp_eq_u32_sdwa s[28:29], v1, v42 src0_sel:WORD_0 src1_sel:DWORD
	v_cndmask_b32_e64 v10, v4, v1, s[28:29]
; %bb.1110:                             ;   in Loop: Header=BB4_886 Depth=2
	s_or_b64 exec, exec, s[34:35]
	v_lshlrev_b32_e32 v1, 16, v25
	v_lshlrev_b32_e32 v4, 16, v21
	v_max_f32_e32 v4, v4, v4
	v_max_f32_e32 v1, v1, v1
	v_min_f32_e32 v6, v1, v4
	v_max_f32_e32 v1, v1, v4
	v_cndmask_b32_e32 v1, v1, v6, vcc
	v_and_b32_e32 v4, 0x7f800000, v1
	v_cmp_ne_u32_e64 s[28:29], s91, v4
                                        ; implicit-def: $vgpr4
	s_and_saveexec_b64 s[34:35], s[28:29]
	s_xor_b64 s[28:29], exec, s[34:35]
; %bb.1111:                             ;   in Loop: Header=BB4_886 Depth=2
	v_bfe_u32 v4, v1, 16, 1
	v_add3_u32 v4, v1, v4, s92
                                        ; implicit-def: $vgpr1
; %bb.1112:                             ;   in Loop: Header=BB4_886 Depth=2
	s_andn2_saveexec_b64 s[34:35], s[28:29]
; %bb.1113:                             ;   in Loop: Header=BB4_886 Depth=2
	v_or_b32_e32 v4, 0x10000, v1
	v_cmp_eq_u32_sdwa s[28:29], v1, v42 src0_sel:WORD_0 src1_sel:DWORD
	v_cndmask_b32_e64 v4, v4, v1, s[28:29]
; %bb.1114:                             ;   in Loop: Header=BB4_886 Depth=2
	s_or_b64 exec, exec, s[34:35]
	v_and_b32_e32 v1, 0xffff0000, v25
	v_and_b32_e32 v6, 0xffff0000, v21
	v_max_f32_e32 v6, v6, v6
	v_max_f32_e32 v1, v1, v1
	v_min_f32_e32 v11, v1, v6
	v_max_f32_e32 v1, v1, v6
	v_cndmask_b32_e32 v1, v1, v11, vcc
	v_and_b32_e32 v6, 0x7f800000, v1
	v_cmp_ne_u32_e64 s[28:29], s91, v6
                                        ; implicit-def: $vgpr11
	s_and_saveexec_b64 s[34:35], s[28:29]
	s_xor_b64 s[28:29], exec, s[34:35]
; %bb.1115:                             ;   in Loop: Header=BB4_886 Depth=2
	v_bfe_u32 v6, v1, 16, 1
	v_add3_u32 v11, v1, v6, s92
                                        ; implicit-def: $vgpr1
; %bb.1116:                             ;   in Loop: Header=BB4_886 Depth=2
	s_andn2_saveexec_b64 s[34:35], s[28:29]
; %bb.1117:                             ;   in Loop: Header=BB4_886 Depth=2
	v_or_b32_e32 v6, 0x10000, v1
	v_cmp_eq_u32_sdwa s[28:29], v1, v42 src0_sel:WORD_0 src1_sel:DWORD
	v_cndmask_b32_e64 v11, v6, v1, s[28:29]
; %bb.1118:                             ;   in Loop: Header=BB4_886 Depth=2
	s_or_b64 exec, exec, s[34:35]
	v_lshlrev_b32_e32 v1, 16, v26
	v_lshlrev_b32_e32 v6, 16, v22
	v_max_f32_e32 v6, v6, v6
	v_max_f32_e32 v1, v1, v1
	v_min_f32_e32 v20, v1, v6
	v_max_f32_e32 v1, v1, v6
	v_cndmask_b32_e32 v1, v1, v20, vcc
	v_and_b32_e32 v6, 0x7f800000, v1
	v_cmp_ne_u32_e64 s[28:29], s91, v6
                                        ; implicit-def: $vgpr6
	s_and_saveexec_b64 s[34:35], s[28:29]
	s_xor_b64 s[28:29], exec, s[34:35]
; %bb.1119:                             ;   in Loop: Header=BB4_886 Depth=2
	v_bfe_u32 v6, v1, 16, 1
	v_add3_u32 v6, v1, v6, s92
                                        ; implicit-def: $vgpr1
; %bb.1120:                             ;   in Loop: Header=BB4_886 Depth=2
	s_andn2_saveexec_b64 s[34:35], s[28:29]
; %bb.1121:                             ;   in Loop: Header=BB4_886 Depth=2
	v_or_b32_e32 v6, 0x10000, v1
	v_cmp_eq_u32_sdwa s[28:29], v1, v42 src0_sel:WORD_0 src1_sel:DWORD
	v_cndmask_b32_e64 v6, v6, v1, s[28:29]
; %bb.1122:                             ;   in Loop: Header=BB4_886 Depth=2
	s_or_b64 exec, exec, s[34:35]
	v_and_b32_e32 v1, 0xffff0000, v26
	v_and_b32_e32 v20, 0xffff0000, v22
	v_max_f32_e32 v20, v20, v20
	v_max_f32_e32 v1, v1, v1
	v_min_f32_e32 v21, v1, v20
	v_max_f32_e32 v1, v1, v20
	v_cndmask_b32_e32 v1, v1, v21, vcc
	v_and_b32_e32 v20, 0x7f800000, v1
	v_cmp_ne_u32_e64 s[28:29], s91, v20
                                        ; implicit-def: $vgpr20
	s_and_saveexec_b64 s[34:35], s[28:29]
	s_xor_b64 s[28:29], exec, s[34:35]
; %bb.1123:                             ;   in Loop: Header=BB4_886 Depth=2
	v_bfe_u32 v20, v1, 16, 1
	v_add3_u32 v20, v1, v20, s92
                                        ; implicit-def: $vgpr1
; %bb.1124:                             ;   in Loop: Header=BB4_886 Depth=2
	s_andn2_saveexec_b64 s[34:35], s[28:29]
; %bb.1125:                             ;   in Loop: Header=BB4_886 Depth=2
	v_or_b32_e32 v20, 0x10000, v1
	v_cmp_eq_u32_sdwa s[28:29], v1, v42 src0_sel:WORD_0 src1_sel:DWORD
	v_cndmask_b32_e64 v20, v20, v1, s[28:29]
; %bb.1126:                             ;   in Loop: Header=BB4_886 Depth=2
	s_or_b64 exec, exec, s[34:35]
	v_lshlrev_b32_e32 v1, 16, v27
	v_lshlrev_b32_e32 v21, 16, v23
	v_max_f32_e32 v21, v21, v21
	v_max_f32_e32 v1, v1, v1
	v_min_f32_e32 v22, v1, v21
	v_max_f32_e32 v1, v1, v21
	v_cndmask_b32_e32 v1, v1, v22, vcc
	v_and_b32_e32 v21, 0x7f800000, v1
	v_cmp_ne_u32_e64 s[28:29], s91, v21
                                        ; implicit-def: $vgpr21
	s_and_saveexec_b64 s[34:35], s[28:29]
	s_xor_b64 s[28:29], exec, s[34:35]
; %bb.1127:                             ;   in Loop: Header=BB4_886 Depth=2
	v_bfe_u32 v21, v1, 16, 1
	v_add3_u32 v21, v1, v21, s92
                                        ; implicit-def: $vgpr1
; %bb.1128:                             ;   in Loop: Header=BB4_886 Depth=2
	s_andn2_saveexec_b64 s[34:35], s[28:29]
; %bb.1129:                             ;   in Loop: Header=BB4_886 Depth=2
	v_or_b32_e32 v21, 0x10000, v1
	v_cmp_eq_u32_sdwa s[28:29], v1, v42 src0_sel:WORD_0 src1_sel:DWORD
	v_cndmask_b32_e64 v21, v21, v1, s[28:29]
; %bb.1130:                             ;   in Loop: Header=BB4_886 Depth=2
	s_or_b64 exec, exec, s[34:35]
	v_and_b32_e32 v1, 0xffff0000, v27
	v_and_b32_e32 v22, 0xffff0000, v23
	v_max_f32_e32 v22, v22, v22
	v_max_f32_e32 v1, v1, v1
	v_min_f32_e32 v23, v1, v22
	v_max_f32_e32 v1, v1, v22
	v_cndmask_b32_e32 v1, v1, v23, vcc
	v_and_b32_e32 v22, 0x7f800000, v1
	v_cmp_ne_u32_e64 s[28:29], s91, v22
                                        ; implicit-def: $vgpr22
	s_and_saveexec_b64 s[34:35], s[28:29]
	s_xor_b64 s[28:29], exec, s[34:35]
; %bb.1131:                             ;   in Loop: Header=BB4_886 Depth=2
	v_bfe_u32 v22, v1, 16, 1
	v_add3_u32 v22, v1, v22, s92
                                        ; implicit-def: $vgpr1
; %bb.1132:                             ;   in Loop: Header=BB4_886 Depth=2
	s_andn2_saveexec_b64 s[34:35], s[28:29]
; %bb.1133:                             ;   in Loop: Header=BB4_886 Depth=2
	v_or_b32_e32 v22, 0x10000, v1
	v_cmp_eq_u32_sdwa s[28:29], v1, v42 src0_sel:WORD_0 src1_sel:DWORD
	v_cndmask_b32_e64 v22, v22, v1, s[28:29]
; %bb.1134:                             ;   in Loop: Header=BB4_886 Depth=2
	s_or_b64 exec, exec, s[34:35]
	v_lshlrev_b32_e32 v1, 16, v16
	v_lshlrev_b32_e32 v23, 16, v12
	v_max_f32_e32 v23, v23, v23
	v_max_f32_e32 v1, v1, v1
	v_min_f32_e32 v24, v1, v23
	v_max_f32_e32 v1, v1, v23
	v_cndmask_b32_e32 v1, v1, v24, vcc
	v_and_b32_e32 v23, 0x7f800000, v1
	v_cmp_ne_u32_e64 s[28:29], s91, v23
                                        ; implicit-def: $vgpr23
	s_and_saveexec_b64 s[34:35], s[28:29]
	s_xor_b64 s[28:29], exec, s[34:35]
; %bb.1135:                             ;   in Loop: Header=BB4_886 Depth=2
	v_bfe_u32 v23, v1, 16, 1
	v_add3_u32 v23, v1, v23, s92
                                        ; implicit-def: $vgpr1
; %bb.1136:                             ;   in Loop: Header=BB4_886 Depth=2
	s_andn2_saveexec_b64 s[34:35], s[28:29]
; %bb.1137:                             ;   in Loop: Header=BB4_886 Depth=2
	v_or_b32_e32 v23, 0x10000, v1
	v_cmp_eq_u32_sdwa s[28:29], v1, v42 src0_sel:WORD_0 src1_sel:DWORD
	v_cndmask_b32_e64 v23, v23, v1, s[28:29]
; %bb.1138:                             ;   in Loop: Header=BB4_886 Depth=2
	s_or_b64 exec, exec, s[34:35]
	v_and_b32_e32 v1, 0xffff0000, v16
	v_and_b32_e32 v12, 0xffff0000, v12
	v_max_f32_e32 v12, v12, v12
	v_max_f32_e32 v1, v1, v1
	v_min_f32_e32 v16, v1, v12
	v_max_f32_e32 v1, v1, v12
	v_cndmask_b32_e32 v1, v1, v16, vcc
	v_and_b32_e32 v12, 0x7f800000, v1
	v_cmp_ne_u32_e64 s[28:29], s91, v12
                                        ; implicit-def: $vgpr12
	s_and_saveexec_b64 s[34:35], s[28:29]
	s_xor_b64 s[28:29], exec, s[34:35]
; %bb.1139:                             ;   in Loop: Header=BB4_886 Depth=2
	v_bfe_u32 v12, v1, 16, 1
	v_add3_u32 v12, v1, v12, s92
                                        ; implicit-def: $vgpr1
; %bb.1140:                             ;   in Loop: Header=BB4_886 Depth=2
	s_andn2_saveexec_b64 s[34:35], s[28:29]
; %bb.1141:                             ;   in Loop: Header=BB4_886 Depth=2
	v_or_b32_e32 v12, 0x10000, v1
	v_cmp_eq_u32_sdwa s[28:29], v1, v42 src0_sel:WORD_0 src1_sel:DWORD
	v_cndmask_b32_e64 v12, v12, v1, s[28:29]
; %bb.1142:                             ;   in Loop: Header=BB4_886 Depth=2
	s_or_b64 exec, exec, s[34:35]
	v_lshlrev_b32_e32 v1, 16, v17
	v_lshlrev_b32_e32 v16, 16, v13
	v_max_f32_e32 v16, v16, v16
	v_max_f32_e32 v1, v1, v1
	v_min_f32_e32 v24, v1, v16
	v_max_f32_e32 v1, v1, v16
	v_cndmask_b32_e32 v1, v1, v24, vcc
	v_and_b32_e32 v16, 0x7f800000, v1
	v_cmp_ne_u32_e64 s[28:29], s91, v16
                                        ; implicit-def: $vgpr16
	s_and_saveexec_b64 s[34:35], s[28:29]
	s_xor_b64 s[28:29], exec, s[34:35]
; %bb.1143:                             ;   in Loop: Header=BB4_886 Depth=2
	v_bfe_u32 v16, v1, 16, 1
	v_add3_u32 v16, v1, v16, s92
                                        ; implicit-def: $vgpr1
; %bb.1144:                             ;   in Loop: Header=BB4_886 Depth=2
	s_andn2_saveexec_b64 s[34:35], s[28:29]
; %bb.1145:                             ;   in Loop: Header=BB4_886 Depth=2
	v_or_b32_e32 v16, 0x10000, v1
	v_cmp_eq_u32_sdwa s[28:29], v1, v42 src0_sel:WORD_0 src1_sel:DWORD
	v_cndmask_b32_e64 v16, v16, v1, s[28:29]
; %bb.1146:                             ;   in Loop: Header=BB4_886 Depth=2
	s_or_b64 exec, exec, s[34:35]
	v_and_b32_e32 v1, 0xffff0000, v17
	v_and_b32_e32 v13, 0xffff0000, v13
	v_max_f32_e32 v13, v13, v13
	v_max_f32_e32 v1, v1, v1
	v_min_f32_e32 v17, v1, v13
	v_max_f32_e32 v1, v1, v13
	v_cndmask_b32_e32 v1, v1, v17, vcc
	v_and_b32_e32 v13, 0x7f800000, v1
	v_cmp_ne_u32_e64 s[28:29], s91, v13
                                        ; implicit-def: $vgpr13
	s_and_saveexec_b64 s[34:35], s[28:29]
	s_xor_b64 s[28:29], exec, s[34:35]
; %bb.1147:                             ;   in Loop: Header=BB4_886 Depth=2
	v_bfe_u32 v13, v1, 16, 1
	v_add3_u32 v13, v1, v13, s92
                                        ; implicit-def: $vgpr1
; %bb.1148:                             ;   in Loop: Header=BB4_886 Depth=2
	s_andn2_saveexec_b64 s[34:35], s[28:29]
; %bb.1149:                             ;   in Loop: Header=BB4_886 Depth=2
	v_or_b32_e32 v13, 0x10000, v1
	v_cmp_eq_u32_sdwa s[28:29], v1, v42 src0_sel:WORD_0 src1_sel:DWORD
	v_cndmask_b32_e64 v13, v13, v1, s[28:29]
; %bb.1150:                             ;   in Loop: Header=BB4_886 Depth=2
	s_or_b64 exec, exec, s[34:35]
	v_lshlrev_b32_e32 v1, 16, v18
	v_lshlrev_b32_e32 v17, 16, v14
	v_max_f32_e32 v17, v17, v17
	v_max_f32_e32 v1, v1, v1
	v_min_f32_e32 v24, v1, v17
	v_max_f32_e32 v1, v1, v17
	v_cndmask_b32_e32 v1, v1, v24, vcc
	v_and_b32_e32 v17, 0x7f800000, v1
	v_cmp_ne_u32_e64 s[28:29], s91, v17
                                        ; implicit-def: $vgpr17
	s_and_saveexec_b64 s[34:35], s[28:29]
	s_xor_b64 s[28:29], exec, s[34:35]
; %bb.1151:                             ;   in Loop: Header=BB4_886 Depth=2
	v_bfe_u32 v17, v1, 16, 1
	v_add3_u32 v17, v1, v17, s92
                                        ; implicit-def: $vgpr1
; %bb.1152:                             ;   in Loop: Header=BB4_886 Depth=2
	s_andn2_saveexec_b64 s[34:35], s[28:29]
; %bb.1153:                             ;   in Loop: Header=BB4_886 Depth=2
	v_or_b32_e32 v17, 0x10000, v1
	v_cmp_eq_u32_sdwa s[28:29], v1, v42 src0_sel:WORD_0 src1_sel:DWORD
	v_cndmask_b32_e64 v17, v17, v1, s[28:29]
; %bb.1154:                             ;   in Loop: Header=BB4_886 Depth=2
	s_or_b64 exec, exec, s[34:35]
	v_and_b32_e32 v1, 0xffff0000, v18
	v_and_b32_e32 v14, 0xffff0000, v14
	v_max_f32_e32 v14, v14, v14
	v_max_f32_e32 v1, v1, v1
	v_min_f32_e32 v18, v1, v14
	v_max_f32_e32 v1, v1, v14
	v_cndmask_b32_e32 v1, v1, v18, vcc
	v_and_b32_e32 v14, 0x7f800000, v1
	v_cmp_ne_u32_e64 s[28:29], s91, v14
                                        ; implicit-def: $vgpr14
	s_and_saveexec_b64 s[34:35], s[28:29]
	s_xor_b64 s[28:29], exec, s[34:35]
; %bb.1155:                             ;   in Loop: Header=BB4_886 Depth=2
	v_bfe_u32 v14, v1, 16, 1
	v_add3_u32 v14, v1, v14, s92
                                        ; implicit-def: $vgpr1
; %bb.1156:                             ;   in Loop: Header=BB4_886 Depth=2
	s_andn2_saveexec_b64 s[34:35], s[28:29]
; %bb.1157:                             ;   in Loop: Header=BB4_886 Depth=2
	v_or_b32_e32 v14, 0x10000, v1
	v_cmp_eq_u32_sdwa s[28:29], v1, v42 src0_sel:WORD_0 src1_sel:DWORD
	v_cndmask_b32_e64 v14, v14, v1, s[28:29]
; %bb.1158:                             ;   in Loop: Header=BB4_886 Depth=2
	s_or_b64 exec, exec, s[34:35]
	v_lshlrev_b32_e32 v1, 16, v19
	v_lshlrev_b32_e32 v18, 16, v15
	v_max_f32_e32 v18, v18, v18
	v_max_f32_e32 v1, v1, v1
	v_min_f32_e32 v24, v1, v18
	v_max_f32_e32 v1, v1, v18
	v_cndmask_b32_e32 v18, v1, v24, vcc
	v_and_b32_e32 v1, 0x7f800000, v18
	v_cmp_ne_u32_e64 s[28:29], s91, v1
                                        ; implicit-def: $vgpr1
	s_and_saveexec_b64 s[34:35], s[28:29]
	s_xor_b64 s[28:29], exec, s[34:35]
; %bb.1159:                             ;   in Loop: Header=BB4_886 Depth=2
	v_bfe_u32 v1, v18, 16, 1
	v_add3_u32 v1, v18, v1, s92
                                        ; implicit-def: $vgpr18
; %bb.1160:                             ;   in Loop: Header=BB4_886 Depth=2
	s_andn2_saveexec_b64 s[34:35], s[28:29]
; %bb.1161:                             ;   in Loop: Header=BB4_886 Depth=2
	v_or_b32_e32 v1, 0x10000, v18
	v_cmp_eq_u32_sdwa s[28:29], v18, v42 src0_sel:WORD_0 src1_sel:DWORD
	v_cndmask_b32_e64 v1, v1, v18, s[28:29]
; %bb.1162:                             ;   in Loop: Header=BB4_886 Depth=2
	s_or_b64 exec, exec, s[34:35]
	v_and_b32_e32 v18, 0xffff0000, v19
	v_and_b32_e32 v15, 0xffff0000, v15
	v_max_f32_e32 v15, v15, v15
	v_max_f32_e32 v18, v18, v18
	v_min_f32_e32 v19, v18, v15
	v_max_f32_e32 v15, v18, v15
	v_cndmask_b32_e32 v18, v15, v19, vcc
	v_and_b32_e32 v15, 0x7f800000, v18
	v_cmp_ne_u32_e32 vcc, s91, v15
                                        ; implicit-def: $vgpr15
	s_and_saveexec_b64 s[28:29], vcc
	s_xor_b64 s[28:29], exec, s[28:29]
; %bb.1163:                             ;   in Loop: Header=BB4_886 Depth=2
	v_bfe_u32 v15, v18, 16, 1
	v_add3_u32 v15, v18, v15, s92
                                        ; implicit-def: $vgpr18
; %bb.1164:                             ;   in Loop: Header=BB4_886 Depth=2
	s_andn2_saveexec_b64 s[28:29], s[28:29]
; %bb.1165:                             ;   in Loop: Header=BB4_886 Depth=2
	v_or_b32_e32 v15, 0x10000, v18
	v_cmp_eq_u32_sdwa vcc, v18, v42 src0_sel:WORD_0 src1_sel:DWORD
	v_cndmask_b32_e32 v15, v15, v18, vcc
; %bb.1166:                             ;   in Loop: Header=BB4_886 Depth=2
	s_or_b64 exec, exec, s[28:29]
	v_lshrrev_b32_e32 v4, 16, v4
	v_and_or_b32 v19, v11, s93, v4
	v_lshrrev_b32_e32 v4, 16, v5
	v_and_or_b32 v18, v10, s93, v4
	v_lshrrev_b32_e32 v4, 16, v6
	v_and_or_b32 v20, v20, s93, v4
	v_lshrrev_b32_e32 v4, 16, v21
	v_and_or_b32 v21, v22, s93, v4
	v_lshrrev_b32_e32 v4, 16, v16
	v_and_or_b32 v11, v13, s93, v4
	v_lshrrev_b32_e32 v4, 16, v23
	v_and_or_b32 v10, v12, s93, v4
	v_lshrrev_b32_e32 v4, 16, v17
	v_lshrrev_b32_e32 v1, 16, v1
	v_and_or_b32 v12, v14, s93, v4
	v_and_or_b32 v13, v15, s93, v1
	global_store_dwordx4 v[2:3], v[18:21], off glc slc
	global_store_dwordx4 v[2:3], v[10:13], off offset:1024 glc slc
	global_store_dwordx4 v[8:9], v[18:21], off glc slc
	global_store_dwordx4 v[8:9], v[10:13], off offset:1024 glc slc
.LBB4_1167:                             ;   in Loop: Header=BB4_886 Depth=2
	s_or_b64 exec, exec, s[30:31]
	v_accvgpr_read_b32 v1, a47
	v_lshlrev_b32_e32 v16, 11, v1
	v_accvgpr_read_b32 v1, a0
	v_cmp_ne_u32_e32 vcc, v1, v16
                                        ; implicit-def: $vgpr17
                                        ; implicit-def: $vgpr22
                                        ; implicit-def: $vgpr23
                                        ; implicit-def: $vgpr2
	s_and_saveexec_b64 s[60:61], vcc
	s_cbranch_execz .LBB4_1287
; %bb.1168:                             ;   in Loop: Header=BB4_886 Depth=2
	v_lshlrev_b32_e32 v0, 6, v0
	v_accvgpr_read_b32 v2, a35
	v_sub_u32_e32 v0, v2, v0
	v_ashrrev_i32_e32 v2, 31, v0
	v_lshrrev_b32_e32 v2, 26, v2
	v_add_u32_e32 v2, v0, v2
	v_ashrrev_i32_e32 v3, 6, v2
	v_and_b32_e32 v2, 0xffffffc0, v2
	v_sub_u32_e32 v18, v0, v2
	v_accvgpr_read_b32 v1, a0
	v_lshlrev_b32_e32 v0, 4, v18
	v_sub_u32_e32 v1, v1, v16
	v_lshl_add_u32 v0, v3, 10, v0
	v_add_u32_e32 v4, v0, v16
	v_sub_u32_e32 v22, v1, v0
	v_ashrrev_i32_e32 v0, 31, v1
	v_lshrrev_b32_e32 v0, 22, v0
	v_add_u32_e32 v0, v1, v0
	v_and_b32_e32 v19, 0xfffffc00, v0
	v_sub_u32_e32 v20, v1, v19
	v_ashrrev_i32_e32 v2, 10, v0
	v_cmp_lt_i32_e64 s[28:29], 15, v20
	v_accvgpr_read_b32 v11, a7
	v_addc_co_u32_e64 v0, vcc, 0, v2, s[28:29]
	v_accvgpr_read_b32 v8, a4
	v_ashrrev_i32_e32 v5, 31, v4
	v_sub_u32_e32 v21, v0, v3
	v_accvgpr_read_b32 v9, a5
	v_add_co_u32_e32 v0, vcc, v4, v8
	v_accvgpr_read_b32 v10, a6
	v_addc_co_u32_e32 v3, vcc, v5, v9, vcc
	v_add_co_u32_e32 v2, vcc, v4, v10
	v_addc_co_u32_e32 v9, vcc, v5, v11, vcc
	v_cmp_lt_i32_e32 vcc, 15, v22
	s_mov_b64 s[30:31], 0
	s_and_saveexec_b64 s[62:63], vcc
	s_cbranch_execz .LBB4_1249
; %bb.1169:                             ;   in Loop: Header=BB4_886 Depth=2
	s_trap 2
	ds_read_b128 v[10:13], v0
	v_accvgpr_read_b32 v1, a1
	v_cmp_eq_u16_e64 s[30:31], 0, v1
	s_mov_b64 s[68:69], 0
	s_mov_b64 s[64:65], 0
	s_waitcnt lgkmcnt(0)
	v_add_co_u32_e32 v8, vcc, v10, v4
	v_addc_co_u32_e32 v15, vcc, v11, v5, vcc
	v_add_co_u32_e32 v14, vcc, v12, v4
	v_addc_co_u32_e32 v17, vcc, v13, v5, vcc
                                        ; implicit-def: $sgpr66_sgpr67
	s_branch .LBB4_1171
.LBB4_1170:                             ;   in Loop: Header=BB4_1171 Depth=3
	s_or_b64 exec, exec, s[34:35]
	v_cmp_gt_i32_e32 vcc, 16, v22
	s_or_b64 s[64:65], vcc, s[64:65]
	s_andn2_b64 vcc, s[66:67], exec
	s_and_b64 s[34:35], s[68:69], exec
	s_or_b64 s[66:67], vcc, s[34:35]
	s_andn2_b64 exec, exec, s[64:65]
	s_cbranch_execz .LBB4_1248
.LBB4_1171:                             ;   Parent Loop BB4_47 Depth=1
                                        ;     Parent Loop BB4_886 Depth=2
                                        ; =>    This Loop Header: Depth=3
                                        ;         Child Loop BB4_1172 Depth 4
                                        ;         Child Loop BB4_1207 Depth 4
                                        ;         Child Loop BB4_1211 Depth 4
                                        ;         Child Loop BB4_1245 Depth 4
	v_lshrrev_b32_e64 v1, 6, s33
	v_add_u32_e32 v1, 0xc0, v1
	s_mov_b64 s[70:71], -1
	s_mov_b64 s[72:73], 0
	v_accvgpr_read_b32 v6, a45
.LBB4_1172:                             ;   Parent Loop BB4_47 Depth=1
                                        ;     Parent Loop BB4_886 Depth=2
                                        ;       Parent Loop BB4_1171 Depth=3
                                        ; =>      This Inner Loop Header: Depth=4
	s_cmp_eq_u32 s72, 1
	s_cselect_b64 s[34:35], -1, 0
	v_cndmask_b32_e64 v5, v15, v17, s[34:35]
	v_cndmask_b32_e64 v4, v8, v14, s[34:35]
	global_load_dwordx4 v[10:13], v[4:5], off glc slc
	v_add_co_u32_e32 v4, vcc, s78, v4
	s_cmp_eq_u32 s72, 0
	v_addc_co_u32_e32 v5, vcc, 0, v5, vcc
	s_cselect_b64 vcc, -1, 0
	s_and_b64 s[36:37], exec, s[70:71]
	s_mov_b64 s[72:73], 1
	v_cndmask_b32_e64 v14, v14, v4, s[34:35]
	s_mov_b64 s[70:71], 0
	v_cndmask_b32_e32 v15, v15, v5, vcc
	v_cndmask_b32_e32 v8, v8, v4, vcc
	v_cndmask_b32_e64 v17, v17, v5, s[34:35]
	s_mov_b64 vcc, s[36:37]
	s_waitcnt vmcnt(0)
	buffer_store_dword v11, v1, s[0:3], 0 offen offset:4
	buffer_store_dword v10, v1, s[0:3], 0 offen
	buffer_store_dword v13, v1, s[0:3], 0 offen offset:12
	buffer_store_dword v12, v1, s[0:3], 0 offen offset:8
	v_mov_b32_e32 v1, v6
	s_cbranch_vccnz .LBB4_1172
; %bb.1173:                             ;   in Loop: Header=BB4_1171 Depth=3
	s_and_saveexec_b64 s[70:71], s[68:69]
	s_cbranch_execz .LBB4_1209
; %bb.1174:                             ;   in Loop: Header=BB4_1171 Depth=3
	buffer_load_dword v1, off, s[0:3], s33 offset:224
	buffer_load_dword v10, off, s[0:3], s33 offset:240
	;; [unrolled: 1-line block ×8, first 2 shown]
	s_waitcnt vmcnt(7)
	v_lshlrev_b32_e32 v4, 16, v1
	s_waitcnt vmcnt(6)
	v_lshlrev_b32_e32 v11, 16, v10
	v_max_f32_e32 v11, v11, v11
	v_max_f32_e32 v4, v4, v4
	v_min_f32_e32 v25, v4, v11
	v_max_f32_e32 v4, v4, v11
	v_cndmask_b32_e64 v11, v4, v25, s[30:31]
	v_and_b32_e32 v4, 0x7f800000, v11
	v_cmp_ne_u32_e32 vcc, s91, v4
                                        ; implicit-def: $vgpr4
	s_and_saveexec_b64 s[34:35], vcc
	s_xor_b64 vcc, exec, s[34:35]
; %bb.1175:                             ;   in Loop: Header=BB4_1171 Depth=3
	v_bfe_u32 v4, v11, 16, 1
	v_add3_u32 v4, v11, v4, s92
                                        ; implicit-def: $vgpr11
; %bb.1176:                             ;   in Loop: Header=BB4_1171 Depth=3
	s_andn2_saveexec_b64 s[34:35], vcc
; %bb.1177:                             ;   in Loop: Header=BB4_1171 Depth=3
	v_or_b32_e32 v4, 0x10000, v11
	v_cmp_eq_u32_sdwa vcc, v11, v42 src0_sel:WORD_0 src1_sel:DWORD
	v_cndmask_b32_e32 v4, v4, v11, vcc
; %bb.1178:                             ;   in Loop: Header=BB4_1171 Depth=3
	s_or_b64 exec, exec, s[34:35]
	v_and_b32_e32 v1, 0xffff0000, v1
	v_and_b32_e32 v10, 0xffff0000, v10
	v_max_f32_e32 v10, v10, v10
	v_max_f32_e32 v1, v1, v1
	v_min_f32_e32 v11, v1, v10
	v_max_f32_e32 v1, v1, v10
	v_cndmask_b32_e64 v1, v1, v11, s[30:31]
	v_and_b32_e32 v10, 0x7f800000, v1
	v_cmp_ne_u32_e32 vcc, s91, v10
                                        ; implicit-def: $vgpr10
	s_and_saveexec_b64 s[34:35], vcc
	s_xor_b64 vcc, exec, s[34:35]
; %bb.1179:                             ;   in Loop: Header=BB4_1171 Depth=3
	v_bfe_u32 v10, v1, 16, 1
	v_add3_u32 v10, v1, v10, s92
                                        ; implicit-def: $vgpr1
; %bb.1180:                             ;   in Loop: Header=BB4_1171 Depth=3
	s_andn2_saveexec_b64 s[34:35], vcc
; %bb.1181:                             ;   in Loop: Header=BB4_1171 Depth=3
	v_or_b32_e32 v10, 0x10000, v1
	v_cmp_eq_u32_sdwa vcc, v1, v42 src0_sel:WORD_0 src1_sel:DWORD
	v_cndmask_b32_e32 v10, v10, v1, vcc
; %bb.1182:                             ;   in Loop: Header=BB4_1171 Depth=3
	s_or_b64 exec, exec, s[34:35]
	s_waitcnt vmcnt(5)
	v_lshlrev_b32_e32 v1, 16, v23
	s_waitcnt vmcnt(2)
	v_lshlrev_b32_e32 v11, 16, v24
	v_max_f32_e32 v11, v11, v11
	v_max_f32_e32 v1, v1, v1
	v_min_f32_e32 v25, v1, v11
	v_max_f32_e32 v1, v1, v11
	v_cndmask_b32_e64 v1, v1, v25, s[30:31]
	v_and_b32_e32 v11, 0x7f800000, v1
	v_cmp_ne_u32_e32 vcc, s91, v11
                                        ; implicit-def: $vgpr11
	s_and_saveexec_b64 s[34:35], vcc
	s_xor_b64 vcc, exec, s[34:35]
; %bb.1183:                             ;   in Loop: Header=BB4_1171 Depth=3
	v_bfe_u32 v11, v1, 16, 1
	v_add3_u32 v11, v1, v11, s92
                                        ; implicit-def: $vgpr1
; %bb.1184:                             ;   in Loop: Header=BB4_1171 Depth=3
	s_andn2_saveexec_b64 s[34:35], vcc
; %bb.1185:                             ;   in Loop: Header=BB4_1171 Depth=3
	v_or_b32_e32 v11, 0x10000, v1
	v_cmp_eq_u32_sdwa vcc, v1, v42 src0_sel:WORD_0 src1_sel:DWORD
	v_cndmask_b32_e32 v11, v11, v1, vcc
; %bb.1186:                             ;   in Loop: Header=BB4_1171 Depth=3
	s_or_b64 exec, exec, s[34:35]
	v_and_b32_e32 v1, 0xffff0000, v23
	v_and_b32_e32 v23, 0xffff0000, v24
	v_max_f32_e32 v23, v23, v23
	v_max_f32_e32 v1, v1, v1
	v_min_f32_e32 v24, v1, v23
	v_max_f32_e32 v1, v1, v23
	v_cndmask_b32_e64 v1, v1, v24, s[30:31]
	v_and_b32_e32 v23, 0x7f800000, v1
	v_cmp_ne_u32_e32 vcc, s91, v23
                                        ; implicit-def: $vgpr23
	s_and_saveexec_b64 s[34:35], vcc
	s_xor_b64 vcc, exec, s[34:35]
; %bb.1187:                             ;   in Loop: Header=BB4_1171 Depth=3
	v_bfe_u32 v23, v1, 16, 1
	v_add3_u32 v23, v1, v23, s92
                                        ; implicit-def: $vgpr1
; %bb.1188:                             ;   in Loop: Header=BB4_1171 Depth=3
	s_andn2_saveexec_b64 s[34:35], vcc
; %bb.1189:                             ;   in Loop: Header=BB4_1171 Depth=3
	v_or_b32_e32 v23, 0x10000, v1
	v_cmp_eq_u32_sdwa vcc, v1, v42 src0_sel:WORD_0 src1_sel:DWORD
	v_cndmask_b32_e32 v23, v23, v1, vcc
; %bb.1190:                             ;   in Loop: Header=BB4_1171 Depth=3
	s_or_b64 exec, exec, s[34:35]
	v_lshlrev_b32_e32 v1, 16, v12
	s_waitcnt vmcnt(1)
	v_lshlrev_b32_e32 v24, 16, v13
	v_max_f32_e32 v24, v24, v24
	v_max_f32_e32 v1, v1, v1
	v_min_f32_e32 v25, v1, v24
	v_max_f32_e32 v1, v1, v24
	v_cndmask_b32_e64 v1, v1, v25, s[30:31]
	v_and_b32_e32 v24, 0x7f800000, v1
	v_cmp_ne_u32_e32 vcc, s91, v24
                                        ; implicit-def: $vgpr24
	s_and_saveexec_b64 s[34:35], vcc
	s_xor_b64 vcc, exec, s[34:35]
; %bb.1191:                             ;   in Loop: Header=BB4_1171 Depth=3
	v_bfe_u32 v24, v1, 16, 1
	v_add3_u32 v24, v1, v24, s92
                                        ; implicit-def: $vgpr1
; %bb.1192:                             ;   in Loop: Header=BB4_1171 Depth=3
	s_andn2_saveexec_b64 s[34:35], vcc
; %bb.1193:                             ;   in Loop: Header=BB4_1171 Depth=3
	v_or_b32_e32 v24, 0x10000, v1
	v_cmp_eq_u32_sdwa vcc, v1, v42 src0_sel:WORD_0 src1_sel:DWORD
	v_cndmask_b32_e32 v24, v24, v1, vcc
; %bb.1194:                             ;   in Loop: Header=BB4_1171 Depth=3
	s_or_b64 exec, exec, s[34:35]
	v_and_b32_e32 v1, 0xffff0000, v12
	v_and_b32_e32 v12, 0xffff0000, v13
	v_max_f32_e32 v12, v12, v12
	v_max_f32_e32 v1, v1, v1
	v_min_f32_e32 v13, v1, v12
	v_max_f32_e32 v1, v1, v12
	v_cndmask_b32_e64 v1, v1, v13, s[30:31]
	v_and_b32_e32 v12, 0x7f800000, v1
	v_cmp_ne_u32_e32 vcc, s91, v12
                                        ; implicit-def: $vgpr12
	s_and_saveexec_b64 s[34:35], vcc
	s_xor_b64 vcc, exec, s[34:35]
; %bb.1195:                             ;   in Loop: Header=BB4_1171 Depth=3
	v_bfe_u32 v12, v1, 16, 1
	v_add3_u32 v12, v1, v12, s92
                                        ; implicit-def: $vgpr1
; %bb.1196:                             ;   in Loop: Header=BB4_1171 Depth=3
	s_andn2_saveexec_b64 s[34:35], vcc
; %bb.1197:                             ;   in Loop: Header=BB4_1171 Depth=3
	v_or_b32_e32 v12, 0x10000, v1
	v_cmp_eq_u32_sdwa vcc, v1, v42 src0_sel:WORD_0 src1_sel:DWORD
	v_cndmask_b32_e32 v12, v12, v1, vcc
; %bb.1198:                             ;   in Loop: Header=BB4_1171 Depth=3
	s_or_b64 exec, exec, s[34:35]
	v_lshlrev_b32_e32 v1, 16, v5
	s_waitcnt vmcnt(0)
	v_lshlrev_b32_e32 v13, 16, v6
	v_max_f32_e32 v13, v13, v13
	v_max_f32_e32 v1, v1, v1
	v_min_f32_e32 v25, v1, v13
	v_max_f32_e32 v1, v1, v13
	v_cndmask_b32_e64 v13, v1, v25, s[30:31]
	v_and_b32_e32 v1, 0x7f800000, v13
	v_cmp_ne_u32_e32 vcc, s91, v1
                                        ; implicit-def: $vgpr1
	s_and_saveexec_b64 s[34:35], vcc
	s_xor_b64 vcc, exec, s[34:35]
; %bb.1199:                             ;   in Loop: Header=BB4_1171 Depth=3
	v_bfe_u32 v1, v13, 16, 1
	v_add3_u32 v1, v13, v1, s92
                                        ; implicit-def: $vgpr13
; %bb.1200:                             ;   in Loop: Header=BB4_1171 Depth=3
	s_andn2_saveexec_b64 s[34:35], vcc
; %bb.1201:                             ;   in Loop: Header=BB4_1171 Depth=3
	v_or_b32_e32 v1, 0x10000, v13
	v_cmp_eq_u32_sdwa vcc, v13, v42 src0_sel:WORD_0 src1_sel:DWORD
	v_cndmask_b32_e32 v1, v1, v13, vcc
; %bb.1202:                             ;   in Loop: Header=BB4_1171 Depth=3
	s_or_b64 exec, exec, s[34:35]
	v_and_b32_e32 v5, 0xffff0000, v5
	v_and_b32_e32 v6, 0xffff0000, v6
	v_max_f32_e32 v6, v6, v6
	v_max_f32_e32 v5, v5, v5
	v_min_f32_e32 v13, v5, v6
	v_max_f32_e32 v5, v5, v6
	v_cndmask_b32_e64 v6, v5, v13, s[30:31]
	v_and_b32_e32 v5, 0x7f800000, v6
	v_cmp_ne_u32_e32 vcc, s91, v5
                                        ; implicit-def: $vgpr5
	s_and_saveexec_b64 s[34:35], vcc
	s_xor_b64 vcc, exec, s[34:35]
; %bb.1203:                             ;   in Loop: Header=BB4_1171 Depth=3
	v_bfe_u32 v5, v6, 16, 1
	v_add3_u32 v5, v6, v5, s92
                                        ; implicit-def: $vgpr6
; %bb.1204:                             ;   in Loop: Header=BB4_1171 Depth=3
	s_andn2_saveexec_b64 s[34:35], vcc
; %bb.1205:                             ;   in Loop: Header=BB4_1171 Depth=3
	v_or_b32_e32 v5, 0x10000, v6
	v_cmp_eq_u32_sdwa vcc, v6, v42 src0_sel:WORD_0 src1_sel:DWORD
	v_cndmask_b32_e32 v5, v5, v6, vcc
; %bb.1206:                             ;   in Loop: Header=BB4_1171 Depth=3
	s_or_b64 exec, exec, s[34:35]
	v_lshrrev_b32_e32 v4, 16, v4
	v_lshrrev_b32_e32 v6, 16, v11
	v_and_or_b32 v10, v10, s93, v4
	v_lshrrev_b32_e32 v4, 16, v24
	v_lshrrev_b32_e32 v1, 16, v1
	v_and_or_b32 v11, v23, s93, v6
	v_and_or_b32 v12, v12, s93, v4
	;; [unrolled: 1-line block ×3, first 2 shown]
	s_mov_b64 s[72:73], 0
	s_mov_b64 s[68:69], -1
	buffer_store_dword v11, off, s[0:3], s33 offset:228
	buffer_store_dword v10, off, s[0:3], s33 offset:224
	;; [unrolled: 1-line block ×4, first 2 shown]
.LBB4_1207:                             ;   Parent Loop BB4_47 Depth=1
                                        ;     Parent Loop BB4_886 Depth=2
                                        ;       Parent Loop BB4_1171 Depth=3
                                        ; =>      This Inner Loop Header: Depth=4
	s_cmp_eq_u32 s72, 1
	s_cselect_b64 s[34:35], -1, 0
	v_cndmask_b32_e64 v4, v0, v2, s[34:35]
	v_cndmask_b32_e64 v5, v3, v9, s[34:35]
	v_add_co_u32_e32 v1, vcc, 0x400, v4
	s_cmp_eq_u32 s72, 0
	global_store_dwordx4 v[4:5], v[10:13], off glc slc
	v_addc_co_u32_e32 v4, vcc, 0, v5, vcc
	s_cselect_b64 vcc, -1, 0
	s_and_b64 s[36:37], exec, s[68:69]
	s_mov_b64 s[72:73], 1
	v_cndmask_b32_e64 v2, v2, v1, s[34:35]
	s_mov_b64 s[68:69], 0
	v_cndmask_b32_e64 v9, v9, v4, s[34:35]
	v_cndmask_b32_e32 v3, v3, v4, vcc
	v_cndmask_b32_e32 v0, v0, v1, vcc
	s_mov_b64 vcc, s[36:37]
	s_cbranch_vccnz .LBB4_1207
; %bb.1208:                             ;   in Loop: Header=BB4_1171 Depth=3
	v_accvgpr_read_b32 v4, a28
	v_add_co_u32_e32 v0, vcc, v0, v4
	v_accvgpr_read_b32 v1, a33
	v_addc_co_u32_e32 v3, vcc, v3, v1, vcc
	v_add_co_u32_e32 v2, vcc, v2, v4
	v_addc_co_u32_e32 v9, vcc, v9, v1, vcc
.LBB4_1209:                             ;   in Loop: Header=BB4_1171 Depth=3
	s_or_b64 exec, exec, s[70:71]
	v_accvgpr_read_b32 v4, a28
	v_add_co_u32_e32 v8, vcc, v8, v4
	v_accvgpr_read_b32 v1, a33
	v_addc_co_u32_e32 v15, vcc, v15, v1, vcc
	v_add_co_u32_e32 v14, vcc, v14, v4
	v_sub_u32_e32 v22, v22, v39
	v_addc_co_u32_e32 v17, vcc, v17, v1, vcc
	v_cmp_lt_i32_e64 s[68:69], 15, v22
	s_and_saveexec_b64 s[70:71], s[68:69]
	s_cbranch_execz .LBB4_1212
; %bb.1210:                             ;   in Loop: Header=BB4_1171 Depth=3
	v_lshrrev_b32_e64 v1, 6, s33
	v_add_u32_e32 v1, 0xe0, v1
	s_mov_b64 s[74:75], 0
	s_mov_b64 s[72:73], -1
	v_accvgpr_read_b32 v6, a44
.LBB4_1211:                             ;   Parent Loop BB4_47 Depth=1
                                        ;     Parent Loop BB4_886 Depth=2
                                        ;       Parent Loop BB4_1171 Depth=3
                                        ; =>      This Inner Loop Header: Depth=4
	s_cmp_eq_u32 s74, 1
	s_cselect_b64 s[34:35], -1, 0
	v_cndmask_b32_e64 v5, v15, v17, s[34:35]
	v_cndmask_b32_e64 v4, v8, v14, s[34:35]
	global_load_dwordx4 v[10:13], v[4:5], off glc slc
	v_add_co_u32_e32 v4, vcc, s78, v4
	s_cmp_eq_u32 s74, 0
	v_addc_co_u32_e32 v5, vcc, 0, v5, vcc
	s_cselect_b64 vcc, -1, 0
	s_and_b64 s[36:37], exec, s[72:73]
	s_mov_b64 s[74:75], 1
	v_cndmask_b32_e64 v14, v14, v4, s[34:35]
	s_mov_b64 s[72:73], 0
	v_cndmask_b32_e32 v15, v15, v5, vcc
	v_cndmask_b32_e32 v8, v8, v4, vcc
	v_cndmask_b32_e64 v17, v17, v5, s[34:35]
	s_mov_b64 vcc, s[36:37]
	s_waitcnt vmcnt(0)
	buffer_store_dword v11, v1, s[0:3], 0 offen offset:4
	buffer_store_dword v10, v1, s[0:3], 0 offen
	buffer_store_dword v13, v1, s[0:3], 0 offen offset:12
	buffer_store_dword v12, v1, s[0:3], 0 offen offset:8
	v_mov_b32_e32 v1, v6
	s_cbranch_vccnz .LBB4_1211
.LBB4_1212:                             ;   in Loop: Header=BB4_1171 Depth=3
	s_or_b64 exec, exec, s[70:71]
	buffer_load_dword v1, off, s[0:3], s33 offset:192
	buffer_load_dword v10, off, s[0:3], s33 offset:208
	;; [unrolled: 1-line block ×8, first 2 shown]
	s_waitcnt vmcnt(7)
	v_lshlrev_b32_e32 v4, 16, v1
	s_waitcnt vmcnt(6)
	v_lshlrev_b32_e32 v11, 16, v10
	v_max_f32_e32 v11, v11, v11
	v_max_f32_e32 v4, v4, v4
	v_min_f32_e32 v25, v4, v11
	v_max_f32_e32 v4, v4, v11
	v_cndmask_b32_e64 v11, v4, v25, s[30:31]
	v_and_b32_e32 v4, 0x7f800000, v11
	v_cmp_ne_u32_e32 vcc, s91, v4
                                        ; implicit-def: $vgpr4
	s_and_saveexec_b64 s[34:35], vcc
	s_xor_b64 vcc, exec, s[34:35]
; %bb.1213:                             ;   in Loop: Header=BB4_1171 Depth=3
	v_bfe_u32 v4, v11, 16, 1
	v_add3_u32 v4, v11, v4, s92
                                        ; implicit-def: $vgpr11
; %bb.1214:                             ;   in Loop: Header=BB4_1171 Depth=3
	s_andn2_saveexec_b64 s[34:35], vcc
; %bb.1215:                             ;   in Loop: Header=BB4_1171 Depth=3
	v_or_b32_e32 v4, 0x10000, v11
	v_cmp_eq_u32_sdwa vcc, v11, v42 src0_sel:WORD_0 src1_sel:DWORD
	v_cndmask_b32_e32 v4, v4, v11, vcc
; %bb.1216:                             ;   in Loop: Header=BB4_1171 Depth=3
	s_or_b64 exec, exec, s[34:35]
	v_and_b32_e32 v1, 0xffff0000, v1
	v_and_b32_e32 v10, 0xffff0000, v10
	v_max_f32_e32 v10, v10, v10
	v_max_f32_e32 v1, v1, v1
	v_min_f32_e32 v11, v1, v10
	v_max_f32_e32 v1, v1, v10
	v_cndmask_b32_e64 v1, v1, v11, s[30:31]
	v_and_b32_e32 v10, 0x7f800000, v1
	v_cmp_ne_u32_e32 vcc, s91, v10
                                        ; implicit-def: $vgpr10
	s_and_saveexec_b64 s[34:35], vcc
	s_xor_b64 vcc, exec, s[34:35]
; %bb.1217:                             ;   in Loop: Header=BB4_1171 Depth=3
	v_bfe_u32 v10, v1, 16, 1
	v_add3_u32 v10, v1, v10, s92
                                        ; implicit-def: $vgpr1
; %bb.1218:                             ;   in Loop: Header=BB4_1171 Depth=3
	s_andn2_saveexec_b64 s[34:35], vcc
; %bb.1219:                             ;   in Loop: Header=BB4_1171 Depth=3
	v_or_b32_e32 v10, 0x10000, v1
	v_cmp_eq_u32_sdwa vcc, v1, v42 src0_sel:WORD_0 src1_sel:DWORD
	v_cndmask_b32_e32 v10, v10, v1, vcc
; %bb.1220:                             ;   in Loop: Header=BB4_1171 Depth=3
	s_or_b64 exec, exec, s[34:35]
	s_waitcnt vmcnt(5)
	v_lshlrev_b32_e32 v1, 16, v23
	s_waitcnt vmcnt(2)
	v_lshlrev_b32_e32 v11, 16, v24
	v_max_f32_e32 v11, v11, v11
	v_max_f32_e32 v1, v1, v1
	v_min_f32_e32 v25, v1, v11
	v_max_f32_e32 v1, v1, v11
	v_cndmask_b32_e64 v1, v1, v25, s[30:31]
	v_and_b32_e32 v11, 0x7f800000, v1
	v_cmp_ne_u32_e32 vcc, s91, v11
                                        ; implicit-def: $vgpr11
	s_and_saveexec_b64 s[34:35], vcc
	s_xor_b64 vcc, exec, s[34:35]
; %bb.1221:                             ;   in Loop: Header=BB4_1171 Depth=3
	v_bfe_u32 v11, v1, 16, 1
	v_add3_u32 v11, v1, v11, s92
                                        ; implicit-def: $vgpr1
; %bb.1222:                             ;   in Loop: Header=BB4_1171 Depth=3
	s_andn2_saveexec_b64 s[34:35], vcc
; %bb.1223:                             ;   in Loop: Header=BB4_1171 Depth=3
	v_or_b32_e32 v11, 0x10000, v1
	v_cmp_eq_u32_sdwa vcc, v1, v42 src0_sel:WORD_0 src1_sel:DWORD
	v_cndmask_b32_e32 v11, v11, v1, vcc
; %bb.1224:                             ;   in Loop: Header=BB4_1171 Depth=3
	s_or_b64 exec, exec, s[34:35]
	v_and_b32_e32 v1, 0xffff0000, v23
	v_and_b32_e32 v23, 0xffff0000, v24
	v_max_f32_e32 v23, v23, v23
	v_max_f32_e32 v1, v1, v1
	v_min_f32_e32 v24, v1, v23
	v_max_f32_e32 v1, v1, v23
	v_cndmask_b32_e64 v1, v1, v24, s[30:31]
	v_and_b32_e32 v23, 0x7f800000, v1
	v_cmp_ne_u32_e32 vcc, s91, v23
                                        ; implicit-def: $vgpr23
	s_and_saveexec_b64 s[34:35], vcc
	s_xor_b64 vcc, exec, s[34:35]
; %bb.1225:                             ;   in Loop: Header=BB4_1171 Depth=3
	v_bfe_u32 v23, v1, 16, 1
	v_add3_u32 v23, v1, v23, s92
                                        ; implicit-def: $vgpr1
; %bb.1226:                             ;   in Loop: Header=BB4_1171 Depth=3
	s_andn2_saveexec_b64 s[34:35], vcc
; %bb.1227:                             ;   in Loop: Header=BB4_1171 Depth=3
	v_or_b32_e32 v23, 0x10000, v1
	v_cmp_eq_u32_sdwa vcc, v1, v42 src0_sel:WORD_0 src1_sel:DWORD
	v_cndmask_b32_e32 v23, v23, v1, vcc
; %bb.1228:                             ;   in Loop: Header=BB4_1171 Depth=3
	s_or_b64 exec, exec, s[34:35]
	v_lshlrev_b32_e32 v1, 16, v12
	s_waitcnt vmcnt(1)
	v_lshlrev_b32_e32 v24, 16, v13
	v_max_f32_e32 v24, v24, v24
	v_max_f32_e32 v1, v1, v1
	v_min_f32_e32 v25, v1, v24
	v_max_f32_e32 v1, v1, v24
	v_cndmask_b32_e64 v1, v1, v25, s[30:31]
	v_and_b32_e32 v24, 0x7f800000, v1
	v_cmp_ne_u32_e32 vcc, s91, v24
                                        ; implicit-def: $vgpr24
	s_and_saveexec_b64 s[34:35], vcc
	s_xor_b64 vcc, exec, s[34:35]
; %bb.1229:                             ;   in Loop: Header=BB4_1171 Depth=3
	v_bfe_u32 v24, v1, 16, 1
	v_add3_u32 v24, v1, v24, s92
                                        ; implicit-def: $vgpr1
; %bb.1230:                             ;   in Loop: Header=BB4_1171 Depth=3
	s_andn2_saveexec_b64 s[34:35], vcc
; %bb.1231:                             ;   in Loop: Header=BB4_1171 Depth=3
	v_or_b32_e32 v24, 0x10000, v1
	v_cmp_eq_u32_sdwa vcc, v1, v42 src0_sel:WORD_0 src1_sel:DWORD
	v_cndmask_b32_e32 v24, v24, v1, vcc
; %bb.1232:                             ;   in Loop: Header=BB4_1171 Depth=3
	s_or_b64 exec, exec, s[34:35]
	v_and_b32_e32 v1, 0xffff0000, v12
	v_and_b32_e32 v12, 0xffff0000, v13
	v_max_f32_e32 v12, v12, v12
	v_max_f32_e32 v1, v1, v1
	v_min_f32_e32 v13, v1, v12
	v_max_f32_e32 v1, v1, v12
	v_cndmask_b32_e64 v1, v1, v13, s[30:31]
	v_and_b32_e32 v12, 0x7f800000, v1
	v_cmp_ne_u32_e32 vcc, s91, v12
                                        ; implicit-def: $vgpr12
	s_and_saveexec_b64 s[34:35], vcc
	s_xor_b64 vcc, exec, s[34:35]
; %bb.1233:                             ;   in Loop: Header=BB4_1171 Depth=3
	v_bfe_u32 v12, v1, 16, 1
	v_add3_u32 v12, v1, v12, s92
                                        ; implicit-def: $vgpr1
; %bb.1234:                             ;   in Loop: Header=BB4_1171 Depth=3
	s_andn2_saveexec_b64 s[34:35], vcc
; %bb.1235:                             ;   in Loop: Header=BB4_1171 Depth=3
	v_or_b32_e32 v12, 0x10000, v1
	v_cmp_eq_u32_sdwa vcc, v1, v42 src0_sel:WORD_0 src1_sel:DWORD
	v_cndmask_b32_e32 v12, v12, v1, vcc
; %bb.1236:                             ;   in Loop: Header=BB4_1171 Depth=3
	s_or_b64 exec, exec, s[34:35]
	v_lshlrev_b32_e32 v1, 16, v5
	s_waitcnt vmcnt(0)
	v_lshlrev_b32_e32 v13, 16, v6
	v_max_f32_e32 v13, v13, v13
	v_max_f32_e32 v1, v1, v1
	v_min_f32_e32 v25, v1, v13
	v_max_f32_e32 v1, v1, v13
	v_cndmask_b32_e64 v13, v1, v25, s[30:31]
	v_and_b32_e32 v1, 0x7f800000, v13
	v_cmp_ne_u32_e32 vcc, s91, v1
                                        ; implicit-def: $vgpr1
	s_and_saveexec_b64 s[34:35], vcc
	s_xor_b64 vcc, exec, s[34:35]
; %bb.1237:                             ;   in Loop: Header=BB4_1171 Depth=3
	v_bfe_u32 v1, v13, 16, 1
	v_add3_u32 v1, v13, v1, s92
                                        ; implicit-def: $vgpr13
; %bb.1238:                             ;   in Loop: Header=BB4_1171 Depth=3
	s_andn2_saveexec_b64 s[34:35], vcc
; %bb.1239:                             ;   in Loop: Header=BB4_1171 Depth=3
	v_or_b32_e32 v1, 0x10000, v13
	v_cmp_eq_u32_sdwa vcc, v13, v42 src0_sel:WORD_0 src1_sel:DWORD
	v_cndmask_b32_e32 v1, v1, v13, vcc
; %bb.1240:                             ;   in Loop: Header=BB4_1171 Depth=3
	s_or_b64 exec, exec, s[34:35]
	v_and_b32_e32 v5, 0xffff0000, v5
	v_and_b32_e32 v6, 0xffff0000, v6
	v_max_f32_e32 v6, v6, v6
	v_max_f32_e32 v5, v5, v5
	v_min_f32_e32 v13, v5, v6
	v_max_f32_e32 v5, v5, v6
	v_cndmask_b32_e64 v6, v5, v13, s[30:31]
	v_and_b32_e32 v5, 0x7f800000, v6
	v_cmp_ne_u32_e32 vcc, s91, v5
                                        ; implicit-def: $vgpr5
	s_and_saveexec_b64 s[34:35], vcc
	s_xor_b64 vcc, exec, s[34:35]
; %bb.1241:                             ;   in Loop: Header=BB4_1171 Depth=3
	v_bfe_u32 v5, v6, 16, 1
	v_add3_u32 v5, v6, v5, s92
                                        ; implicit-def: $vgpr6
; %bb.1242:                             ;   in Loop: Header=BB4_1171 Depth=3
	s_andn2_saveexec_b64 s[34:35], vcc
; %bb.1243:                             ;   in Loop: Header=BB4_1171 Depth=3
	v_or_b32_e32 v5, 0x10000, v6
	v_cmp_eq_u32_sdwa vcc, v6, v42 src0_sel:WORD_0 src1_sel:DWORD
	v_cndmask_b32_e32 v5, v5, v6, vcc
; %bb.1244:                             ;   in Loop: Header=BB4_1171 Depth=3
	s_or_b64 exec, exec, s[34:35]
	v_lshrrev_b32_e32 v4, 16, v4
	v_lshrrev_b32_e32 v6, 16, v11
	v_and_or_b32 v10, v10, s93, v4
	v_lshrrev_b32_e32 v4, 16, v24
	v_lshrrev_b32_e32 v1, 16, v1
	v_and_or_b32 v11, v23, s93, v6
	v_and_or_b32 v12, v12, s93, v4
	;; [unrolled: 1-line block ×3, first 2 shown]
	s_mov_b64 s[72:73], 0
	s_mov_b64 s[70:71], -1
	buffer_store_dword v11, off, s[0:3], s33 offset:196
	buffer_store_dword v10, off, s[0:3], s33 offset:192
	;; [unrolled: 1-line block ×4, first 2 shown]
.LBB4_1245:                             ;   Parent Loop BB4_47 Depth=1
                                        ;     Parent Loop BB4_886 Depth=2
                                        ;       Parent Loop BB4_1171 Depth=3
                                        ; =>      This Inner Loop Header: Depth=4
	s_cmp_eq_u32 s72, 1
	s_cselect_b64 s[34:35], -1, 0
	v_cndmask_b32_e64 v4, v0, v2, s[34:35]
	v_cndmask_b32_e64 v5, v3, v9, s[34:35]
	v_add_co_u32_e32 v1, vcc, 0x400, v4
	s_cmp_eq_u32 s72, 0
	global_store_dwordx4 v[4:5], v[10:13], off glc slc
	v_addc_co_u32_e32 v4, vcc, 0, v5, vcc
	s_cselect_b64 vcc, -1, 0
	s_and_b64 s[36:37], exec, s[70:71]
	s_mov_b64 s[72:73], 1
	v_cndmask_b32_e64 v2, v2, v1, s[34:35]
	s_mov_b64 s[70:71], 0
	v_cndmask_b32_e64 v9, v9, v4, s[34:35]
	v_cndmask_b32_e32 v3, v3, v4, vcc
	v_cndmask_b32_e32 v0, v0, v1, vcc
	s_mov_b64 vcc, s[36:37]
	s_cbranch_vccnz .LBB4_1245
; %bb.1246:                             ;   in Loop: Header=BB4_1171 Depth=3
	v_sub_u32_e32 v21, v21, v28
	s_and_saveexec_b64 s[34:35], s[68:69]
	s_cbranch_execz .LBB4_1170
; %bb.1247:                             ;   in Loop: Header=BB4_1171 Depth=3
	v_accvgpr_read_b32 v4, a28
	v_add_co_u32_e32 v0, vcc, v0, v4
	v_accvgpr_read_b32 v1, a33
	v_addc_co_u32_e32 v3, vcc, v3, v1, vcc
	v_add_co_u32_e32 v2, vcc, v2, v4
	v_addc_co_u32_e32 v9, vcc, v9, v1, vcc
	v_add_co_u32_e32 v8, vcc, v8, v4
	;; [unrolled: 2-line block ×3, first 2 shown]
	v_addc_co_u32_e32 v17, vcc, v17, v1, vcc
	v_sub_u32_e32 v22, v22, v39
	v_sub_u32_e32 v21, v21, v28
	s_branch .LBB4_1170
.LBB4_1248:                             ;   in Loop: Header=BB4_886 Depth=2
	s_or_b64 exec, exec, s[64:65]
	s_and_b64 s[30:31], s[66:67], exec
.LBB4_1249:                             ;   in Loop: Header=BB4_886 Depth=2
	s_or_b64 exec, exec, s[62:63]
	s_and_saveexec_b64 s[36:37], s[30:31]
	s_cbranch_execz .LBB4_1284
; %bb.1250:                             ;   in Loop: Header=BB4_886 Depth=2
	buffer_load_dword v1, off, s[0:3], s33 offset:224
	buffer_load_dword v8, off, s[0:3], s33 offset:240
	;; [unrolled: 1-line block ×8, first 2 shown]
	s_waitcnt vmcnt(0)
	v_lshlrev_b32_e32 v4, 16, v1
	v_lshlrev_b32_e32 v10, 16, v8
	v_max_f32_e32 v10, v10, v10
	v_max_f32_e32 v4, v4, v4
	v_min_f32_e32 v15, v4, v10
	v_max_f32_e32 v4, v4, v10
	v_accvgpr_read_b32 v10, a1
	v_cmp_eq_u16_e32 vcc, 0, v10
	v_cndmask_b32_e32 v10, v4, v15, vcc
	v_and_b32_e32 v4, 0x7f800000, v10
	v_cmp_ne_u32_e64 s[30:31], s91, v4
                                        ; implicit-def: $vgpr4
	s_and_saveexec_b64 s[34:35], s[30:31]
	s_xor_b64 s[30:31], exec, s[34:35]
; %bb.1251:                             ;   in Loop: Header=BB4_886 Depth=2
	v_bfe_u32 v4, v10, 16, 1
	v_add3_u32 v4, v10, v4, s92
                                        ; implicit-def: $vgpr10
; %bb.1252:                             ;   in Loop: Header=BB4_886 Depth=2
	s_andn2_saveexec_b64 s[34:35], s[30:31]
; %bb.1253:                             ;   in Loop: Header=BB4_886 Depth=2
	v_or_b32_e32 v4, 0x10000, v10
	v_cmp_eq_u32_sdwa s[30:31], v10, v42 src0_sel:WORD_0 src1_sel:DWORD
	v_cndmask_b32_e64 v4, v4, v10, s[30:31]
; %bb.1254:                             ;   in Loop: Header=BB4_886 Depth=2
	s_or_b64 exec, exec, s[34:35]
	v_and_b32_e32 v1, 0xffff0000, v1
	v_and_b32_e32 v8, 0xffff0000, v8
	v_max_f32_e32 v8, v8, v8
	v_max_f32_e32 v1, v1, v1
	v_min_f32_e32 v10, v1, v8
	v_max_f32_e32 v1, v1, v8
	v_cndmask_b32_e32 v1, v1, v10, vcc
	v_and_b32_e32 v8, 0x7f800000, v1
	v_cmp_ne_u32_e64 s[30:31], s91, v8
                                        ; implicit-def: $vgpr8
	s_and_saveexec_b64 s[34:35], s[30:31]
	s_xor_b64 s[30:31], exec, s[34:35]
; %bb.1255:                             ;   in Loop: Header=BB4_886 Depth=2
	v_bfe_u32 v8, v1, 16, 1
	v_add3_u32 v8, v1, v8, s92
                                        ; implicit-def: $vgpr1
; %bb.1256:                             ;   in Loop: Header=BB4_886 Depth=2
	s_andn2_saveexec_b64 s[34:35], s[30:31]
; %bb.1257:                             ;   in Loop: Header=BB4_886 Depth=2
	v_or_b32_e32 v8, 0x10000, v1
	v_cmp_eq_u32_sdwa s[30:31], v1, v42 src0_sel:WORD_0 src1_sel:DWORD
	v_cndmask_b32_e64 v8, v8, v1, s[30:31]
; %bb.1258:                             ;   in Loop: Header=BB4_886 Depth=2
	s_or_b64 exec, exec, s[34:35]
	v_lshlrev_b32_e32 v1, 16, v13
	v_lshlrev_b32_e32 v10, 16, v14
	v_max_f32_e32 v10, v10, v10
	v_max_f32_e32 v1, v1, v1
	v_min_f32_e32 v15, v1, v10
	v_max_f32_e32 v1, v1, v10
	v_cndmask_b32_e32 v1, v1, v15, vcc
	v_and_b32_e32 v10, 0x7f800000, v1
	v_cmp_ne_u32_e64 s[30:31], s91, v10
                                        ; implicit-def: $vgpr10
	s_and_saveexec_b64 s[34:35], s[30:31]
	s_xor_b64 s[30:31], exec, s[34:35]
; %bb.1259:                             ;   in Loop: Header=BB4_886 Depth=2
	v_bfe_u32 v10, v1, 16, 1
	v_add3_u32 v10, v1, v10, s92
                                        ; implicit-def: $vgpr1
; %bb.1260:                             ;   in Loop: Header=BB4_886 Depth=2
	s_andn2_saveexec_b64 s[34:35], s[30:31]
; %bb.1261:                             ;   in Loop: Header=BB4_886 Depth=2
	v_or_b32_e32 v10, 0x10000, v1
	v_cmp_eq_u32_sdwa s[30:31], v1, v42 src0_sel:WORD_0 src1_sel:DWORD
	v_cndmask_b32_e64 v10, v10, v1, s[30:31]
; %bb.1262:                             ;   in Loop: Header=BB4_886 Depth=2
	s_or_b64 exec, exec, s[34:35]
	v_and_b32_e32 v1, 0xffff0000, v13
	v_and_b32_e32 v13, 0xffff0000, v14
	v_max_f32_e32 v13, v13, v13
	v_max_f32_e32 v1, v1, v1
	v_min_f32_e32 v14, v1, v13
	v_max_f32_e32 v1, v1, v13
	v_cndmask_b32_e32 v1, v1, v14, vcc
	v_and_b32_e32 v13, 0x7f800000, v1
	v_cmp_ne_u32_e64 s[30:31], s91, v13
                                        ; implicit-def: $vgpr13
	s_and_saveexec_b64 s[34:35], s[30:31]
	s_xor_b64 s[30:31], exec, s[34:35]
; %bb.1263:                             ;   in Loop: Header=BB4_886 Depth=2
	v_bfe_u32 v13, v1, 16, 1
	v_add3_u32 v13, v1, v13, s92
                                        ; implicit-def: $vgpr1
; %bb.1264:                             ;   in Loop: Header=BB4_886 Depth=2
	s_andn2_saveexec_b64 s[34:35], s[30:31]
; %bb.1265:                             ;   in Loop: Header=BB4_886 Depth=2
	v_or_b32_e32 v13, 0x10000, v1
	v_cmp_eq_u32_sdwa s[30:31], v1, v42 src0_sel:WORD_0 src1_sel:DWORD
	v_cndmask_b32_e64 v13, v13, v1, s[30:31]
; %bb.1266:                             ;   in Loop: Header=BB4_886 Depth=2
	s_or_b64 exec, exec, s[34:35]
	v_lshlrev_b32_e32 v1, 16, v11
	v_lshlrev_b32_e32 v14, 16, v12
	v_max_f32_e32 v14, v14, v14
	v_max_f32_e32 v1, v1, v1
	v_min_f32_e32 v15, v1, v14
	v_max_f32_e32 v1, v1, v14
	v_cndmask_b32_e32 v1, v1, v15, vcc
	v_and_b32_e32 v14, 0x7f800000, v1
	v_cmp_ne_u32_e64 s[30:31], s91, v14
                                        ; implicit-def: $vgpr14
	s_and_saveexec_b64 s[34:35], s[30:31]
	s_xor_b64 s[30:31], exec, s[34:35]
; %bb.1267:                             ;   in Loop: Header=BB4_886 Depth=2
	v_bfe_u32 v14, v1, 16, 1
	v_add3_u32 v14, v1, v14, s92
                                        ; implicit-def: $vgpr1
; %bb.1268:                             ;   in Loop: Header=BB4_886 Depth=2
	s_andn2_saveexec_b64 s[34:35], s[30:31]
; %bb.1269:                             ;   in Loop: Header=BB4_886 Depth=2
	v_or_b32_e32 v14, 0x10000, v1
	v_cmp_eq_u32_sdwa s[30:31], v1, v42 src0_sel:WORD_0 src1_sel:DWORD
	v_cndmask_b32_e64 v14, v14, v1, s[30:31]
; %bb.1270:                             ;   in Loop: Header=BB4_886 Depth=2
	s_or_b64 exec, exec, s[34:35]
	v_and_b32_e32 v1, 0xffff0000, v11
	v_and_b32_e32 v11, 0xffff0000, v12
	v_max_f32_e32 v11, v11, v11
	v_max_f32_e32 v1, v1, v1
	v_min_f32_e32 v12, v1, v11
	v_max_f32_e32 v1, v1, v11
	v_cndmask_b32_e32 v1, v1, v12, vcc
	v_and_b32_e32 v11, 0x7f800000, v1
	v_cmp_ne_u32_e64 s[30:31], s91, v11
                                        ; implicit-def: $vgpr12
	s_and_saveexec_b64 s[34:35], s[30:31]
	s_xor_b64 s[30:31], exec, s[34:35]
; %bb.1271:                             ;   in Loop: Header=BB4_886 Depth=2
	v_bfe_u32 v11, v1, 16, 1
	v_add3_u32 v12, v1, v11, s92
                                        ; implicit-def: $vgpr1
; %bb.1272:                             ;   in Loop: Header=BB4_886 Depth=2
	s_andn2_saveexec_b64 s[34:35], s[30:31]
; %bb.1273:                             ;   in Loop: Header=BB4_886 Depth=2
	v_or_b32_e32 v11, 0x10000, v1
	v_cmp_eq_u32_sdwa s[30:31], v1, v42 src0_sel:WORD_0 src1_sel:DWORD
	v_cndmask_b32_e64 v12, v11, v1, s[30:31]
; %bb.1274:                             ;   in Loop: Header=BB4_886 Depth=2
	s_or_b64 exec, exec, s[34:35]
	v_lshlrev_b32_e32 v1, 16, v5
	v_lshlrev_b32_e32 v11, 16, v6
	v_max_f32_e32 v11, v11, v11
	v_max_f32_e32 v1, v1, v1
	v_min_f32_e32 v15, v1, v11
	v_max_f32_e32 v1, v1, v11
	v_cndmask_b32_e32 v11, v1, v15, vcc
	v_and_b32_e32 v1, 0x7f800000, v11
	v_cmp_ne_u32_e64 s[30:31], s91, v1
                                        ; implicit-def: $vgpr1
	s_and_saveexec_b64 s[34:35], s[30:31]
	s_xor_b64 s[30:31], exec, s[34:35]
; %bb.1275:                             ;   in Loop: Header=BB4_886 Depth=2
	v_bfe_u32 v1, v11, 16, 1
	v_add3_u32 v1, v11, v1, s92
                                        ; implicit-def: $vgpr11
; %bb.1276:                             ;   in Loop: Header=BB4_886 Depth=2
	s_andn2_saveexec_b64 s[34:35], s[30:31]
; %bb.1277:                             ;   in Loop: Header=BB4_886 Depth=2
	v_or_b32_e32 v1, 0x10000, v11
	v_cmp_eq_u32_sdwa s[30:31], v11, v42 src0_sel:WORD_0 src1_sel:DWORD
	v_cndmask_b32_e64 v1, v1, v11, s[30:31]
; %bb.1278:                             ;   in Loop: Header=BB4_886 Depth=2
	s_or_b64 exec, exec, s[34:35]
	v_and_b32_e32 v5, 0xffff0000, v5
	v_and_b32_e32 v6, 0xffff0000, v6
	v_max_f32_e32 v6, v6, v6
	v_max_f32_e32 v5, v5, v5
	v_min_f32_e32 v11, v5, v6
	v_max_f32_e32 v5, v5, v6
	v_cndmask_b32_e32 v6, v5, v11, vcc
	v_and_b32_e32 v5, 0x7f800000, v6
	v_cmp_ne_u32_e32 vcc, s91, v5
                                        ; implicit-def: $vgpr5
	s_and_saveexec_b64 s[30:31], vcc
	s_xor_b64 vcc, exec, s[30:31]
; %bb.1279:                             ;   in Loop: Header=BB4_886 Depth=2
	v_bfe_u32 v5, v6, 16, 1
	v_add3_u32 v5, v6, v5, s92
                                        ; implicit-def: $vgpr6
; %bb.1280:                             ;   in Loop: Header=BB4_886 Depth=2
	s_andn2_saveexec_b64 s[30:31], vcc
; %bb.1281:                             ;   in Loop: Header=BB4_886 Depth=2
	v_or_b32_e32 v5, 0x10000, v6
	v_cmp_eq_u32_sdwa vcc, v6, v42 src0_sel:WORD_0 src1_sel:DWORD
	v_cndmask_b32_e32 v5, v5, v6, vcc
; %bb.1282:                             ;   in Loop: Header=BB4_886 Depth=2
	s_or_b64 exec, exec, s[30:31]
	v_lshrrev_b32_e32 v4, 16, v4
	v_lshrrev_b32_e32 v6, 16, v10
	v_and_or_b32 v10, v8, s93, v4
	v_lshrrev_b32_e32 v4, 16, v14
	v_lshrrev_b32_e32 v1, 16, v1
	v_and_or_b32 v11, v13, s93, v6
	v_and_or_b32 v12, v12, s93, v4
	v_and_or_b32 v13, v5, s93, v1
	s_mov_b64 s[64:65], 0
	s_mov_b64 s[62:63], -1
.LBB4_1283:                             ;   Parent Loop BB4_47 Depth=1
                                        ;     Parent Loop BB4_886 Depth=2
                                        ; =>    This Inner Loop Header: Depth=3
	s_cmp_eq_u32 s64, 1
	s_cselect_b64 s[30:31], -1, 0
	v_cndmask_b32_e64 v4, v0, v2, s[30:31]
	v_cndmask_b32_e64 v5, v3, v9, s[30:31]
	v_add_co_u32_e32 v1, vcc, 0x400, v4
	s_cmp_eq_u32 s64, 0
	global_store_dwordx4 v[4:5], v[10:13], off glc slc
	v_addc_co_u32_e32 v4, vcc, 0, v5, vcc
	s_cselect_b64 vcc, -1, 0
	s_and_b64 s[34:35], exec, s[62:63]
	s_mov_b64 s[64:65], 1
	v_cndmask_b32_e64 v2, v2, v1, s[30:31]
	s_mov_b64 s[62:63], 0
	v_cndmask_b32_e64 v9, v9, v4, s[30:31]
	v_cndmask_b32_e32 v3, v3, v4, vcc
	v_cndmask_b32_e32 v0, v0, v1, vcc
	s_mov_b64 vcc, s[34:35]
	s_cbranch_vccnz .LBB4_1283
.LBB4_1284:                             ;   in Loop: Header=BB4_886 Depth=2
	s_or_b64 exec, exec, s[36:37]
	v_accvgpr_read_b32 v0, a0
	v_and_b32_e32 v0, 14, v0
	v_cndmask_b32_e64 v17, v20, v0, s[28:29]
	v_cmp_ne_u32_e32 vcc, 0, v17
	s_mov_b64 s[30:31], s[58:59]
                                        ; implicit-def: $vgpr22
                                        ; implicit-def: $vgpr23
                                        ; implicit-def: $vgpr2
	s_and_saveexec_b64 s[34:35], vcc
	s_cbranch_execz .LBB4_1286
; %bb.1285:                             ;   in Loop: Header=BB4_886 Depth=2
	v_sub_u32_e32 v0, v20, v0
	v_cndmask_b32_e64 v0, 0, v0, s[28:29]
	v_cmp_lt_i32_e32 vcc, 0, v21
	v_add3_u32 v22, v19, v16, v0
	v_cndmask_b32_e32 v0, 0, v28, vcc
	v_sub_u32_e32 v0, v0, v21
	v_lshl_add_u32 v0, v0, 6, v18
	v_ashrrev_i32_e32 v1, 31, v0
	v_lshrrev_b32_e32 v1, 26, v1
	v_add_u32_e32 v1, v0, v1
	v_ashrrev_i32_e32 v2, 6, v1
	v_and_b32_e32 v1, 0xffffffc0, v1
	v_sub_u32_e32 v23, v0, v1
	s_or_b64 s[30:31], s[58:59], exec
.LBB4_1286:                             ;   in Loop: Header=BB4_886 Depth=2
	s_or_b64 exec, exec, s[34:35]
	s_andn2_b64 s[28:29], s[58:59], exec
	s_and_b64 vcc, s[30:31], exec
	s_or_b64 s[58:59], s[28:29], vcc
.LBB4_1287:                             ;   in Loop: Header=BB4_886 Depth=2
	s_or_b64 exec, exec, s[60:61]
	s_and_saveexec_b64 s[36:37], s[58:59]
	s_cbranch_execz .LBB4_1358
.LBB4_1288:                             ;   in Loop: Header=BB4_886 Depth=2
	v_lshlrev_b32_e32 v0, 8, v2
	v_lshlrev_b32_e32 v1, 1, v23
	v_add3_u32 v0, v22, v1, v0
	s_trap 2
	ds_read_b128 v[8:11], v0
	v_ashrrev_i32_e32 v1, 31, v17
	v_add_u32_sdwa v1, v17, v1 dst_sel:DWORD dst_unused:UNUSED_PAD src0_sel:DWORD src1_sel:BYTE_3
	v_ashrrev_i32_e32 v18, 8, v1
	v_ashrrev_i32_e32 v15, 31, v0
	v_sub_u32_e32 v16, v18, v2
	s_waitcnt lgkmcnt(0)
	v_add_co_u32_e32 v2, vcc, v8, v0
	v_addc_co_u32_e32 v3, vcc, v9, v15, vcc
	v_add_co_u32_e32 v4, vcc, v10, v0
	v_addc_co_u32_e32 v5, vcc, v11, v15, vcc
	v_cmp_lt_i32_e32 vcc, 0, v16
	s_mov_b64 s[28:29], 0
	v_mov_b32_e32 v12, 0
	v_mov_b32_e32 v1, 0
	;; [unrolled: 1-line block ×4, first 2 shown]
	s_and_saveexec_b64 s[30:31], vcc
	s_cbranch_execz .LBB4_1314
; %bb.1289:                             ;   in Loop: Header=BB4_886 Depth=2
	s_trap 2
	ds_read_b128 v[24:27], v0
	s_mov_b64 s[60:61], 0
	s_mov_b64 s[58:59], 0
                                        ; implicit-def: $sgpr34_sgpr35
                                        ; implicit-def: $vgpr20
                                        ; implicit-def: $vgpr19
                                        ; implicit-def: $vgpr6
	s_waitcnt lgkmcnt(0)
	v_add_co_u32_e32 v12, vcc, v24, v0
	v_addc_co_u32_e32 v13, vcc, v25, v15, vcc
	v_add_co_u32_e32 v14, vcc, v26, v0
	v_accvgpr_read_b32 v0, a1
	v_addc_co_u32_e32 v15, vcc, v27, v15, vcc
	v_cmp_eq_u16_sdwa s[28:29], v0, v42 src0_sel:BYTE_0 src1_sel:DWORD
                                        ; implicit-def: $vgpr0
	s_branch .LBB4_1291
.LBB4_1290:                             ;   in Loop: Header=BB4_1291 Depth=3
	s_or_b64 exec, exec, s[62:63]
	v_cmp_gt_i32_e32 vcc, 1, v16
	s_or_b64 s[58:59], vcc, s[58:59]
	s_andn2_b64 vcc, s[34:35], exec
	s_and_b64 s[34:35], s[60:61], exec
	s_or_b64 s[34:35], vcc, s[34:35]
	s_andn2_b64 exec, exec, s[58:59]
	s_cbranch_execz .LBB4_1313
.LBB4_1291:                             ;   Parent Loop BB4_47 Depth=1
                                        ;     Parent Loop BB4_886 Depth=2
                                        ; =>    This Inner Loop Header: Depth=3
	flat_load_ushort v25, v[12:13] glc slc
	flat_load_ushort v21, v[12:13] offset:128 glc slc
	flat_load_ushort v26, v[14:15] glc slc
	flat_load_ushort v24, v[14:15] offset:128 glc slc
	s_and_saveexec_b64 s[62:63], s[60:61]
	s_cbranch_execz .LBB4_1301
; %bb.1292:                             ;   in Loop: Header=BB4_1291 Depth=3
	v_lshlrev_b32_e32 v1, 16, v20
	v_lshlrev_b32_e32 v20, 16, v0
	v_max_f32_e32 v20, v20, v20
	v_max_f32_e32 v1, v1, v1
	v_min_f32_e32 v27, v1, v20
	v_max_f32_e32 v1, v1, v20
	v_cndmask_b32_e64 v20, v1, v27, s[28:29]
	v_and_b32_e32 v1, 0x7f800000, v20
	v_cmp_ne_u32_e32 vcc, s91, v1
                                        ; implicit-def: $vgpr1
	s_and_saveexec_b64 s[60:61], vcc
	s_xor_b64 vcc, exec, s[60:61]
; %bb.1293:                             ;   in Loop: Header=BB4_1291 Depth=3
	v_bfe_u32 v1, v20, 16, 1
	v_add3_u32 v1, v20, v1, s92
                                        ; implicit-def: $vgpr20
; %bb.1294:                             ;   in Loop: Header=BB4_1291 Depth=3
	s_andn2_saveexec_b64 s[60:61], vcc
; %bb.1295:                             ;   in Loop: Header=BB4_1291 Depth=3
	v_or_b32_e32 v1, 0x10000, v20
	v_cmp_eq_u32_sdwa vcc, v20, v42 src0_sel:WORD_0 src1_sel:DWORD
	v_cndmask_b32_e32 v1, v1, v20, vcc
; %bb.1296:                             ;   in Loop: Header=BB4_1291 Depth=3
	s_or_b64 exec, exec, s[60:61]
	v_lshlrev_b32_e32 v19, 16, v19
	v_lshlrev_b32_e32 v20, 16, v6
	v_max_f32_e32 v20, v20, v20
	v_max_f32_e32 v19, v19, v19
	v_min_f32_e32 v27, v19, v20
	v_max_f32_e32 v19, v19, v20
	v_cndmask_b32_e64 v19, v19, v27, s[28:29]
	v_and_b32_e32 v20, 0x7f800000, v19
	v_cmp_ne_u32_e32 vcc, s91, v20
                                        ; implicit-def: $vgpr27
	s_and_saveexec_b64 s[60:61], vcc
	s_xor_b64 vcc, exec, s[60:61]
; %bb.1297:                             ;   in Loop: Header=BB4_1291 Depth=3
	v_bfe_u32 v20, v19, 16, 1
	v_add3_u32 v27, v19, v20, s92
                                        ; implicit-def: $vgpr19
; %bb.1298:                             ;   in Loop: Header=BB4_1291 Depth=3
	s_andn2_saveexec_b64 s[60:61], vcc
; %bb.1299:                             ;   in Loop: Header=BB4_1291 Depth=3
	v_or_b32_e32 v20, 0x10000, v19
	v_cmp_eq_u32_sdwa vcc, v19, v42 src0_sel:WORD_0 src1_sel:DWORD
	v_cndmask_b32_e32 v27, v20, v19, vcc
; %bb.1300:                             ;   in Loop: Header=BB4_1291 Depth=3
	s_or_b64 exec, exec, s[60:61]
	v_lshrrev_b32_e32 v20, 16, v1
	v_accvgpr_read_b32 v1, a50
	v_lshrrev_b32_e32 v19, 16, v27
	flat_store_short v[2:3], v20 glc slc
	flat_store_short v[2:3], v19 offset:128 glc slc
	flat_store_short v[4:5], v20 glc slc
	flat_store_short v[4:5], v19 offset:128 glc slc
	v_add_co_u32_e32 v2, vcc, v2, v1
	v_accvgpr_read_b32 v27, a51
	v_addc_co_u32_e32 v3, vcc, v3, v27, vcc
	v_add_co_u32_e32 v4, vcc, v4, v1
	v_addc_co_u32_e32 v5, vcc, v5, v27, vcc
.LBB4_1301:                             ;   in Loop: Header=BB4_1291 Depth=3
	s_or_b64 exec, exec, s[62:63]
	v_accvgpr_read_b32 v1, a50
	v_add_co_u32_e32 v12, vcc, v12, v1
	v_accvgpr_read_b32 v27, a51
	v_addc_co_u32_e32 v13, vcc, v13, v27, vcc
	v_add_co_u32_e32 v14, vcc, v14, v1
	v_sub_u32_e32 v16, v16, v28
	v_addc_co_u32_e32 v15, vcc, v15, v27, vcc
	v_cmp_lt_i32_e64 s[60:61], 0, v16
	s_and_saveexec_b64 s[62:63], s[60:61]
	s_cbranch_execz .LBB4_1303
; %bb.1302:                             ;   in Loop: Header=BB4_1291 Depth=3
	flat_load_ushort v20, v[12:13] glc slc
	flat_load_ushort v19, v[12:13] offset:128 glc slc
	flat_load_ushort v0, v[14:15] glc slc
	flat_load_ushort v6, v[14:15] offset:128 glc slc
	v_add_co_u32_e32 v12, vcc, 0x100, v12
	v_addc_co_u32_e32 v13, vcc, 0, v13, vcc
	v_add_co_u32_e32 v14, vcc, 0x100, v14
	v_addc_co_u32_e32 v15, vcc, 0, v15, vcc
.LBB4_1303:                             ;   in Loop: Header=BB4_1291 Depth=3
	s_or_b64 exec, exec, s[62:63]
	s_waitcnt vmcnt(0) lgkmcnt(0)
	v_lshlrev_b32_e32 v1, 16, v25
	v_lshlrev_b32_e32 v25, 16, v26
	v_max_f32_e32 v25, v25, v25
	v_max_f32_e32 v1, v1, v1
	v_min_f32_e32 v26, v1, v25
	v_max_f32_e32 v1, v1, v25
	v_cndmask_b32_e64 v25, v1, v26, s[28:29]
	v_and_b32_e32 v1, 0x7f800000, v25
	v_cmp_ne_u32_e32 vcc, s91, v1
                                        ; implicit-def: $vgpr1
	s_and_saveexec_b64 s[62:63], vcc
	s_xor_b64 vcc, exec, s[62:63]
; %bb.1304:                             ;   in Loop: Header=BB4_1291 Depth=3
	v_bfe_u32 v1, v25, 16, 1
	v_add3_u32 v1, v25, v1, s92
                                        ; implicit-def: $vgpr25
; %bb.1305:                             ;   in Loop: Header=BB4_1291 Depth=3
	s_andn2_saveexec_b64 s[62:63], vcc
; %bb.1306:                             ;   in Loop: Header=BB4_1291 Depth=3
	v_or_b32_e32 v1, 0x10000, v25
	v_cmp_eq_u32_sdwa vcc, v25, v42 src0_sel:WORD_0 src1_sel:DWORD
	v_cndmask_b32_e32 v1, v1, v25, vcc
; %bb.1307:                             ;   in Loop: Header=BB4_1291 Depth=3
	s_or_b64 exec, exec, s[62:63]
	v_lshlrev_b32_e32 v21, 16, v21
	v_lshlrev_b32_e32 v24, 16, v24
	v_max_f32_e32 v24, v24, v24
	v_max_f32_e32 v21, v21, v21
	v_min_f32_e32 v25, v21, v24
	v_max_f32_e32 v21, v21, v24
	v_cndmask_b32_e64 v21, v21, v25, s[28:29]
	v_and_b32_e32 v24, 0x7f800000, v21
	v_cmp_ne_u32_e32 vcc, s91, v24
                                        ; implicit-def: $vgpr24
	s_and_saveexec_b64 s[62:63], vcc
	s_xor_b64 vcc, exec, s[62:63]
; %bb.1308:                             ;   in Loop: Header=BB4_1291 Depth=3
	v_bfe_u32 v24, v21, 16, 1
	v_add3_u32 v24, v21, v24, s92
                                        ; implicit-def: $vgpr21
; %bb.1309:                             ;   in Loop: Header=BB4_1291 Depth=3
	s_andn2_saveexec_b64 s[62:63], vcc
; %bb.1310:                             ;   in Loop: Header=BB4_1291 Depth=3
	v_or_b32_e32 v24, 0x10000, v21
	v_cmp_eq_u32_sdwa vcc, v21, v42 src0_sel:WORD_0 src1_sel:DWORD
	v_cndmask_b32_e32 v24, v24, v21, vcc
; %bb.1311:                             ;   in Loop: Header=BB4_1291 Depth=3
	s_or_b64 exec, exec, s[62:63]
	v_lshrrev_b32_e32 v1, 16, v1
	v_lshrrev_b32_e32 v21, 16, v24
	flat_store_short v[2:3], v1 glc slc
	flat_store_short v[2:3], v21 offset:128 glc slc
	v_add_co_u32_e32 v2, vcc, 0x100, v2
	v_addc_co_u32_e32 v3, vcc, 0, v3, vcc
	flat_store_short v[4:5], v1 glc slc
	flat_store_short v[4:5], v21 offset:128 glc slc
	v_add_co_u32_e32 v4, vcc, 0x100, v4
	v_addc_co_u32_e32 v5, vcc, 0, v5, vcc
	s_and_saveexec_b64 s[62:63], s[60:61]
	s_cbranch_execz .LBB4_1290
; %bb.1312:                             ;   in Loop: Header=BB4_1291 Depth=3
	v_accvgpr_read_b32 v24, a48
	v_add_co_u32_e32 v2, vcc, v2, v24
	v_accvgpr_read_b32 v1, a49
	v_addc_co_u32_e32 v3, vcc, v3, v1, vcc
	v_add_co_u32_e32 v4, vcc, v4, v24
	v_addc_co_u32_e32 v5, vcc, v5, v1, vcc
	v_add_co_u32_e32 v12, vcc, v12, v24
	;; [unrolled: 2-line block ×3, first 2 shown]
	v_addc_co_u32_e32 v15, vcc, v15, v1, vcc
	v_sub_u32_e32 v16, v16, v28
	s_branch .LBB4_1290
.LBB4_1313:                             ;   in Loop: Header=BB4_886 Depth=2
	s_or_b64 exec, exec, s[58:59]
	v_lshlrev_b32_e32 v12, 16, v20
	v_lshlrev_b32_e32 v13, 16, v0
	;; [unrolled: 1-line block ×4, first 2 shown]
	s_and_b64 s[28:29], s[34:35], exec
.LBB4_1314:                             ;   in Loop: Header=BB4_886 Depth=2
	s_or_b64 exec, exec, s[30:31]
	s_and_saveexec_b64 s[30:31], s[28:29]
	s_cbranch_execz .LBB4_1324
; %bb.1315:                             ;   in Loop: Header=BB4_886 Depth=2
	v_max_f32_e32 v0, v13, v13
	v_max_f32_e32 v12, v12, v12
	v_min_f32_e32 v13, v12, v0
	v_max_f32_e32 v0, v12, v0
	v_accvgpr_read_b32 v12, a1
	v_cmp_eq_u16_sdwa vcc, v12, v42 src0_sel:BYTE_0 src1_sel:DWORD
	v_cndmask_b32_e32 v12, v0, v13, vcc
	v_and_b32_e32 v0, 0x7f800000, v12
	v_cmp_ne_u32_e64 s[28:29], s91, v0
                                        ; implicit-def: $vgpr0
	s_and_saveexec_b64 s[34:35], s[28:29]
	s_xor_b64 s[28:29], exec, s[34:35]
; %bb.1316:                             ;   in Loop: Header=BB4_886 Depth=2
	v_bfe_u32 v0, v12, 16, 1
	v_add3_u32 v0, v12, v0, s92
                                        ; implicit-def: $vgpr12
; %bb.1317:                             ;   in Loop: Header=BB4_886 Depth=2
	s_andn2_saveexec_b64 s[34:35], s[28:29]
; %bb.1318:                             ;   in Loop: Header=BB4_886 Depth=2
	v_or_b32_e32 v0, 0x10000, v12
	v_cmp_eq_u32_sdwa s[28:29], v12, v42 src0_sel:WORD_0 src1_sel:DWORD
	v_cndmask_b32_e64 v0, v0, v12, s[28:29]
; %bb.1319:                             ;   in Loop: Header=BB4_886 Depth=2
	s_or_b64 exec, exec, s[34:35]
	v_max_f32_e32 v6, v6, v6
	v_max_f32_e32 v1, v1, v1
	v_min_f32_e32 v12, v1, v6
	v_max_f32_e32 v1, v1, v6
	v_cndmask_b32_e32 v1, v1, v12, vcc
	v_and_b32_e32 v6, 0x7f800000, v1
	v_cmp_ne_u32_e32 vcc, s91, v6
                                        ; implicit-def: $vgpr6
	s_and_saveexec_b64 s[28:29], vcc
	s_xor_b64 s[28:29], exec, s[28:29]
; %bb.1320:                             ;   in Loop: Header=BB4_886 Depth=2
	v_bfe_u32 v6, v1, 16, 1
	v_add3_u32 v6, v1, v6, s92
                                        ; implicit-def: $vgpr1
; %bb.1321:                             ;   in Loop: Header=BB4_886 Depth=2
	s_andn2_saveexec_b64 s[28:29], s[28:29]
; %bb.1322:                             ;   in Loop: Header=BB4_886 Depth=2
	v_or_b32_e32 v6, 0x10000, v1
	v_cmp_eq_u32_sdwa vcc, v1, v42 src0_sel:WORD_0 src1_sel:DWORD
	v_cndmask_b32_e32 v6, v6, v1, vcc
; %bb.1323:                             ;   in Loop: Header=BB4_886 Depth=2
	s_or_b64 exec, exec, s[28:29]
	v_lshrrev_b32_e32 v0, 16, v0
	v_lshrrev_b32_e32 v1, 16, v6
	flat_store_short v[2:3], v0 glc slc
	flat_store_short v[2:3], v1 offset:128 glc slc
	flat_store_short v[4:5], v0 glc slc
	flat_store_short v[4:5], v1 offset:128 glc slc
.LBB4_1324:                             ;   in Loop: Header=BB4_886 Depth=2
	s_or_b64 exec, exec, s[30:31]
	v_lshlrev_b32_e32 v0, 8, v18
	v_cmp_ne_u32_e32 vcc, v17, v0
	s_and_saveexec_b64 s[58:59], vcc
	s_cbranch_execz .LBB4_1357
; %bb.1325:                             ;   in Loop: Header=BB4_886 Depth=2
	v_lshlrev_b32_e32 v1, 6, v16
	v_sub_u32_e32 v1, v23, v1
	v_ashrrev_i32_e32 v2, 31, v1
	v_lshrrev_b32_e32 v2, 26, v2
	v_add_u32_e32 v2, v1, v2
	v_and_b32_e32 v3, 0x7fffffc0, v2
	v_sub_u32_e32 v1, v1, v3
	v_lshlrev_b32_e32 v2, 1, v2
	v_and_b32_e32 v2, 0xffffff80, v2
	v_lshlrev_b32_e32 v1, 1, v1
	v_add3_u32 v0, v2, v1, v0
	v_add_u32_e32 v12, v0, v22
	v_sub_u32_e32 v6, v17, v0
	v_ashrrev_i32_e32 v13, 31, v12
	v_add_co_u32_e32 v0, vcc, v12, v8
	v_addc_co_u32_e32 v3, vcc, v13, v9, vcc
	v_add_co_u32_e32 v2, vcc, v12, v10
	v_addc_co_u32_e32 v9, vcc, v13, v11, vcc
	v_cmp_lt_i32_e32 vcc, 1, v6
	s_mov_b64 s[28:29], 0
	s_and_saveexec_b64 s[60:61], vcc
	s_cbranch_execz .LBB4_1350
; %bb.1326:                             ;   in Loop: Header=BB4_886 Depth=2
	s_trap 2
	ds_read_b128 v[14:17], v0
	v_accvgpr_read_b32 v1, a1
	v_cmp_eq_u16_sdwa s[28:29], v1, v42 src0_sel:BYTE_0 src1_sel:DWORD
	s_mov_b64 s[66:67], 0
	s_mov_b64 s[62:63], 0
	s_waitcnt lgkmcnt(0)
	v_add_co_u32_e32 v4, vcc, v14, v12
	v_addc_co_u32_e32 v5, vcc, v15, v13, vcc
	v_add_co_u32_e32 v8, vcc, v16, v12
	v_accvgpr_read_b32 v14, a30
	v_addc_co_u32_e32 v11, vcc, v17, v13, vcc
	v_accvgpr_read_b32 v15, a31
                                        ; implicit-def: $sgpr64_sgpr65
	s_branch .LBB4_1328
.LBB4_1327:                             ;   in Loop: Header=BB4_1328 Depth=3
	s_or_b64 exec, exec, s[30:31]
	v_cmp_gt_i32_e32 vcc, 2, v6
	s_or_b64 s[62:63], vcc, s[62:63]
	s_andn2_b64 vcc, s[64:65], exec
	s_and_b64 s[30:31], s[66:67], exec
	s_or_b64 s[64:65], vcc, s[30:31]
	s_andn2_b64 exec, exec, s[62:63]
	s_cbranch_execz .LBB4_1349
.LBB4_1328:                             ;   Parent Loop BB4_47 Depth=1
                                        ;     Parent Loop BB4_886 Depth=2
                                        ; =>    This Loop Header: Depth=3
                                        ;         Child Loop BB4_1329 Depth 4
                                        ;         Child Loop BB4_1336 Depth 4
                                        ;         Child Loop BB4_1340 Depth 4
                                        ;         Child Loop BB4_1346 Depth 4
	v_lshrrev_b32_e64 v1, 6, s33
	v_add_u32_e32 v1, 0xc0, v1
	s_mov_b64 s[68:69], -1
	s_mov_b64 s[70:71], 0
.LBB4_1329:                             ;   Parent Loop BB4_47 Depth=1
                                        ;     Parent Loop BB4_886 Depth=2
                                        ;       Parent Loop BB4_1328 Depth=3
                                        ; =>      This Inner Loop Header: Depth=4
	s_cmp_eq_u32 s70, 1
	s_cselect_b64 s[30:31], -1, 0
	v_cndmask_b32_e64 v13, v5, v11, s[30:31]
	v_cndmask_b32_e64 v12, v4, v8, s[30:31]
	flat_load_ushort v10, v[12:13] glc slc
	v_add_co_u32_e32 v12, vcc, 0x80, v12
	s_cmp_eq_u32 s70, 0
	v_addc_co_u32_e32 v13, vcc, 0, v13, vcc
	s_cselect_b64 vcc, -1, 0
	s_and_b64 s[34:35], exec, s[68:69]
	s_mov_b64 s[70:71], 1
	v_cndmask_b32_e64 v8, v8, v12, s[30:31]
	s_mov_b64 s[68:69], 0
	v_cndmask_b32_e32 v5, v5, v13, vcc
	v_cndmask_b32_e32 v4, v4, v12, vcc
	v_cndmask_b32_e64 v11, v11, v13, s[30:31]
	s_mov_b64 vcc, s[34:35]
	s_waitcnt vmcnt(0) lgkmcnt(0)
	buffer_store_short v10, v1, s[0:3], 0 offen
	v_lshrrev_b32_e64 v1, 6, s33
	v_add_u32_e32 v1, 0xe0, v1
	s_cbranch_vccnz .LBB4_1329
; %bb.1330:                             ;   in Loop: Header=BB4_1328 Depth=3
	s_and_saveexec_b64 s[68:69], s[66:67]
	s_cbranch_execz .LBB4_1338
; %bb.1331:                             ;   in Loop: Header=BB4_1328 Depth=3
	buffer_load_ushort v1, off, s[0:3], s33 offset:188
	buffer_load_ushort v10, off, s[0:3], s33 offset:190
	s_waitcnt vmcnt(1)
	v_lshlrev_b32_e32 v1, 16, v1
	s_waitcnt vmcnt(0)
	v_lshlrev_b32_e32 v10, 16, v10
	v_max_f32_e32 v10, v10, v10
	v_max_f32_e32 v1, v1, v1
	v_min_f32_e32 v12, v1, v10
	v_max_f32_e32 v1, v1, v10
	v_cndmask_b32_e64 v1, v1, v12, s[28:29]
	v_and_b32_e32 v10, 0x7f800000, v1
	v_cmp_ne_u32_e32 vcc, s91, v10
                                        ; implicit-def: $vgpr10
	s_and_saveexec_b64 s[30:31], vcc
	s_xor_b64 vcc, exec, s[30:31]
; %bb.1332:                             ;   in Loop: Header=BB4_1328 Depth=3
	v_bfe_u32 v10, v1, 16, 1
	v_add3_u32 v10, v1, v10, s92
                                        ; implicit-def: $vgpr1
; %bb.1333:                             ;   in Loop: Header=BB4_1328 Depth=3
	s_andn2_saveexec_b64 s[30:31], vcc
; %bb.1334:                             ;   in Loop: Header=BB4_1328 Depth=3
	v_or_b32_e32 v10, 0x10000, v1
	v_cmp_eq_u32_sdwa vcc, v1, v42 src0_sel:WORD_0 src1_sel:DWORD
	v_cndmask_b32_e32 v10, v10, v1, vcc
; %bb.1335:                             ;   in Loop: Header=BB4_1328 Depth=3
	s_or_b64 exec, exec, s[30:31]
	v_lshrrev_b32_e32 v1, 16, v10
	s_mov_b64 s[70:71], 0
	s_mov_b64 s[66:67], -1
	buffer_store_short v1, off, s[0:3], s33 offset:188
.LBB4_1336:                             ;   Parent Loop BB4_47 Depth=1
                                        ;     Parent Loop BB4_886 Depth=2
                                        ;       Parent Loop BB4_1328 Depth=3
                                        ; =>      This Inner Loop Header: Depth=4
	s_cmp_eq_u32 s70, 1
	s_cselect_b64 s[30:31], -1, 0
	v_cndmask_b32_e64 v12, v0, v2, s[30:31]
	v_cndmask_b32_e64 v13, v3, v9, s[30:31]
	v_add_co_u32_e32 v10, vcc, 0x80, v12
	s_cmp_eq_u32 s70, 0
	flat_store_short v[12:13], v1 glc slc
	v_addc_co_u32_e32 v12, vcc, 0, v13, vcc
	s_cselect_b64 vcc, -1, 0
	s_and_b64 s[34:35], exec, s[66:67]
	s_mov_b64 s[70:71], 1
	v_cndmask_b32_e64 v2, v2, v10, s[30:31]
	s_mov_b64 s[66:67], 0
	v_cndmask_b32_e64 v9, v9, v12, s[30:31]
	v_cndmask_b32_e32 v3, v3, v12, vcc
	v_cndmask_b32_e32 v0, v0, v10, vcc
	s_mov_b64 vcc, s[34:35]
	s_cbranch_vccnz .LBB4_1336
; %bb.1337:                             ;   in Loop: Header=BB4_1328 Depth=3
	v_add_co_u32_e32 v0, vcc, v0, v14
	v_addc_co_u32_e32 v3, vcc, v3, v15, vcc
	v_add_co_u32_e32 v2, vcc, v2, v14
	v_addc_co_u32_e32 v9, vcc, v9, v15, vcc
.LBB4_1338:                             ;   in Loop: Header=BB4_1328 Depth=3
	s_or_b64 exec, exec, s[68:69]
	v_add_co_u32_e32 v4, vcc, v4, v14
	v_addc_co_u32_e32 v5, vcc, v5, v15, vcc
	v_add_co_u32_e32 v8, vcc, v8, v14
	v_sub_u32_e32 v6, v6, v51
	v_addc_co_u32_e32 v11, vcc, v11, v15, vcc
	v_cmp_lt_i32_e64 s[66:67], 1, v6
	s_and_saveexec_b64 s[68:69], s[66:67]
	s_cbranch_execz .LBB4_1341
; %bb.1339:                             ;   in Loop: Header=BB4_1328 Depth=3
	v_lshrrev_b32_e64 v1, 6, s33
	v_add_u32_e32 v1, 0xbc, v1
	s_mov_b64 s[72:73], 0
	s_mov_b64 s[70:71], -1
.LBB4_1340:                             ;   Parent Loop BB4_47 Depth=1
                                        ;     Parent Loop BB4_886 Depth=2
                                        ;       Parent Loop BB4_1328 Depth=3
                                        ; =>      This Inner Loop Header: Depth=4
	s_cmp_eq_u32 s72, 1
	s_cselect_b64 s[30:31], -1, 0
	v_cndmask_b32_e64 v13, v5, v11, s[30:31]
	v_cndmask_b32_e64 v12, v4, v8, s[30:31]
	flat_load_ushort v10, v[12:13] glc slc
	v_add_co_u32_e32 v12, vcc, 0x80, v12
	s_cmp_eq_u32 s72, 0
	v_addc_co_u32_e32 v13, vcc, 0, v13, vcc
	s_cselect_b64 vcc, -1, 0
	s_and_b64 s[34:35], exec, s[70:71]
	s_mov_b64 s[72:73], 1
	v_cndmask_b32_e64 v8, v8, v12, s[30:31]
	s_mov_b64 s[70:71], 0
	v_cndmask_b32_e32 v5, v5, v13, vcc
	v_cndmask_b32_e32 v4, v4, v12, vcc
	v_cndmask_b32_e64 v11, v11, v13, s[30:31]
	s_mov_b64 vcc, s[34:35]
	s_waitcnt vmcnt(0) lgkmcnt(0)
	buffer_store_short v10, v1, s[0:3], 0 offen
	v_lshrrev_b32_e64 v1, 6, s33
	v_add_u32_e32 v1, 0xbe, v1
	s_cbranch_vccnz .LBB4_1340
.LBB4_1341:                             ;   in Loop: Header=BB4_1328 Depth=3
	s_or_b64 exec, exec, s[68:69]
	buffer_load_ushort v1, off, s[0:3], s33 offset:192
	buffer_load_ushort v10, off, s[0:3], s33 offset:224
	s_waitcnt vmcnt(0)
	v_lshlrev_b32_e32 v1, 16, v1
	v_lshlrev_b32_e32 v10, 16, v10
	v_max_f32_e32 v10, v10, v10
	v_max_f32_e32 v1, v1, v1
	v_min_f32_e32 v12, v1, v10
	v_max_f32_e32 v1, v1, v10
	v_cndmask_b32_e64 v1, v1, v12, s[28:29]
	v_and_b32_e32 v10, 0x7f800000, v1
	v_cmp_ne_u32_e32 vcc, s91, v10
                                        ; implicit-def: $vgpr10
	s_and_saveexec_b64 s[30:31], vcc
	s_xor_b64 vcc, exec, s[30:31]
; %bb.1342:                             ;   in Loop: Header=BB4_1328 Depth=3
	v_bfe_u32 v10, v1, 16, 1
	v_add3_u32 v10, v1, v10, s92
                                        ; implicit-def: $vgpr1
; %bb.1343:                             ;   in Loop: Header=BB4_1328 Depth=3
	s_andn2_saveexec_b64 s[30:31], vcc
; %bb.1344:                             ;   in Loop: Header=BB4_1328 Depth=3
	v_or_b32_e32 v10, 0x10000, v1
	v_cmp_eq_u32_sdwa vcc, v1, v42 src0_sel:WORD_0 src1_sel:DWORD
	v_cndmask_b32_e32 v10, v10, v1, vcc
; %bb.1345:                             ;   in Loop: Header=BB4_1328 Depth=3
	s_or_b64 exec, exec, s[30:31]
	v_lshrrev_b32_e32 v1, 16, v10
	s_mov_b64 s[70:71], 0
	s_mov_b64 s[68:69], -1
	buffer_store_short v1, off, s[0:3], s33 offset:192
.LBB4_1346:                             ;   Parent Loop BB4_47 Depth=1
                                        ;     Parent Loop BB4_886 Depth=2
                                        ;       Parent Loop BB4_1328 Depth=3
                                        ; =>      This Inner Loop Header: Depth=4
	s_cmp_eq_u32 s70, 1
	s_cselect_b64 s[30:31], -1, 0
	v_cndmask_b32_e64 v12, v0, v2, s[30:31]
	v_cndmask_b32_e64 v13, v3, v9, s[30:31]
	v_add_co_u32_e32 v10, vcc, 0x80, v12
	s_cmp_eq_u32 s70, 0
	flat_store_short v[12:13], v1 glc slc
	v_addc_co_u32_e32 v12, vcc, 0, v13, vcc
	s_cselect_b64 vcc, -1, 0
	s_and_b64 s[34:35], exec, s[68:69]
	s_mov_b64 s[70:71], 1
	v_cndmask_b32_e64 v2, v2, v10, s[30:31]
	s_mov_b64 s[68:69], 0
	v_cndmask_b32_e64 v9, v9, v12, s[30:31]
	v_cndmask_b32_e32 v3, v3, v12, vcc
	v_cndmask_b32_e32 v0, v0, v10, vcc
	s_mov_b64 vcc, s[34:35]
	s_cbranch_vccnz .LBB4_1346
; %bb.1347:                             ;   in Loop: Header=BB4_1328 Depth=3
	s_and_saveexec_b64 s[30:31], s[66:67]
	s_cbranch_execz .LBB4_1327
; %bb.1348:                             ;   in Loop: Header=BB4_1328 Depth=3
	v_add_co_u32_e32 v0, vcc, v0, v14
	v_addc_co_u32_e32 v3, vcc, v3, v15, vcc
	v_add_co_u32_e32 v2, vcc, v2, v14
	v_addc_co_u32_e32 v9, vcc, v9, v15, vcc
	;; [unrolled: 2-line block ×4, first 2 shown]
	v_sub_u32_e32 v6, v6, v51
	s_branch .LBB4_1327
.LBB4_1349:                             ;   in Loop: Header=BB4_886 Depth=2
	s_or_b64 exec, exec, s[62:63]
	s_and_b64 s[28:29], s[64:65], exec
.LBB4_1350:                             ;   in Loop: Header=BB4_886 Depth=2
	s_or_b64 exec, exec, s[60:61]
	s_and_b64 exec, exec, s[28:29]
	s_cbranch_execz .LBB4_1357
; %bb.1351:                             ;   in Loop: Header=BB4_886 Depth=2
	buffer_load_ushort v1, off, s[0:3], s33 offset:188
	buffer_load_ushort v4, off, s[0:3], s33 offset:190
	s_waitcnt vmcnt(0)
	v_lshlrev_b32_e32 v1, 16, v1
	v_lshlrev_b32_e32 v4, 16, v4
	v_max_f32_e32 v4, v4, v4
	v_max_f32_e32 v1, v1, v1
	v_min_f32_e32 v5, v1, v4
	v_max_f32_e32 v1, v1, v4
	v_accvgpr_read_b32 v4, a1
	v_cmp_eq_u16_sdwa vcc, v4, v42 src0_sel:BYTE_0 src1_sel:DWORD
	v_cndmask_b32_e32 v1, v1, v5, vcc
	v_and_b32_e32 v4, 0x7f800000, v1
	v_cmp_ne_u32_e32 vcc, s91, v4
                                        ; implicit-def: $vgpr4
	s_and_saveexec_b64 s[28:29], vcc
	s_xor_b64 s[28:29], exec, s[28:29]
; %bb.1352:                             ;   in Loop: Header=BB4_886 Depth=2
	v_bfe_u32 v4, v1, 16, 1
	v_add3_u32 v4, v1, v4, s92
                                        ; implicit-def: $vgpr1
; %bb.1353:                             ;   in Loop: Header=BB4_886 Depth=2
	s_andn2_saveexec_b64 s[28:29], s[28:29]
; %bb.1354:                             ;   in Loop: Header=BB4_886 Depth=2
	v_or_b32_e32 v4, 0x10000, v1
	v_cmp_eq_u32_sdwa vcc, v1, v42 src0_sel:WORD_0 src1_sel:DWORD
	v_cndmask_b32_e32 v4, v4, v1, vcc
; %bb.1355:                             ;   in Loop: Header=BB4_886 Depth=2
	s_or_b64 exec, exec, s[28:29]
	v_lshrrev_b32_e32 v1, 16, v4
	s_mov_b64 s[60:61], 0
	s_mov_b64 s[34:35], -1
.LBB4_1356:                             ;   Parent Loop BB4_47 Depth=1
                                        ;     Parent Loop BB4_886 Depth=2
                                        ; =>    This Inner Loop Header: Depth=3
	s_cmp_eq_u32 s60, 1
	s_cselect_b64 s[28:29], -1, 0
	v_cndmask_b32_e64 v5, v3, v9, s[28:29]
	v_cndmask_b32_e64 v4, v0, v2, s[28:29]
	flat_store_short v[4:5], v1 glc slc
	v_add_co_u32_e32 v4, vcc, 0x80, v4
	s_cmp_eq_u32 s60, 0
	v_addc_co_u32_e32 v5, vcc, 0, v5, vcc
	s_cselect_b64 vcc, -1, 0
	s_and_b64 s[30:31], exec, s[34:35]
	s_mov_b64 s[60:61], 1
	v_cndmask_b32_e64 v2, v2, v4, s[28:29]
	s_mov_b64 s[34:35], 0
	v_cndmask_b32_e64 v9, v9, v5, s[28:29]
	v_cndmask_b32_e32 v3, v3, v5, vcc
	v_cndmask_b32_e32 v0, v0, v4, vcc
	s_mov_b64 vcc, s[30:31]
	s_cbranch_vccnz .LBB4_1356
.LBB4_1357:                             ;   in Loop: Header=BB4_886 Depth=2
	s_or_b64 exec, exec, s[58:59]
.LBB4_1358:                             ;   in Loop: Header=BB4_886 Depth=2
	s_or_b64 exec, exec, s[36:37]
	v_accvgpr_read_b32 v16, a30
	v_accvgpr_read_b32 v17, a31
	s_branch .LBB4_1747
.LBB4_1359:                             ;   in Loop: Header=BB4_886 Depth=2
	s_mov_b64 s[30:31], -1
	s_and_saveexec_b64 s[28:29], s[22:23]
	s_cbranch_execz .LBB4_1361
; %bb.1360:                             ;   in Loop: Header=BB4_886 Depth=2
	ds_read_b32 v0, v0 offset:720
	s_waitcnt lgkmcnt(0)
	v_and_b32_e32 v0, 15, v0
	v_cmp_eq_u32_e32 vcc, 0, v0
	s_orn2_b64 s[30:31], vcc, exec
.LBB4_1361:                             ;   in Loop: Header=BB4_886 Depth=2
	s_or_b64 exec, exec, s[28:29]
	s_and_saveexec_b64 s[28:29], s[18:19]
	s_cbranch_execz .LBB4_1363
; %bb.1362:                             ;   in Loop: Header=BB4_886 Depth=2
	ds_read_b32 v0, v0 offset:784
	s_waitcnt lgkmcnt(0)
	v_and_b32_e32 v0, 15, v0
	v_cmp_eq_u32_e32 vcc, 0, v0
	s_and_b64 vcc, s[30:31], vcc
	s_andn2_b64 s[30:31], s[30:31], exec
	s_and_b64 vcc, vcc, exec
	s_or_b64 s[30:31], s[30:31], vcc
.LBB4_1363:                             ;   in Loop: Header=BB4_886 Depth=2
	s_or_b64 exec, exec, s[28:29]
	s_xor_b64 vcc, s[30:31], -1
	v_cndmask_b32_e64 v0, 0, 1, vcc
	;;#ASMSTART
	;;#ASMEND
	v_cmp_ne_u32_e32 vcc, 0, v0
	v_and_b32_e32 v0, 1, v32
	s_mov_b64 s[28:29], -1
	v_accvgpr_write_b32 a1, v0
	s_cbranch_vccz .LBB4_1500
; %bb.1364:                             ;   in Loop: Header=BB4_886 Depth=2
	v_and_b32_e32 v12, 1, v32
	s_mov_b64 s[58:59], -1
	s_mov_b32 s30, 0
	s_cbranch_execnz .LBB4_1501
.LBB4_1365:                             ;   in Loop: Header=BB4_886 Depth=2
	v_accvgpr_read_b32 v1, a0
	v_ashrrev_i32_e32 v0, 31, v1
	v_lshrrev_b32_e32 v0, 21, v0
	s_trap 2
	ds_read_b64 v[2:3], v0
	v_add_u32_e32 v0, v1, v0
	v_ashrrev_i32_e32 v1, 11, v0
	v_accvgpr_read_b32 v0, a29
	v_sub_u32_e32 v55, v1, v0
	v_accvgpr_read_b32 v0, a42
	v_accvgpr_write_b32 a6, v1
	s_waitcnt lgkmcnt(0)
	v_add_co_u32_e32 v52, vcc, v2, v0
	v_accvgpr_read_b32 v1, a57
	v_accvgpr_write_b32 a5, v3
	v_addc_co_u32_e32 v53, vcc, v3, v1, vcc
	v_accvgpr_write_b32 a4, v2
	v_cmp_lt_i32_e32 vcc, 0, v55
	s_mov_b64 s[28:29], 0
                                        ; implicit-def: $vgpr20_vgpr21
                                        ; implicit-def: $vgpr12_vgpr13
                                        ; implicit-def: $vgpr16_vgpr17
                                        ; implicit-def: $vgpr8_vgpr9
	s_and_saveexec_b64 s[30:31], vcc
	s_cbranch_execz .LBB4_1503
; %bb.1366:                             ;   in Loop: Header=BB4_886 Depth=2
	s_trap 2
	ds_read_b128 v[0:3], v0
	v_accvgpr_read_b32 v4, a42
	v_accvgpr_write_b32 a54, v30
	v_accvgpr_read_b32 v5, a57
	v_mov_b32_e32 v57, v31
	s_waitcnt lgkmcnt(0)
	v_add_co_u32_e32 v30, vcc, v0, v4
	v_addc_co_u32_e32 v31, vcc, v1, v5, vcc
	v_add_co_u32_e32 v4, vcc, v2, v4
	v_accvgpr_read_b32 v0, a1
	v_addc_co_u32_e32 v5, vcc, v3, v5, vcc
	v_cmp_eq_u16_e64 s[28:29], 0, v0
	s_mov_b64 s[60:61], 0
	s_mov_b64 s[34:35], 0
                                        ; implicit-def: $sgpr36_sgpr37
                                        ; implicit-def: $vgpr20_vgpr21
                                        ; implicit-def: $vgpr12_vgpr13
                                        ; implicit-def: $vgpr16_vgpr17
                                        ; implicit-def: $vgpr8_vgpr9
	s_branch .LBB4_1368
.LBB4_1367:                             ;   in Loop: Header=BB4_1368 Depth=3
	s_or_b64 exec, exec, s[62:63]
	v_lshrrev_b32_e32 v0, 16, v0
	v_and_or_b32 v35, v37, s93, v0
	v_lshrrev_b32_e32 v0, 16, v43
	v_and_or_b32 v34, v36, s93, v0
	;; [unrolled: 2-line block ×7, first 2 shown]
	v_lshrrev_b32_e32 v0, 16, v1
	v_accvgpr_read_b32 v2, a26
	v_and_or_b32 v27, v27, s93, v0
	v_add_co_u32_e32 v0, vcc, v30, v2
	v_accvgpr_read_b32 v3, a27
	v_addc_co_u32_e32 v1, vcc, v31, v3, vcc
	global_store_dwordx4 v[52:53], v[34:37], off glc slc
	global_store_dwordx4 v[52:53], v[24:27], off offset:1024 glc slc
	v_add_co_u32_e32 v2, vcc, v4, v2
	v_accvgpr_read_b32 v24, a41
	v_mov_b32_e32 v25, 0x800
	v_addc_co_u32_e32 v3, vcc, v5, v3, vcc
	v_accvgpr_read_b32 v6, a43
	v_cndmask_b32_e64 v24, v25, v24, s[60:61]
	v_cndmask_b32_e64 v6, 0, v6, s[60:61]
	v_add_co_u32_e32 v52, vcc, v52, v24
	v_cndmask_b32_e64 v30, v30, v0, s[60:61]
	v_cndmask_b32_e64 v0, 0, v28, s[60:61]
	v_addc_co_u32_e32 v53, vcc, v53, v6, vcc
	v_sub_u32_e32 v55, v55, v0
	v_cmp_gt_i32_e32 vcc, 1, v55
	s_or_b64 s[34:35], vcc, s[34:35]
	s_andn2_b64 vcc, s[36:37], exec
	s_and_b64 s[36:37], s[60:61], exec
	v_cndmask_b32_e64 v31, v31, v1, s[60:61]
	v_cndmask_b32_e64 v5, v5, v3, s[60:61]
	;; [unrolled: 1-line block ×3, first 2 shown]
	s_or_b64 s[36:37], vcc, s[36:37]
	s_andn2_b64 exec, exec, s[34:35]
	s_cbranch_execz .LBB4_1502
.LBB4_1368:                             ;   Parent Loop BB4_47 Depth=1
                                        ;     Parent Loop BB4_886 Depth=2
                                        ; =>    This Inner Loop Header: Depth=3
	global_load_dwordx4 v[36:39], v[30:31], off glc slc
	global_load_dwordx4 v[24:27], v[30:31], off offset:1024 glc slc
	global_load_dwordx4 v[48:51], v[4:5], off glc slc
	global_load_dwordx4 v[32:35], v[4:5], off offset:1024 glc slc
	s_and_saveexec_b64 s[62:63], s[60:61]
	s_cbranch_execz .LBB4_1434
; %bb.1369:                             ;   in Loop: Header=BB4_1368 Depth=3
	v_lshlrev_b32_e32 v0, 16, v20
	v_lshlrev_b32_e32 v1, 16, v16
	v_max_f32_e32 v1, v1, v1
	v_max_f32_e32 v0, v0, v0
	v_min_f32_e32 v2, v0, v1
	v_max_f32_e32 v0, v0, v1
	v_cndmask_b32_e64 v0, v0, v2, s[28:29]
	v_and_b32_e32 v1, 0x7f800000, v0
	v_cmp_ne_u32_e32 vcc, s91, v1
                                        ; implicit-def: $vgpr43
	s_and_saveexec_b64 s[60:61], vcc
	s_xor_b64 vcc, exec, s[60:61]
; %bb.1370:                             ;   in Loop: Header=BB4_1368 Depth=3
	v_bfe_u32 v1, v0, 16, 1
	v_add3_u32 v43, v0, v1, s92
                                        ; implicit-def: $vgpr0
; %bb.1371:                             ;   in Loop: Header=BB4_1368 Depth=3
	s_andn2_saveexec_b64 s[60:61], vcc
; %bb.1372:                             ;   in Loop: Header=BB4_1368 Depth=3
	v_or_b32_e32 v1, 0x10000, v0
	v_cmp_eq_u32_sdwa vcc, v0, v42 src0_sel:WORD_0 src1_sel:DWORD
	v_cndmask_b32_e32 v43, v1, v0, vcc
; %bb.1373:                             ;   in Loop: Header=BB4_1368 Depth=3
	s_or_b64 exec, exec, s[60:61]
	v_and_b32_e32 v0, 0xffff0000, v20
	v_and_b32_e32 v1, 0xffff0000, v16
	v_max_f32_e32 v1, v1, v1
	v_max_f32_e32 v0, v0, v0
	v_min_f32_e32 v2, v0, v1
	v_max_f32_e32 v0, v0, v1
	v_cndmask_b32_e64 v0, v0, v2, s[28:29]
	v_and_b32_e32 v1, 0x7f800000, v0
	v_cmp_ne_u32_e32 vcc, s91, v1
                                        ; implicit-def: $vgpr20
	s_and_saveexec_b64 s[60:61], vcc
	s_xor_b64 vcc, exec, s[60:61]
; %bb.1374:                             ;   in Loop: Header=BB4_1368 Depth=3
	v_bfe_u32 v1, v0, 16, 1
	v_add3_u32 v20, v0, v1, s92
                                        ; implicit-def: $vgpr0
; %bb.1375:                             ;   in Loop: Header=BB4_1368 Depth=3
	s_andn2_saveexec_b64 s[60:61], vcc
; %bb.1376:                             ;   in Loop: Header=BB4_1368 Depth=3
	v_or_b32_e32 v1, 0x10000, v0
	v_cmp_eq_u32_sdwa vcc, v0, v42 src0_sel:WORD_0 src1_sel:DWORD
	v_cndmask_b32_e32 v20, v1, v0, vcc
; %bb.1377:                             ;   in Loop: Header=BB4_1368 Depth=3
	s_or_b64 exec, exec, s[60:61]
	v_lshlrev_b32_e32 v0, 16, v21
	v_lshlrev_b32_e32 v1, 16, v17
	v_max_f32_e32 v1, v1, v1
	v_max_f32_e32 v0, v0, v0
	v_min_f32_e32 v2, v0, v1
	v_max_f32_e32 v0, v0, v1
	v_cndmask_b32_e64 v1, v0, v2, s[28:29]
	v_and_b32_e32 v0, 0x7f800000, v1
	v_cmp_ne_u32_e32 vcc, s91, v0
                                        ; implicit-def: $vgpr0
	s_and_saveexec_b64 s[60:61], vcc
	s_xor_b64 vcc, exec, s[60:61]
; %bb.1378:                             ;   in Loop: Header=BB4_1368 Depth=3
	v_bfe_u32 v0, v1, 16, 1
	v_add3_u32 v0, v1, v0, s92
                                        ; implicit-def: $vgpr1
; %bb.1379:                             ;   in Loop: Header=BB4_1368 Depth=3
	s_andn2_saveexec_b64 s[60:61], vcc
; %bb.1380:                             ;   in Loop: Header=BB4_1368 Depth=3
	v_or_b32_e32 v0, 0x10000, v1
	v_cmp_eq_u32_sdwa vcc, v1, v42 src0_sel:WORD_0 src1_sel:DWORD
	v_cndmask_b32_e32 v0, v0, v1, vcc
; %bb.1381:                             ;   in Loop: Header=BB4_1368 Depth=3
	s_or_b64 exec, exec, s[60:61]
	v_and_b32_e32 v1, 0xffff0000, v21
	v_and_b32_e32 v2, 0xffff0000, v17
	v_max_f32_e32 v2, v2, v2
	v_max_f32_e32 v1, v1, v1
	v_min_f32_e32 v3, v1, v2
	v_max_f32_e32 v1, v1, v2
	v_cndmask_b32_e64 v1, v1, v3, s[28:29]
	v_and_b32_e32 v2, 0x7f800000, v1
	v_cmp_ne_u32_e32 vcc, s91, v2
                                        ; implicit-def: $vgpr21
	s_and_saveexec_b64 s[60:61], vcc
	s_xor_b64 vcc, exec, s[60:61]
; %bb.1382:                             ;   in Loop: Header=BB4_1368 Depth=3
	v_bfe_u32 v2, v1, 16, 1
	v_add3_u32 v21, v1, v2, s92
                                        ; implicit-def: $vgpr1
; %bb.1383:                             ;   in Loop: Header=BB4_1368 Depth=3
	s_andn2_saveexec_b64 s[60:61], vcc
; %bb.1384:                             ;   in Loop: Header=BB4_1368 Depth=3
	v_or_b32_e32 v2, 0x10000, v1
	v_cmp_eq_u32_sdwa vcc, v1, v42 src0_sel:WORD_0 src1_sel:DWORD
	v_cndmask_b32_e32 v21, v2, v1, vcc
; %bb.1385:                             ;   in Loop: Header=BB4_1368 Depth=3
	s_or_b64 exec, exec, s[60:61]
	v_lshlrev_b32_e32 v1, 16, v22
	v_lshlrev_b32_e32 v2, 16, v18
	v_max_f32_e32 v2, v2, v2
	v_max_f32_e32 v1, v1, v1
	v_min_f32_e32 v3, v1, v2
	v_max_f32_e32 v1, v1, v2
	v_cndmask_b32_e64 v1, v1, v3, s[28:29]
	v_and_b32_e32 v2, 0x7f800000, v1
	v_cmp_ne_u32_e32 vcc, s91, v2
                                        ; implicit-def: $vgpr54
	s_and_saveexec_b64 s[60:61], vcc
	s_xor_b64 vcc, exec, s[60:61]
; %bb.1386:                             ;   in Loop: Header=BB4_1368 Depth=3
	v_bfe_u32 v2, v1, 16, 1
	v_add3_u32 v54, v1, v2, s92
                                        ; implicit-def: $vgpr1
; %bb.1387:                             ;   in Loop: Header=BB4_1368 Depth=3
	s_andn2_saveexec_b64 s[60:61], vcc
; %bb.1388:                             ;   in Loop: Header=BB4_1368 Depth=3
	v_or_b32_e32 v2, 0x10000, v1
	v_cmp_eq_u32_sdwa vcc, v1, v42 src0_sel:WORD_0 src1_sel:DWORD
	v_cndmask_b32_e32 v54, v2, v1, vcc
; %bb.1389:                             ;   in Loop: Header=BB4_1368 Depth=3
	s_or_b64 exec, exec, s[60:61]
	v_and_b32_e32 v1, 0xffff0000, v22
	v_and_b32_e32 v2, 0xffff0000, v18
	v_max_f32_e32 v2, v2, v2
	v_max_f32_e32 v1, v1, v1
	v_min_f32_e32 v3, v1, v2
	v_max_f32_e32 v1, v1, v2
	v_cndmask_b32_e64 v1, v1, v3, s[28:29]
	v_and_b32_e32 v2, 0x7f800000, v1
	v_cmp_ne_u32_e32 vcc, s91, v2
                                        ; implicit-def: $vgpr6
	s_and_saveexec_b64 s[60:61], vcc
	s_xor_b64 vcc, exec, s[60:61]
; %bb.1390:                             ;   in Loop: Header=BB4_1368 Depth=3
	v_bfe_u32 v2, v1, 16, 1
	v_add3_u32 v6, v1, v2, s92
                                        ; implicit-def: $vgpr1
; %bb.1391:                             ;   in Loop: Header=BB4_1368 Depth=3
	s_andn2_saveexec_b64 s[60:61], vcc
; %bb.1392:                             ;   in Loop: Header=BB4_1368 Depth=3
	v_or_b32_e32 v2, 0x10000, v1
	v_cmp_eq_u32_sdwa vcc, v1, v42 src0_sel:WORD_0 src1_sel:DWORD
	v_cndmask_b32_e32 v6, v2, v1, vcc
; %bb.1393:                             ;   in Loop: Header=BB4_1368 Depth=3
	s_or_b64 exec, exec, s[60:61]
	v_lshlrev_b32_e32 v1, 16, v23
	v_lshlrev_b32_e32 v2, 16, v19
	v_max_f32_e32 v2, v2, v2
	v_max_f32_e32 v1, v1, v1
	v_min_f32_e32 v3, v1, v2
	v_max_f32_e32 v1, v1, v2
	v_cndmask_b32_e64 v1, v1, v3, s[28:29]
	v_and_b32_e32 v2, 0x7f800000, v1
	v_cmp_ne_u32_e32 vcc, s91, v2
                                        ; implicit-def: $vgpr2
	s_and_saveexec_b64 s[60:61], vcc
	s_xor_b64 vcc, exec, s[60:61]
; %bb.1394:                             ;   in Loop: Header=BB4_1368 Depth=3
	v_bfe_u32 v2, v1, 16, 1
	v_add3_u32 v2, v1, v2, s92
                                        ; implicit-def: $vgpr1
; %bb.1395:                             ;   in Loop: Header=BB4_1368 Depth=3
	s_andn2_saveexec_b64 s[60:61], vcc
; %bb.1396:                             ;   in Loop: Header=BB4_1368 Depth=3
	v_or_b32_e32 v2, 0x10000, v1
	v_cmp_eq_u32_sdwa vcc, v1, v42 src0_sel:WORD_0 src1_sel:DWORD
	v_cndmask_b32_e32 v2, v2, v1, vcc
; %bb.1397:                             ;   in Loop: Header=BB4_1368 Depth=3
	s_or_b64 exec, exec, s[60:61]
	v_and_b32_e32 v1, 0xffff0000, v23
	v_and_b32_e32 v3, 0xffff0000, v19
	v_max_f32_e32 v3, v3, v3
	v_max_f32_e32 v1, v1, v1
	v_min_f32_e32 v22, v1, v3
	v_max_f32_e32 v1, v1, v3
	v_cndmask_b32_e64 v1, v1, v22, s[28:29]
	v_and_b32_e32 v3, 0x7f800000, v1
	v_cmp_ne_u32_e32 vcc, s91, v3
                                        ; implicit-def: $vgpr3
	s_and_saveexec_b64 s[60:61], vcc
	s_xor_b64 vcc, exec, s[60:61]
; %bb.1398:                             ;   in Loop: Header=BB4_1368 Depth=3
	v_bfe_u32 v3, v1, 16, 1
	v_add3_u32 v3, v1, v3, s92
                                        ; implicit-def: $vgpr1
; %bb.1399:                             ;   in Loop: Header=BB4_1368 Depth=3
	s_andn2_saveexec_b64 s[60:61], vcc
; %bb.1400:                             ;   in Loop: Header=BB4_1368 Depth=3
	v_or_b32_e32 v3, 0x10000, v1
	v_cmp_eq_u32_sdwa vcc, v1, v42 src0_sel:WORD_0 src1_sel:DWORD
	v_cndmask_b32_e32 v3, v3, v1, vcc
; %bb.1401:                             ;   in Loop: Header=BB4_1368 Depth=3
	s_or_b64 exec, exec, s[60:61]
	v_lshlrev_b32_e32 v1, 16, v12
	v_lshlrev_b32_e32 v22, 16, v8
	v_max_f32_e32 v22, v22, v22
	v_max_f32_e32 v1, v1, v1
	v_min_f32_e32 v23, v1, v22
	v_max_f32_e32 v1, v1, v22
	v_cndmask_b32_e64 v1, v1, v23, s[28:29]
	v_and_b32_e32 v22, 0x7f800000, v1
	v_cmp_ne_u32_e32 vcc, s91, v22
                                        ; implicit-def: $vgpr29
	s_and_saveexec_b64 s[60:61], vcc
	s_xor_b64 vcc, exec, s[60:61]
; %bb.1402:                             ;   in Loop: Header=BB4_1368 Depth=3
	v_bfe_u32 v22, v1, 16, 1
	v_add3_u32 v29, v1, v22, s92
                                        ; implicit-def: $vgpr1
; %bb.1403:                             ;   in Loop: Header=BB4_1368 Depth=3
	s_andn2_saveexec_b64 s[60:61], vcc
; %bb.1404:                             ;   in Loop: Header=BB4_1368 Depth=3
	v_or_b32_e32 v22, 0x10000, v1
	v_cmp_eq_u32_sdwa vcc, v1, v42 src0_sel:WORD_0 src1_sel:DWORD
	v_cndmask_b32_e32 v29, v22, v1, vcc
; %bb.1405:                             ;   in Loop: Header=BB4_1368 Depth=3
	s_or_b64 exec, exec, s[60:61]
	v_and_b32_e32 v1, 0xffff0000, v12
	v_and_b32_e32 v12, 0xffff0000, v8
	v_max_f32_e32 v12, v12, v12
	v_max_f32_e32 v1, v1, v1
	v_min_f32_e32 v22, v1, v12
	v_max_f32_e32 v1, v1, v12
	v_cndmask_b32_e64 v1, v1, v22, s[28:29]
	v_and_b32_e32 v12, 0x7f800000, v1
	v_cmp_ne_u32_e32 vcc, s91, v12
                                        ; implicit-def: $vgpr12
	s_and_saveexec_b64 s[60:61], vcc
	s_xor_b64 vcc, exec, s[60:61]
; %bb.1406:                             ;   in Loop: Header=BB4_1368 Depth=3
	v_bfe_u32 v12, v1, 16, 1
	v_add3_u32 v12, v1, v12, s92
                                        ; implicit-def: $vgpr1
; %bb.1407:                             ;   in Loop: Header=BB4_1368 Depth=3
	s_andn2_saveexec_b64 s[60:61], vcc
; %bb.1408:                             ;   in Loop: Header=BB4_1368 Depth=3
	v_or_b32_e32 v12, 0x10000, v1
	v_cmp_eq_u32_sdwa vcc, v1, v42 src0_sel:WORD_0 src1_sel:DWORD
	v_cndmask_b32_e32 v12, v12, v1, vcc
; %bb.1409:                             ;   in Loop: Header=BB4_1368 Depth=3
	s_or_b64 exec, exec, s[60:61]
	v_lshlrev_b32_e32 v1, 16, v13
	v_lshlrev_b32_e32 v22, 16, v9
	v_max_f32_e32 v22, v22, v22
	v_max_f32_e32 v1, v1, v1
	v_min_f32_e32 v23, v1, v22
	v_max_f32_e32 v1, v1, v22
	v_cndmask_b32_e64 v1, v1, v23, s[28:29]
	v_and_b32_e32 v22, 0x7f800000, v1
	v_cmp_ne_u32_e32 vcc, s91, v22
                                        ; implicit-def: $vgpr56
	s_and_saveexec_b64 s[60:61], vcc
	s_xor_b64 vcc, exec, s[60:61]
; %bb.1410:                             ;   in Loop: Header=BB4_1368 Depth=3
	v_bfe_u32 v22, v1, 16, 1
	v_add3_u32 v56, v1, v22, s92
                                        ; implicit-def: $vgpr1
; %bb.1411:                             ;   in Loop: Header=BB4_1368 Depth=3
	s_andn2_saveexec_b64 s[60:61], vcc
; %bb.1412:                             ;   in Loop: Header=BB4_1368 Depth=3
	v_or_b32_e32 v22, 0x10000, v1
	v_cmp_eq_u32_sdwa vcc, v1, v42 src0_sel:WORD_0 src1_sel:DWORD
	v_cndmask_b32_e32 v56, v22, v1, vcc
; %bb.1413:                             ;   in Loop: Header=BB4_1368 Depth=3
	s_or_b64 exec, exec, s[60:61]
	v_and_b32_e32 v1, 0xffff0000, v13
	v_and_b32_e32 v13, 0xffff0000, v9
	v_max_f32_e32 v13, v13, v13
	v_max_f32_e32 v1, v1, v1
	v_min_f32_e32 v22, v1, v13
	v_max_f32_e32 v1, v1, v13
	v_cndmask_b32_e64 v1, v1, v22, s[28:29]
	v_and_b32_e32 v13, 0x7f800000, v1
	v_cmp_ne_u32_e32 vcc, s91, v13
                                        ; implicit-def: $vgpr13
	s_and_saveexec_b64 s[60:61], vcc
	s_xor_b64 vcc, exec, s[60:61]
; %bb.1414:                             ;   in Loop: Header=BB4_1368 Depth=3
	v_bfe_u32 v13, v1, 16, 1
	v_add3_u32 v13, v1, v13, s92
                                        ; implicit-def: $vgpr1
; %bb.1415:                             ;   in Loop: Header=BB4_1368 Depth=3
	s_andn2_saveexec_b64 s[60:61], vcc
; %bb.1416:                             ;   in Loop: Header=BB4_1368 Depth=3
	v_or_b32_e32 v13, 0x10000, v1
	v_cmp_eq_u32_sdwa vcc, v1, v42 src0_sel:WORD_0 src1_sel:DWORD
	v_cndmask_b32_e32 v13, v13, v1, vcc
; %bb.1417:                             ;   in Loop: Header=BB4_1368 Depth=3
	s_or_b64 exec, exec, s[60:61]
	v_lshlrev_b32_e32 v1, 16, v14
	v_lshlrev_b32_e32 v22, 16, v10
	v_max_f32_e32 v22, v22, v22
	v_max_f32_e32 v1, v1, v1
	v_min_f32_e32 v23, v1, v22
	v_max_f32_e32 v1, v1, v22
	v_cndmask_b32_e64 v1, v1, v23, s[28:29]
	v_and_b32_e32 v22, 0x7f800000, v1
	v_cmp_ne_u32_e32 vcc, s91, v22
                                        ; implicit-def: $vgpr58
	s_and_saveexec_b64 s[60:61], vcc
	s_xor_b64 vcc, exec, s[60:61]
; %bb.1418:                             ;   in Loop: Header=BB4_1368 Depth=3
	v_bfe_u32 v22, v1, 16, 1
	v_add3_u32 v58, v1, v22, s92
                                        ; implicit-def: $vgpr1
; %bb.1419:                             ;   in Loop: Header=BB4_1368 Depth=3
	s_andn2_saveexec_b64 s[60:61], vcc
; %bb.1420:                             ;   in Loop: Header=BB4_1368 Depth=3
	v_or_b32_e32 v22, 0x10000, v1
	v_cmp_eq_u32_sdwa vcc, v1, v42 src0_sel:WORD_0 src1_sel:DWORD
	v_cndmask_b32_e32 v58, v22, v1, vcc
; %bb.1421:                             ;   in Loop: Header=BB4_1368 Depth=3
	s_or_b64 exec, exec, s[60:61]
	v_and_b32_e32 v1, 0xffff0000, v14
	v_and_b32_e32 v14, 0xffff0000, v10
	v_max_f32_e32 v14, v14, v14
	v_max_f32_e32 v1, v1, v1
	v_min_f32_e32 v22, v1, v14
	v_max_f32_e32 v1, v1, v14
	v_cndmask_b32_e64 v1, v1, v22, s[28:29]
	v_and_b32_e32 v14, 0x7f800000, v1
	v_cmp_ne_u32_e32 vcc, s91, v14
                                        ; implicit-def: $vgpr14
	s_and_saveexec_b64 s[60:61], vcc
	s_xor_b64 vcc, exec, s[60:61]
; %bb.1422:                             ;   in Loop: Header=BB4_1368 Depth=3
	v_bfe_u32 v14, v1, 16, 1
	v_add3_u32 v14, v1, v14, s92
                                        ; implicit-def: $vgpr1
; %bb.1423:                             ;   in Loop: Header=BB4_1368 Depth=3
	s_andn2_saveexec_b64 s[60:61], vcc
; %bb.1424:                             ;   in Loop: Header=BB4_1368 Depth=3
	v_or_b32_e32 v14, 0x10000, v1
	v_cmp_eq_u32_sdwa vcc, v1, v42 src0_sel:WORD_0 src1_sel:DWORD
	v_cndmask_b32_e32 v14, v14, v1, vcc
; %bb.1425:                             ;   in Loop: Header=BB4_1368 Depth=3
	s_or_b64 exec, exec, s[60:61]
	v_lshlrev_b32_e32 v1, 16, v15
	v_lshlrev_b32_e32 v22, 16, v11
	v_max_f32_e32 v22, v22, v22
	v_max_f32_e32 v1, v1, v1
	v_min_f32_e32 v23, v1, v22
	v_max_f32_e32 v1, v1, v22
	v_cndmask_b32_e64 v1, v1, v23, s[28:29]
	v_and_b32_e32 v22, 0x7f800000, v1
	v_cmp_ne_u32_e32 vcc, s91, v22
                                        ; implicit-def: $vgpr59
	s_and_saveexec_b64 s[60:61], vcc
	s_xor_b64 vcc, exec, s[60:61]
; %bb.1426:                             ;   in Loop: Header=BB4_1368 Depth=3
	v_bfe_u32 v22, v1, 16, 1
	v_add3_u32 v59, v1, v22, s92
                                        ; implicit-def: $vgpr1
; %bb.1427:                             ;   in Loop: Header=BB4_1368 Depth=3
	s_andn2_saveexec_b64 s[60:61], vcc
; %bb.1428:                             ;   in Loop: Header=BB4_1368 Depth=3
	v_or_b32_e32 v22, 0x10000, v1
	v_cmp_eq_u32_sdwa vcc, v1, v42 src0_sel:WORD_0 src1_sel:DWORD
	v_cndmask_b32_e32 v59, v22, v1, vcc
; %bb.1429:                             ;   in Loop: Header=BB4_1368 Depth=3
	s_or_b64 exec, exec, s[60:61]
	v_and_b32_e32 v1, 0xffff0000, v15
	v_and_b32_e32 v15, 0xffff0000, v11
	v_max_f32_e32 v15, v15, v15
	v_max_f32_e32 v1, v1, v1
	v_min_f32_e32 v22, v1, v15
	v_max_f32_e32 v1, v1, v15
	v_cndmask_b32_e64 v15, v1, v22, s[28:29]
	v_and_b32_e32 v1, 0x7f800000, v15
	v_cmp_ne_u32_e32 vcc, s91, v1
                                        ; implicit-def: $vgpr1
	s_and_saveexec_b64 s[60:61], vcc
	s_xor_b64 vcc, exec, s[60:61]
; %bb.1430:                             ;   in Loop: Header=BB4_1368 Depth=3
	v_bfe_u32 v1, v15, 16, 1
	v_add3_u32 v1, v15, v1, s92
                                        ; implicit-def: $vgpr15
; %bb.1431:                             ;   in Loop: Header=BB4_1368 Depth=3
	s_andn2_saveexec_b64 s[60:61], vcc
; %bb.1432:                             ;   in Loop: Header=BB4_1368 Depth=3
	v_or_b32_e32 v1, 0x10000, v15
	v_cmp_eq_u32_sdwa vcc, v15, v42 src0_sel:WORD_0 src1_sel:DWORD
	v_cndmask_b32_e32 v1, v1, v15, vcc
; %bb.1433:                             ;   in Loop: Header=BB4_1368 Depth=3
	s_or_b64 exec, exec, s[60:61]
	v_lshrrev_b32_e32 v0, 16, v0
	v_and_or_b32 v21, v21, s93, v0
	v_lshrrev_b32_e32 v0, 16, v43
	v_and_or_b32 v20, v20, s93, v0
	;; [unrolled: 2-line block ×8, first 2 shown]
	v_accvgpr_read_b32 v0, a41
	global_store_dwordx4 v[52:53], v[20:23], off glc slc
	global_store_dwordx4 v[52:53], v[12:15], off offset:1024 glc slc
	v_add_co_u32_e32 v52, vcc, v52, v0
	v_accvgpr_read_b32 v0, a43
	v_addc_co_u32_e32 v53, vcc, v53, v0, vcc
.LBB4_1434:                             ;   in Loop: Header=BB4_1368 Depth=3
	s_or_b64 exec, exec, s[62:63]
	v_accvgpr_read_b32 v0, a41
	v_add_co_u32_e32 v30, vcc, v30, v0
	v_accvgpr_read_b32 v1, a43
	v_addc_co_u32_e32 v31, vcc, v31, v1, vcc
	v_add_co_u32_e32 v4, vcc, v4, v0
	v_sub_u32_e32 v55, v55, v28
	v_addc_co_u32_e32 v5, vcc, v5, v1, vcc
	v_cmp_lt_i32_e64 s[60:61], 0, v55
	s_and_saveexec_b64 s[62:63], s[60:61]
	s_cbranch_execz .LBB4_1436
; %bb.1435:                             ;   in Loop: Header=BB4_1368 Depth=3
	global_load_dwordx4 v[20:23], v[30:31], off glc slc
	global_load_dwordx4 v[12:15], v[30:31], off offset:1024 glc slc
	global_load_dwordx4 v[16:19], v[4:5], off glc slc
	global_load_dwordx4 v[8:11], v[4:5], off offset:1024 glc slc
	v_add_co_u32_e32 v30, vcc, s79, v30
	v_addc_co_u32_e32 v31, vcc, 0, v31, vcc
	v_add_co_u32_e32 v4, vcc, 0x800, v4
	v_addc_co_u32_e32 v5, vcc, 0, v5, vcc
.LBB4_1436:                             ;   in Loop: Header=BB4_1368 Depth=3
	s_or_b64 exec, exec, s[62:63]
	s_waitcnt vmcnt(0)
	v_lshlrev_b32_e32 v0, 16, v36
	v_lshlrev_b32_e32 v1, 16, v48
	v_max_f32_e32 v1, v1, v1
	v_max_f32_e32 v0, v0, v0
	v_min_f32_e32 v2, v0, v1
	v_max_f32_e32 v0, v0, v1
	v_cndmask_b32_e64 v0, v0, v2, s[28:29]
	v_and_b32_e32 v1, 0x7f800000, v0
	v_cmp_ne_u32_e32 vcc, s91, v1
                                        ; implicit-def: $vgpr43
	s_and_saveexec_b64 s[62:63], vcc
	s_xor_b64 vcc, exec, s[62:63]
; %bb.1437:                             ;   in Loop: Header=BB4_1368 Depth=3
	v_bfe_u32 v1, v0, 16, 1
	v_add3_u32 v43, v0, v1, s92
                                        ; implicit-def: $vgpr0
; %bb.1438:                             ;   in Loop: Header=BB4_1368 Depth=3
	s_andn2_saveexec_b64 s[62:63], vcc
; %bb.1439:                             ;   in Loop: Header=BB4_1368 Depth=3
	v_or_b32_e32 v1, 0x10000, v0
	v_cmp_eq_u32_sdwa vcc, v0, v42 src0_sel:WORD_0 src1_sel:DWORD
	v_cndmask_b32_e32 v43, v1, v0, vcc
; %bb.1440:                             ;   in Loop: Header=BB4_1368 Depth=3
	s_or_b64 exec, exec, s[62:63]
	v_and_b32_e32 v0, 0xffff0000, v36
	v_and_b32_e32 v1, 0xffff0000, v48
	v_max_f32_e32 v1, v1, v1
	v_max_f32_e32 v0, v0, v0
	v_min_f32_e32 v2, v0, v1
	v_max_f32_e32 v0, v0, v1
	v_cndmask_b32_e64 v0, v0, v2, s[28:29]
	v_and_b32_e32 v1, 0x7f800000, v0
	v_cmp_ne_u32_e32 vcc, s91, v1
                                        ; implicit-def: $vgpr36
	s_and_saveexec_b64 s[62:63], vcc
	s_xor_b64 vcc, exec, s[62:63]
; %bb.1441:                             ;   in Loop: Header=BB4_1368 Depth=3
	v_bfe_u32 v1, v0, 16, 1
	v_add3_u32 v36, v0, v1, s92
                                        ; implicit-def: $vgpr0
; %bb.1442:                             ;   in Loop: Header=BB4_1368 Depth=3
	s_andn2_saveexec_b64 s[62:63], vcc
; %bb.1443:                             ;   in Loop: Header=BB4_1368 Depth=3
	v_or_b32_e32 v1, 0x10000, v0
	v_cmp_eq_u32_sdwa vcc, v0, v42 src0_sel:WORD_0 src1_sel:DWORD
	v_cndmask_b32_e32 v36, v1, v0, vcc
; %bb.1444:                             ;   in Loop: Header=BB4_1368 Depth=3
	s_or_b64 exec, exec, s[62:63]
	v_lshlrev_b32_e32 v0, 16, v37
	v_lshlrev_b32_e32 v1, 16, v49
	v_max_f32_e32 v1, v1, v1
	v_max_f32_e32 v0, v0, v0
	v_min_f32_e32 v2, v0, v1
	v_max_f32_e32 v0, v0, v1
	v_cndmask_b32_e64 v1, v0, v2, s[28:29]
	v_and_b32_e32 v0, 0x7f800000, v1
	v_cmp_ne_u32_e32 vcc, s91, v0
                                        ; implicit-def: $vgpr0
	s_and_saveexec_b64 s[62:63], vcc
	s_xor_b64 vcc, exec, s[62:63]
; %bb.1445:                             ;   in Loop: Header=BB4_1368 Depth=3
	v_bfe_u32 v0, v1, 16, 1
	v_add3_u32 v0, v1, v0, s92
                                        ; implicit-def: $vgpr1
; %bb.1446:                             ;   in Loop: Header=BB4_1368 Depth=3
	s_andn2_saveexec_b64 s[62:63], vcc
; %bb.1447:                             ;   in Loop: Header=BB4_1368 Depth=3
	v_or_b32_e32 v0, 0x10000, v1
	v_cmp_eq_u32_sdwa vcc, v1, v42 src0_sel:WORD_0 src1_sel:DWORD
	v_cndmask_b32_e32 v0, v0, v1, vcc
; %bb.1448:                             ;   in Loop: Header=BB4_1368 Depth=3
	s_or_b64 exec, exec, s[62:63]
	v_and_b32_e32 v1, 0xffff0000, v37
	v_and_b32_e32 v2, 0xffff0000, v49
	v_max_f32_e32 v2, v2, v2
	v_max_f32_e32 v1, v1, v1
	v_min_f32_e32 v3, v1, v2
	v_max_f32_e32 v1, v1, v2
	v_cndmask_b32_e64 v1, v1, v3, s[28:29]
	v_and_b32_e32 v2, 0x7f800000, v1
	v_cmp_ne_u32_e32 vcc, s91, v2
                                        ; implicit-def: $vgpr37
	s_and_saveexec_b64 s[62:63], vcc
	s_xor_b64 vcc, exec, s[62:63]
; %bb.1449:                             ;   in Loop: Header=BB4_1368 Depth=3
	v_bfe_u32 v2, v1, 16, 1
	v_add3_u32 v37, v1, v2, s92
                                        ; implicit-def: $vgpr1
; %bb.1450:                             ;   in Loop: Header=BB4_1368 Depth=3
	s_andn2_saveexec_b64 s[62:63], vcc
; %bb.1451:                             ;   in Loop: Header=BB4_1368 Depth=3
	v_or_b32_e32 v2, 0x10000, v1
	v_cmp_eq_u32_sdwa vcc, v1, v42 src0_sel:WORD_0 src1_sel:DWORD
	v_cndmask_b32_e32 v37, v2, v1, vcc
; %bb.1452:                             ;   in Loop: Header=BB4_1368 Depth=3
	s_or_b64 exec, exec, s[62:63]
	v_lshlrev_b32_e32 v1, 16, v38
	v_lshlrev_b32_e32 v2, 16, v50
	v_max_f32_e32 v2, v2, v2
	v_max_f32_e32 v1, v1, v1
	v_min_f32_e32 v3, v1, v2
	v_max_f32_e32 v1, v1, v2
	v_cndmask_b32_e64 v1, v1, v3, s[28:29]
	v_and_b32_e32 v2, 0x7f800000, v1
	v_cmp_ne_u32_e32 vcc, s91, v2
                                        ; implicit-def: $vgpr6
	s_and_saveexec_b64 s[62:63], vcc
	s_xor_b64 vcc, exec, s[62:63]
; %bb.1453:                             ;   in Loop: Header=BB4_1368 Depth=3
	v_bfe_u32 v2, v1, 16, 1
	v_add3_u32 v6, v1, v2, s92
                                        ; implicit-def: $vgpr1
; %bb.1454:                             ;   in Loop: Header=BB4_1368 Depth=3
	s_andn2_saveexec_b64 s[62:63], vcc
; %bb.1455:                             ;   in Loop: Header=BB4_1368 Depth=3
	v_or_b32_e32 v2, 0x10000, v1
	v_cmp_eq_u32_sdwa vcc, v1, v42 src0_sel:WORD_0 src1_sel:DWORD
	v_cndmask_b32_e32 v6, v2, v1, vcc
; %bb.1456:                             ;   in Loop: Header=BB4_1368 Depth=3
	s_or_b64 exec, exec, s[62:63]
	v_and_b32_e32 v1, 0xffff0000, v38
	v_and_b32_e32 v2, 0xffff0000, v50
	v_max_f32_e32 v2, v2, v2
	v_max_f32_e32 v1, v1, v1
	v_min_f32_e32 v3, v1, v2
	v_max_f32_e32 v1, v1, v2
	v_cndmask_b32_e64 v1, v1, v3, s[28:29]
	v_and_b32_e32 v2, 0x7f800000, v1
	v_cmp_ne_u32_e32 vcc, s91, v2
                                        ; implicit-def: $vgpr38
	s_and_saveexec_b64 s[62:63], vcc
	s_xor_b64 vcc, exec, s[62:63]
; %bb.1457:                             ;   in Loop: Header=BB4_1368 Depth=3
	v_bfe_u32 v2, v1, 16, 1
	v_add3_u32 v38, v1, v2, s92
                                        ; implicit-def: $vgpr1
; %bb.1458:                             ;   in Loop: Header=BB4_1368 Depth=3
	s_andn2_saveexec_b64 s[62:63], vcc
; %bb.1459:                             ;   in Loop: Header=BB4_1368 Depth=3
	v_or_b32_e32 v2, 0x10000, v1
	v_cmp_eq_u32_sdwa vcc, v1, v42 src0_sel:WORD_0 src1_sel:DWORD
	v_cndmask_b32_e32 v38, v2, v1, vcc
; %bb.1460:                             ;   in Loop: Header=BB4_1368 Depth=3
	s_or_b64 exec, exec, s[62:63]
	v_lshlrev_b32_e32 v1, 16, v39
	v_lshlrev_b32_e32 v2, 16, v51
	v_max_f32_e32 v2, v2, v2
	v_max_f32_e32 v1, v1, v1
	v_min_f32_e32 v3, v1, v2
	v_max_f32_e32 v1, v1, v2
	v_cndmask_b32_e64 v1, v1, v3, s[28:29]
	v_and_b32_e32 v2, 0x7f800000, v1
	v_cmp_ne_u32_e32 vcc, s91, v2
                                        ; implicit-def: $vgpr2
	s_and_saveexec_b64 s[62:63], vcc
	s_xor_b64 vcc, exec, s[62:63]
; %bb.1461:                             ;   in Loop: Header=BB4_1368 Depth=3
	v_bfe_u32 v2, v1, 16, 1
	v_add3_u32 v2, v1, v2, s92
                                        ; implicit-def: $vgpr1
; %bb.1462:                             ;   in Loop: Header=BB4_1368 Depth=3
	s_andn2_saveexec_b64 s[62:63], vcc
; %bb.1463:                             ;   in Loop: Header=BB4_1368 Depth=3
	v_or_b32_e32 v2, 0x10000, v1
	v_cmp_eq_u32_sdwa vcc, v1, v42 src0_sel:WORD_0 src1_sel:DWORD
	v_cndmask_b32_e32 v2, v2, v1, vcc
; %bb.1464:                             ;   in Loop: Header=BB4_1368 Depth=3
	s_or_b64 exec, exec, s[62:63]
	v_and_b32_e32 v1, 0xffff0000, v39
	v_and_b32_e32 v3, 0xffff0000, v51
	v_max_f32_e32 v3, v3, v3
	v_max_f32_e32 v1, v1, v1
	v_min_f32_e32 v29, v1, v3
	v_max_f32_e32 v1, v1, v3
	v_cndmask_b32_e64 v1, v1, v29, s[28:29]
	v_and_b32_e32 v3, 0x7f800000, v1
	v_cmp_ne_u32_e32 vcc, s91, v3
                                        ; implicit-def: $vgpr3
	s_and_saveexec_b64 s[62:63], vcc
	s_xor_b64 vcc, exec, s[62:63]
; %bb.1465:                             ;   in Loop: Header=BB4_1368 Depth=3
	v_bfe_u32 v3, v1, 16, 1
	v_add3_u32 v3, v1, v3, s92
                                        ; implicit-def: $vgpr1
; %bb.1466:                             ;   in Loop: Header=BB4_1368 Depth=3
	s_andn2_saveexec_b64 s[62:63], vcc
; %bb.1467:                             ;   in Loop: Header=BB4_1368 Depth=3
	v_or_b32_e32 v3, 0x10000, v1
	v_cmp_eq_u32_sdwa vcc, v1, v42 src0_sel:WORD_0 src1_sel:DWORD
	v_cndmask_b32_e32 v3, v3, v1, vcc
; %bb.1468:                             ;   in Loop: Header=BB4_1368 Depth=3
	s_or_b64 exec, exec, s[62:63]
	v_lshlrev_b32_e32 v1, 16, v24
	v_lshlrev_b32_e32 v29, 16, v32
	v_max_f32_e32 v29, v29, v29
	v_max_f32_e32 v1, v1, v1
	v_min_f32_e32 v39, v1, v29
	v_max_f32_e32 v1, v1, v29
	v_cndmask_b32_e64 v1, v1, v39, s[28:29]
	v_and_b32_e32 v29, 0x7f800000, v1
	v_cmp_ne_u32_e32 vcc, s91, v29
                                        ; implicit-def: $vgpr29
	s_and_saveexec_b64 s[62:63], vcc
	s_xor_b64 vcc, exec, s[62:63]
; %bb.1469:                             ;   in Loop: Header=BB4_1368 Depth=3
	v_bfe_u32 v29, v1, 16, 1
	v_add3_u32 v29, v1, v29, s92
                                        ; implicit-def: $vgpr1
; %bb.1470:                             ;   in Loop: Header=BB4_1368 Depth=3
	s_andn2_saveexec_b64 s[62:63], vcc
; %bb.1471:                             ;   in Loop: Header=BB4_1368 Depth=3
	v_or_b32_e32 v29, 0x10000, v1
	v_cmp_eq_u32_sdwa vcc, v1, v42 src0_sel:WORD_0 src1_sel:DWORD
	v_cndmask_b32_e32 v29, v29, v1, vcc
; %bb.1472:                             ;   in Loop: Header=BB4_1368 Depth=3
	s_or_b64 exec, exec, s[62:63]
	v_and_b32_e32 v1, 0xffff0000, v24
	v_and_b32_e32 v24, 0xffff0000, v32
	v_max_f32_e32 v24, v24, v24
	v_max_f32_e32 v1, v1, v1
	v_min_f32_e32 v32, v1, v24
	v_max_f32_e32 v1, v1, v24
	v_cndmask_b32_e64 v1, v1, v32, s[28:29]
	v_and_b32_e32 v24, 0x7f800000, v1
	v_cmp_ne_u32_e32 vcc, s91, v24
                                        ; implicit-def: $vgpr24
	s_and_saveexec_b64 s[62:63], vcc
	s_xor_b64 vcc, exec, s[62:63]
; %bb.1473:                             ;   in Loop: Header=BB4_1368 Depth=3
	v_bfe_u32 v24, v1, 16, 1
	v_add3_u32 v24, v1, v24, s92
                                        ; implicit-def: $vgpr1
; %bb.1474:                             ;   in Loop: Header=BB4_1368 Depth=3
	s_andn2_saveexec_b64 s[62:63], vcc
; %bb.1475:                             ;   in Loop: Header=BB4_1368 Depth=3
	v_or_b32_e32 v24, 0x10000, v1
	v_cmp_eq_u32_sdwa vcc, v1, v42 src0_sel:WORD_0 src1_sel:DWORD
	v_cndmask_b32_e32 v24, v24, v1, vcc
; %bb.1476:                             ;   in Loop: Header=BB4_1368 Depth=3
	s_or_b64 exec, exec, s[62:63]
	v_lshlrev_b32_e32 v1, 16, v25
	v_lshlrev_b32_e32 v32, 16, v33
	v_max_f32_e32 v32, v32, v32
	v_max_f32_e32 v1, v1, v1
	v_min_f32_e32 v39, v1, v32
	v_max_f32_e32 v1, v1, v32
	v_cndmask_b32_e64 v1, v1, v39, s[28:29]
	v_and_b32_e32 v32, 0x7f800000, v1
	v_cmp_ne_u32_e32 vcc, s91, v32
                                        ; implicit-def: $vgpr32
	s_and_saveexec_b64 s[62:63], vcc
	s_xor_b64 vcc, exec, s[62:63]
; %bb.1477:                             ;   in Loop: Header=BB4_1368 Depth=3
	v_bfe_u32 v32, v1, 16, 1
	v_add3_u32 v32, v1, v32, s92
                                        ; implicit-def: $vgpr1
; %bb.1478:                             ;   in Loop: Header=BB4_1368 Depth=3
	s_andn2_saveexec_b64 s[62:63], vcc
; %bb.1479:                             ;   in Loop: Header=BB4_1368 Depth=3
	v_or_b32_e32 v32, 0x10000, v1
	v_cmp_eq_u32_sdwa vcc, v1, v42 src0_sel:WORD_0 src1_sel:DWORD
	v_cndmask_b32_e32 v32, v32, v1, vcc
; %bb.1480:                             ;   in Loop: Header=BB4_1368 Depth=3
	s_or_b64 exec, exec, s[62:63]
	v_and_b32_e32 v1, 0xffff0000, v25
	v_and_b32_e32 v25, 0xffff0000, v33
	v_max_f32_e32 v25, v25, v25
	v_max_f32_e32 v1, v1, v1
	v_min_f32_e32 v33, v1, v25
	v_max_f32_e32 v1, v1, v25
	v_cndmask_b32_e64 v1, v1, v33, s[28:29]
	v_and_b32_e32 v25, 0x7f800000, v1
	v_cmp_ne_u32_e32 vcc, s91, v25
                                        ; implicit-def: $vgpr25
	s_and_saveexec_b64 s[62:63], vcc
	s_xor_b64 vcc, exec, s[62:63]
; %bb.1481:                             ;   in Loop: Header=BB4_1368 Depth=3
	v_bfe_u32 v25, v1, 16, 1
	v_add3_u32 v25, v1, v25, s92
                                        ; implicit-def: $vgpr1
; %bb.1482:                             ;   in Loop: Header=BB4_1368 Depth=3
	s_andn2_saveexec_b64 s[62:63], vcc
; %bb.1483:                             ;   in Loop: Header=BB4_1368 Depth=3
	v_or_b32_e32 v25, 0x10000, v1
	v_cmp_eq_u32_sdwa vcc, v1, v42 src0_sel:WORD_0 src1_sel:DWORD
	v_cndmask_b32_e32 v25, v25, v1, vcc
; %bb.1484:                             ;   in Loop: Header=BB4_1368 Depth=3
	s_or_b64 exec, exec, s[62:63]
	v_lshlrev_b32_e32 v1, 16, v26
	v_lshlrev_b32_e32 v33, 16, v34
	v_max_f32_e32 v33, v33, v33
	v_max_f32_e32 v1, v1, v1
	v_min_f32_e32 v39, v1, v33
	v_max_f32_e32 v1, v1, v33
	v_cndmask_b32_e64 v1, v1, v39, s[28:29]
	v_and_b32_e32 v33, 0x7f800000, v1
	v_cmp_ne_u32_e32 vcc, s91, v33
                                        ; implicit-def: $vgpr33
	s_and_saveexec_b64 s[62:63], vcc
	s_xor_b64 vcc, exec, s[62:63]
; %bb.1485:                             ;   in Loop: Header=BB4_1368 Depth=3
	v_bfe_u32 v33, v1, 16, 1
	v_add3_u32 v33, v1, v33, s92
                                        ; implicit-def: $vgpr1
; %bb.1486:                             ;   in Loop: Header=BB4_1368 Depth=3
	s_andn2_saveexec_b64 s[62:63], vcc
; %bb.1487:                             ;   in Loop: Header=BB4_1368 Depth=3
	v_or_b32_e32 v33, 0x10000, v1
	v_cmp_eq_u32_sdwa vcc, v1, v42 src0_sel:WORD_0 src1_sel:DWORD
	v_cndmask_b32_e32 v33, v33, v1, vcc
; %bb.1488:                             ;   in Loop: Header=BB4_1368 Depth=3
	s_or_b64 exec, exec, s[62:63]
	v_and_b32_e32 v1, 0xffff0000, v26
	v_and_b32_e32 v26, 0xffff0000, v34
	v_max_f32_e32 v26, v26, v26
	v_max_f32_e32 v1, v1, v1
	v_min_f32_e32 v34, v1, v26
	v_max_f32_e32 v1, v1, v26
	v_cndmask_b32_e64 v1, v1, v34, s[28:29]
	v_and_b32_e32 v26, 0x7f800000, v1
	v_cmp_ne_u32_e32 vcc, s91, v26
                                        ; implicit-def: $vgpr26
	s_and_saveexec_b64 s[62:63], vcc
	s_xor_b64 vcc, exec, s[62:63]
; %bb.1489:                             ;   in Loop: Header=BB4_1368 Depth=3
	v_bfe_u32 v26, v1, 16, 1
	v_add3_u32 v26, v1, v26, s92
                                        ; implicit-def: $vgpr1
; %bb.1490:                             ;   in Loop: Header=BB4_1368 Depth=3
	s_andn2_saveexec_b64 s[62:63], vcc
; %bb.1491:                             ;   in Loop: Header=BB4_1368 Depth=3
	v_or_b32_e32 v26, 0x10000, v1
	v_cmp_eq_u32_sdwa vcc, v1, v42 src0_sel:WORD_0 src1_sel:DWORD
	v_cndmask_b32_e32 v26, v26, v1, vcc
; %bb.1492:                             ;   in Loop: Header=BB4_1368 Depth=3
	s_or_b64 exec, exec, s[62:63]
	v_lshlrev_b32_e32 v1, 16, v27
	v_lshlrev_b32_e32 v34, 16, v35
	v_max_f32_e32 v34, v34, v34
	v_max_f32_e32 v1, v1, v1
	v_min_f32_e32 v39, v1, v34
	v_max_f32_e32 v1, v1, v34
	v_cndmask_b32_e64 v34, v1, v39, s[28:29]
	v_and_b32_e32 v1, 0x7f800000, v34
	v_cmp_ne_u32_e32 vcc, s91, v1
                                        ; implicit-def: $vgpr1
	s_and_saveexec_b64 s[62:63], vcc
	s_xor_b64 vcc, exec, s[62:63]
; %bb.1493:                             ;   in Loop: Header=BB4_1368 Depth=3
	v_bfe_u32 v1, v34, 16, 1
	v_add3_u32 v1, v34, v1, s92
                                        ; implicit-def: $vgpr34
; %bb.1494:                             ;   in Loop: Header=BB4_1368 Depth=3
	s_andn2_saveexec_b64 s[62:63], vcc
; %bb.1495:                             ;   in Loop: Header=BB4_1368 Depth=3
	v_or_b32_e32 v1, 0x10000, v34
	v_cmp_eq_u32_sdwa vcc, v34, v42 src0_sel:WORD_0 src1_sel:DWORD
	v_cndmask_b32_e32 v1, v1, v34, vcc
; %bb.1496:                             ;   in Loop: Header=BB4_1368 Depth=3
	s_or_b64 exec, exec, s[62:63]
	v_and_b32_e32 v27, 0xffff0000, v27
	v_and_b32_e32 v34, 0xffff0000, v35
	v_max_f32_e32 v34, v34, v34
	v_max_f32_e32 v27, v27, v27
	v_min_f32_e32 v35, v27, v34
	v_max_f32_e32 v27, v27, v34
	v_cndmask_b32_e64 v34, v27, v35, s[28:29]
	v_and_b32_e32 v27, 0x7f800000, v34
	v_cmp_ne_u32_e32 vcc, s91, v27
                                        ; implicit-def: $vgpr27
	s_and_saveexec_b64 s[62:63], vcc
	s_xor_b64 vcc, exec, s[62:63]
; %bb.1497:                             ;   in Loop: Header=BB4_1368 Depth=3
	v_bfe_u32 v27, v34, 16, 1
	v_add3_u32 v27, v34, v27, s92
                                        ; implicit-def: $vgpr34
; %bb.1498:                             ;   in Loop: Header=BB4_1368 Depth=3
	s_andn2_saveexec_b64 s[62:63], vcc
	s_cbranch_execz .LBB4_1367
; %bb.1499:                             ;   in Loop: Header=BB4_1368 Depth=3
	v_or_b32_e32 v27, 0x10000, v34
	v_cmp_eq_u32_sdwa vcc, v34, v42 src0_sel:WORD_0 src1_sel:DWORD
	v_cndmask_b32_e32 v27, v27, v34, vcc
	s_branch .LBB4_1367
.LBB4_1500:                             ;   in Loop: Header=BB4_886 Depth=2
	s_mov_b64 s[58:59], 0
                                        ; implicit-def: $sgpr30
                                        ; implicit-def: $vgpr12
	s_andn2_b64 vcc, exec, s[28:29]
	s_cbranch_vccz .LBB4_1365
.LBB4_1501:                             ;   in Loop: Header=BB4_886 Depth=2
	v_mov_b32_e32 v16, s30
	v_accvgpr_read_b32 v17, a35
	v_accvgpr_read_b32 v4, a29
	s_and_saveexec_b64 s[36:37], s[58:59]
	s_cbranch_execnz .LBB4_1685
	s_branch .LBB4_1746
.LBB4_1502:                             ;   in Loop: Header=BB4_886 Depth=2
	s_or_b64 exec, exec, s[34:35]
	v_accvgpr_read_b32 v49, a13
	s_and_b64 s[28:29], s[36:37], exec
	v_accvgpr_read_b32 v48, a12
	v_accvgpr_read_b32 v39, a3
	;; [unrolled: 1-line block ×5, first 2 shown]
	v_mov_b32_e32 v31, v57
.LBB4_1503:                             ;   in Loop: Header=BB4_886 Depth=2
	s_or_b64 exec, exec, s[30:31]
	s_and_saveexec_b64 s[30:31], s[28:29]
	s_cbranch_execz .LBB4_1569
; %bb.1504:                             ;   in Loop: Header=BB4_886 Depth=2
	v_lshlrev_b32_e32 v0, 16, v20
	v_lshlrev_b32_e32 v1, 16, v16
	v_max_f32_e32 v1, v1, v1
	v_max_f32_e32 v0, v0, v0
	v_min_f32_e32 v2, v0, v1
	v_max_f32_e32 v0, v0, v1
	v_accvgpr_read_b32 v1, a1
	v_cmp_eq_u16_e32 vcc, 0, v1
	v_cndmask_b32_e32 v0, v0, v2, vcc
	v_and_b32_e32 v1, 0x7f800000, v0
	v_cmp_ne_u32_e64 s[28:29], s91, v1
                                        ; implicit-def: $vgpr4
	s_and_saveexec_b64 s[34:35], s[28:29]
	s_xor_b64 s[28:29], exec, s[34:35]
; %bb.1505:                             ;   in Loop: Header=BB4_886 Depth=2
	v_bfe_u32 v1, v0, 16, 1
	v_add3_u32 v4, v0, v1, s92
                                        ; implicit-def: $vgpr0
; %bb.1506:                             ;   in Loop: Header=BB4_886 Depth=2
	s_andn2_saveexec_b64 s[34:35], s[28:29]
; %bb.1507:                             ;   in Loop: Header=BB4_886 Depth=2
	v_or_b32_e32 v1, 0x10000, v0
	v_cmp_eq_u32_sdwa s[28:29], v0, v42 src0_sel:WORD_0 src1_sel:DWORD
	v_cndmask_b32_e64 v4, v1, v0, s[28:29]
; %bb.1508:                             ;   in Loop: Header=BB4_886 Depth=2
	s_or_b64 exec, exec, s[34:35]
	v_and_b32_e32 v0, 0xffff0000, v20
	v_and_b32_e32 v1, 0xffff0000, v16
	v_max_f32_e32 v1, v1, v1
	v_max_f32_e32 v0, v0, v0
	v_min_f32_e32 v2, v0, v1
	v_max_f32_e32 v0, v0, v1
	v_cndmask_b32_e32 v0, v0, v2, vcc
	v_and_b32_e32 v1, 0x7f800000, v0
	v_cmp_ne_u32_e64 s[28:29], s91, v1
                                        ; implicit-def: $vgpr5
	s_and_saveexec_b64 s[34:35], s[28:29]
	s_xor_b64 s[28:29], exec, s[34:35]
; %bb.1509:                             ;   in Loop: Header=BB4_886 Depth=2
	v_bfe_u32 v1, v0, 16, 1
	v_add3_u32 v5, v0, v1, s92
                                        ; implicit-def: $vgpr0
; %bb.1510:                             ;   in Loop: Header=BB4_886 Depth=2
	s_andn2_saveexec_b64 s[34:35], s[28:29]
; %bb.1511:                             ;   in Loop: Header=BB4_886 Depth=2
	v_or_b32_e32 v1, 0x10000, v0
	v_cmp_eq_u32_sdwa s[28:29], v0, v42 src0_sel:WORD_0 src1_sel:DWORD
	v_cndmask_b32_e64 v5, v1, v0, s[28:29]
; %bb.1512:                             ;   in Loop: Header=BB4_886 Depth=2
	s_or_b64 exec, exec, s[34:35]
	v_lshlrev_b32_e32 v0, 16, v21
	v_lshlrev_b32_e32 v1, 16, v17
	v_max_f32_e32 v1, v1, v1
	v_max_f32_e32 v0, v0, v0
	v_min_f32_e32 v2, v0, v1
	v_max_f32_e32 v0, v0, v1
	v_cndmask_b32_e32 v1, v0, v2, vcc
	v_and_b32_e32 v0, 0x7f800000, v1
	v_cmp_ne_u32_e64 s[28:29], s91, v0
                                        ; implicit-def: $vgpr0
	s_and_saveexec_b64 s[34:35], s[28:29]
	s_xor_b64 s[28:29], exec, s[34:35]
; %bb.1513:                             ;   in Loop: Header=BB4_886 Depth=2
	v_bfe_u32 v0, v1, 16, 1
	v_add3_u32 v0, v1, v0, s92
                                        ; implicit-def: $vgpr1
; %bb.1514:                             ;   in Loop: Header=BB4_886 Depth=2
	s_andn2_saveexec_b64 s[34:35], s[28:29]
; %bb.1515:                             ;   in Loop: Header=BB4_886 Depth=2
	v_or_b32_e32 v0, 0x10000, v1
	v_cmp_eq_u32_sdwa s[28:29], v1, v42 src0_sel:WORD_0 src1_sel:DWORD
	v_cndmask_b32_e64 v0, v0, v1, s[28:29]
; %bb.1516:                             ;   in Loop: Header=BB4_886 Depth=2
	s_or_b64 exec, exec, s[34:35]
	v_and_b32_e32 v1, 0xffff0000, v21
	v_and_b32_e32 v2, 0xffff0000, v17
	v_max_f32_e32 v2, v2, v2
	v_max_f32_e32 v1, v1, v1
	v_min_f32_e32 v3, v1, v2
	v_max_f32_e32 v1, v1, v2
	v_cndmask_b32_e32 v1, v1, v3, vcc
	v_and_b32_e32 v2, 0x7f800000, v1
	v_cmp_ne_u32_e64 s[28:29], s91, v2
                                        ; implicit-def: $vgpr16
	s_and_saveexec_b64 s[34:35], s[28:29]
	s_xor_b64 s[28:29], exec, s[34:35]
; %bb.1517:                             ;   in Loop: Header=BB4_886 Depth=2
	v_bfe_u32 v2, v1, 16, 1
	v_add3_u32 v16, v1, v2, s92
                                        ; implicit-def: $vgpr1
; %bb.1518:                             ;   in Loop: Header=BB4_886 Depth=2
	s_andn2_saveexec_b64 s[34:35], s[28:29]
; %bb.1519:                             ;   in Loop: Header=BB4_886 Depth=2
	v_or_b32_e32 v2, 0x10000, v1
	v_cmp_eq_u32_sdwa s[28:29], v1, v42 src0_sel:WORD_0 src1_sel:DWORD
	v_cndmask_b32_e64 v16, v2, v1, s[28:29]
; %bb.1520:                             ;   in Loop: Header=BB4_886 Depth=2
	s_or_b64 exec, exec, s[34:35]
	v_lshlrev_b32_e32 v1, 16, v22
	v_lshlrev_b32_e32 v2, 16, v18
	v_max_f32_e32 v2, v2, v2
	v_max_f32_e32 v1, v1, v1
	v_min_f32_e32 v3, v1, v2
	v_max_f32_e32 v1, v1, v2
	v_cndmask_b32_e32 v1, v1, v3, vcc
	v_and_b32_e32 v2, 0x7f800000, v1
	v_cmp_ne_u32_e64 s[28:29], s91, v2
                                        ; implicit-def: $vgpr6
	s_and_saveexec_b64 s[34:35], s[28:29]
	s_xor_b64 s[28:29], exec, s[34:35]
; %bb.1521:                             ;   in Loop: Header=BB4_886 Depth=2
	v_bfe_u32 v2, v1, 16, 1
	v_add3_u32 v6, v1, v2, s92
                                        ; implicit-def: $vgpr1
; %bb.1522:                             ;   in Loop: Header=BB4_886 Depth=2
	s_andn2_saveexec_b64 s[34:35], s[28:29]
; %bb.1523:                             ;   in Loop: Header=BB4_886 Depth=2
	v_or_b32_e32 v2, 0x10000, v1
	v_cmp_eq_u32_sdwa s[28:29], v1, v42 src0_sel:WORD_0 src1_sel:DWORD
	v_cndmask_b32_e64 v6, v2, v1, s[28:29]
; %bb.1524:                             ;   in Loop: Header=BB4_886 Depth=2
	s_or_b64 exec, exec, s[34:35]
	v_and_b32_e32 v1, 0xffff0000, v22
	v_and_b32_e32 v2, 0xffff0000, v18
	v_max_f32_e32 v2, v2, v2
	v_max_f32_e32 v1, v1, v1
	v_min_f32_e32 v3, v1, v2
	v_max_f32_e32 v1, v1, v2
	v_cndmask_b32_e32 v1, v1, v3, vcc
	v_and_b32_e32 v2, 0x7f800000, v1
	v_cmp_ne_u32_e64 s[28:29], s91, v2
                                        ; implicit-def: $vgpr17
	s_and_saveexec_b64 s[34:35], s[28:29]
	s_xor_b64 s[28:29], exec, s[34:35]
; %bb.1525:                             ;   in Loop: Header=BB4_886 Depth=2
	v_bfe_u32 v2, v1, 16, 1
	v_add3_u32 v17, v1, v2, s92
                                        ; implicit-def: $vgpr1
; %bb.1526:                             ;   in Loop: Header=BB4_886 Depth=2
	s_andn2_saveexec_b64 s[34:35], s[28:29]
; %bb.1527:                             ;   in Loop: Header=BB4_886 Depth=2
	v_or_b32_e32 v2, 0x10000, v1
	v_cmp_eq_u32_sdwa s[28:29], v1, v42 src0_sel:WORD_0 src1_sel:DWORD
	v_cndmask_b32_e64 v17, v2, v1, s[28:29]
; %bb.1528:                             ;   in Loop: Header=BB4_886 Depth=2
	s_or_b64 exec, exec, s[34:35]
	v_lshlrev_b32_e32 v1, 16, v23
	v_lshlrev_b32_e32 v2, 16, v19
	v_max_f32_e32 v2, v2, v2
	v_max_f32_e32 v1, v1, v1
	v_min_f32_e32 v3, v1, v2
	v_max_f32_e32 v1, v1, v2
	v_cndmask_b32_e32 v1, v1, v3, vcc
	v_and_b32_e32 v2, 0x7f800000, v1
	v_cmp_ne_u32_e64 s[28:29], s91, v2
                                        ; implicit-def: $vgpr2
	s_and_saveexec_b64 s[34:35], s[28:29]
	s_xor_b64 s[28:29], exec, s[34:35]
; %bb.1529:                             ;   in Loop: Header=BB4_886 Depth=2
	v_bfe_u32 v2, v1, 16, 1
	v_add3_u32 v2, v1, v2, s92
                                        ; implicit-def: $vgpr1
; %bb.1530:                             ;   in Loop: Header=BB4_886 Depth=2
	s_andn2_saveexec_b64 s[34:35], s[28:29]
; %bb.1531:                             ;   in Loop: Header=BB4_886 Depth=2
	v_or_b32_e32 v2, 0x10000, v1
	v_cmp_eq_u32_sdwa s[28:29], v1, v42 src0_sel:WORD_0 src1_sel:DWORD
	v_cndmask_b32_e64 v2, v2, v1, s[28:29]
; %bb.1532:                             ;   in Loop: Header=BB4_886 Depth=2
	s_or_b64 exec, exec, s[34:35]
	v_and_b32_e32 v1, 0xffff0000, v23
	v_and_b32_e32 v3, 0xffff0000, v19
	v_max_f32_e32 v3, v3, v3
	v_max_f32_e32 v1, v1, v1
	v_min_f32_e32 v18, v1, v3
	v_max_f32_e32 v1, v1, v3
	v_cndmask_b32_e32 v1, v1, v18, vcc
	v_and_b32_e32 v3, 0x7f800000, v1
	v_cmp_ne_u32_e64 s[28:29], s91, v3
                                        ; implicit-def: $vgpr3
	s_and_saveexec_b64 s[34:35], s[28:29]
	s_xor_b64 s[28:29], exec, s[34:35]
; %bb.1533:                             ;   in Loop: Header=BB4_886 Depth=2
	v_bfe_u32 v3, v1, 16, 1
	v_add3_u32 v3, v1, v3, s92
                                        ; implicit-def: $vgpr1
; %bb.1534:                             ;   in Loop: Header=BB4_886 Depth=2
	s_andn2_saveexec_b64 s[34:35], s[28:29]
; %bb.1535:                             ;   in Loop: Header=BB4_886 Depth=2
	v_or_b32_e32 v3, 0x10000, v1
	v_cmp_eq_u32_sdwa s[28:29], v1, v42 src0_sel:WORD_0 src1_sel:DWORD
	v_cndmask_b32_e64 v3, v3, v1, s[28:29]
; %bb.1536:                             ;   in Loop: Header=BB4_886 Depth=2
	s_or_b64 exec, exec, s[34:35]
	v_lshlrev_b32_e32 v1, 16, v12
	v_lshlrev_b32_e32 v18, 16, v8
	v_max_f32_e32 v18, v18, v18
	v_max_f32_e32 v1, v1, v1
	v_min_f32_e32 v19, v1, v18
	v_max_f32_e32 v1, v1, v18
	v_cndmask_b32_e32 v1, v1, v19, vcc
	v_and_b32_e32 v18, 0x7f800000, v1
	v_cmp_ne_u32_e64 s[28:29], s91, v18
                                        ; implicit-def: $vgpr18
	s_and_saveexec_b64 s[34:35], s[28:29]
	s_xor_b64 s[28:29], exec, s[34:35]
; %bb.1537:                             ;   in Loop: Header=BB4_886 Depth=2
	v_bfe_u32 v18, v1, 16, 1
	v_add3_u32 v18, v1, v18, s92
                                        ; implicit-def: $vgpr1
; %bb.1538:                             ;   in Loop: Header=BB4_886 Depth=2
	s_andn2_saveexec_b64 s[34:35], s[28:29]
; %bb.1539:                             ;   in Loop: Header=BB4_886 Depth=2
	v_or_b32_e32 v18, 0x10000, v1
	v_cmp_eq_u32_sdwa s[28:29], v1, v42 src0_sel:WORD_0 src1_sel:DWORD
	v_cndmask_b32_e64 v18, v18, v1, s[28:29]
; %bb.1540:                             ;   in Loop: Header=BB4_886 Depth=2
	s_or_b64 exec, exec, s[34:35]
	v_and_b32_e32 v1, 0xffff0000, v12
	v_and_b32_e32 v8, 0xffff0000, v8
	v_max_f32_e32 v8, v8, v8
	v_max_f32_e32 v1, v1, v1
	v_min_f32_e32 v12, v1, v8
	v_max_f32_e32 v1, v1, v8
	v_cndmask_b32_e32 v1, v1, v12, vcc
	v_and_b32_e32 v8, 0x7f800000, v1
	v_cmp_ne_u32_e64 s[28:29], s91, v8
                                        ; implicit-def: $vgpr8
	s_and_saveexec_b64 s[34:35], s[28:29]
	s_xor_b64 s[28:29], exec, s[34:35]
; %bb.1541:                             ;   in Loop: Header=BB4_886 Depth=2
	v_bfe_u32 v8, v1, 16, 1
	v_add3_u32 v8, v1, v8, s92
                                        ; implicit-def: $vgpr1
; %bb.1542:                             ;   in Loop: Header=BB4_886 Depth=2
	s_andn2_saveexec_b64 s[34:35], s[28:29]
; %bb.1543:                             ;   in Loop: Header=BB4_886 Depth=2
	v_or_b32_e32 v8, 0x10000, v1
	v_cmp_eq_u32_sdwa s[28:29], v1, v42 src0_sel:WORD_0 src1_sel:DWORD
	v_cndmask_b32_e64 v8, v8, v1, s[28:29]
; %bb.1544:                             ;   in Loop: Header=BB4_886 Depth=2
	s_or_b64 exec, exec, s[34:35]
	v_lshlrev_b32_e32 v1, 16, v13
	v_lshlrev_b32_e32 v12, 16, v9
	v_max_f32_e32 v12, v12, v12
	v_max_f32_e32 v1, v1, v1
	v_min_f32_e32 v19, v1, v12
	v_max_f32_e32 v1, v1, v12
	v_cndmask_b32_e32 v1, v1, v19, vcc
	v_and_b32_e32 v12, 0x7f800000, v1
	v_cmp_ne_u32_e64 s[28:29], s91, v12
                                        ; implicit-def: $vgpr12
	s_and_saveexec_b64 s[34:35], s[28:29]
	s_xor_b64 s[28:29], exec, s[34:35]
; %bb.1545:                             ;   in Loop: Header=BB4_886 Depth=2
	v_bfe_u32 v12, v1, 16, 1
	v_add3_u32 v12, v1, v12, s92
                                        ; implicit-def: $vgpr1
; %bb.1546:                             ;   in Loop: Header=BB4_886 Depth=2
	s_andn2_saveexec_b64 s[34:35], s[28:29]
; %bb.1547:                             ;   in Loop: Header=BB4_886 Depth=2
	v_or_b32_e32 v12, 0x10000, v1
	v_cmp_eq_u32_sdwa s[28:29], v1, v42 src0_sel:WORD_0 src1_sel:DWORD
	v_cndmask_b32_e64 v12, v12, v1, s[28:29]
; %bb.1548:                             ;   in Loop: Header=BB4_886 Depth=2
	s_or_b64 exec, exec, s[34:35]
	v_and_b32_e32 v1, 0xffff0000, v13
	v_and_b32_e32 v9, 0xffff0000, v9
	v_max_f32_e32 v9, v9, v9
	v_max_f32_e32 v1, v1, v1
	v_min_f32_e32 v13, v1, v9
	v_max_f32_e32 v1, v1, v9
	v_cndmask_b32_e32 v1, v1, v13, vcc
	v_and_b32_e32 v9, 0x7f800000, v1
	v_cmp_ne_u32_e64 s[28:29], s91, v9
                                        ; implicit-def: $vgpr9
	s_and_saveexec_b64 s[34:35], s[28:29]
	s_xor_b64 s[28:29], exec, s[34:35]
; %bb.1549:                             ;   in Loop: Header=BB4_886 Depth=2
	v_bfe_u32 v9, v1, 16, 1
	v_add3_u32 v9, v1, v9, s92
                                        ; implicit-def: $vgpr1
; %bb.1550:                             ;   in Loop: Header=BB4_886 Depth=2
	s_andn2_saveexec_b64 s[34:35], s[28:29]
; %bb.1551:                             ;   in Loop: Header=BB4_886 Depth=2
	v_or_b32_e32 v9, 0x10000, v1
	v_cmp_eq_u32_sdwa s[28:29], v1, v42 src0_sel:WORD_0 src1_sel:DWORD
	v_cndmask_b32_e64 v9, v9, v1, s[28:29]
; %bb.1552:                             ;   in Loop: Header=BB4_886 Depth=2
	s_or_b64 exec, exec, s[34:35]
	v_lshlrev_b32_e32 v1, 16, v14
	v_lshlrev_b32_e32 v13, 16, v10
	v_max_f32_e32 v13, v13, v13
	v_max_f32_e32 v1, v1, v1
	v_min_f32_e32 v19, v1, v13
	v_max_f32_e32 v1, v1, v13
	v_cndmask_b32_e32 v1, v1, v19, vcc
	v_and_b32_e32 v13, 0x7f800000, v1
	v_cmp_ne_u32_e64 s[28:29], s91, v13
                                        ; implicit-def: $vgpr13
	s_and_saveexec_b64 s[34:35], s[28:29]
	s_xor_b64 s[28:29], exec, s[34:35]
; %bb.1553:                             ;   in Loop: Header=BB4_886 Depth=2
	v_bfe_u32 v13, v1, 16, 1
	v_add3_u32 v13, v1, v13, s92
                                        ; implicit-def: $vgpr1
; %bb.1554:                             ;   in Loop: Header=BB4_886 Depth=2
	s_andn2_saveexec_b64 s[34:35], s[28:29]
; %bb.1555:                             ;   in Loop: Header=BB4_886 Depth=2
	v_or_b32_e32 v13, 0x10000, v1
	v_cmp_eq_u32_sdwa s[28:29], v1, v42 src0_sel:WORD_0 src1_sel:DWORD
	v_cndmask_b32_e64 v13, v13, v1, s[28:29]
; %bb.1556:                             ;   in Loop: Header=BB4_886 Depth=2
	s_or_b64 exec, exec, s[34:35]
	v_and_b32_e32 v1, 0xffff0000, v14
	v_and_b32_e32 v10, 0xffff0000, v10
	v_max_f32_e32 v10, v10, v10
	v_max_f32_e32 v1, v1, v1
	v_min_f32_e32 v14, v1, v10
	v_max_f32_e32 v1, v1, v10
	v_cndmask_b32_e32 v1, v1, v14, vcc
	v_and_b32_e32 v10, 0x7f800000, v1
	v_cmp_ne_u32_e64 s[28:29], s91, v10
                                        ; implicit-def: $vgpr10
	s_and_saveexec_b64 s[34:35], s[28:29]
	s_xor_b64 s[28:29], exec, s[34:35]
; %bb.1557:                             ;   in Loop: Header=BB4_886 Depth=2
	v_bfe_u32 v10, v1, 16, 1
	v_add3_u32 v10, v1, v10, s92
                                        ; implicit-def: $vgpr1
; %bb.1558:                             ;   in Loop: Header=BB4_886 Depth=2
	s_andn2_saveexec_b64 s[34:35], s[28:29]
; %bb.1559:                             ;   in Loop: Header=BB4_886 Depth=2
	v_or_b32_e32 v10, 0x10000, v1
	v_cmp_eq_u32_sdwa s[28:29], v1, v42 src0_sel:WORD_0 src1_sel:DWORD
	v_cndmask_b32_e64 v10, v10, v1, s[28:29]
; %bb.1560:                             ;   in Loop: Header=BB4_886 Depth=2
	s_or_b64 exec, exec, s[34:35]
	v_lshlrev_b32_e32 v1, 16, v15
	v_lshlrev_b32_e32 v14, 16, v11
	v_max_f32_e32 v14, v14, v14
	v_max_f32_e32 v1, v1, v1
	v_min_f32_e32 v19, v1, v14
	v_max_f32_e32 v1, v1, v14
	v_cndmask_b32_e32 v14, v1, v19, vcc
	v_and_b32_e32 v1, 0x7f800000, v14
	v_cmp_ne_u32_e64 s[28:29], s91, v1
                                        ; implicit-def: $vgpr1
	s_and_saveexec_b64 s[34:35], s[28:29]
	s_xor_b64 s[28:29], exec, s[34:35]
; %bb.1561:                             ;   in Loop: Header=BB4_886 Depth=2
	v_bfe_u32 v1, v14, 16, 1
	v_add3_u32 v1, v14, v1, s92
                                        ; implicit-def: $vgpr14
; %bb.1562:                             ;   in Loop: Header=BB4_886 Depth=2
	s_andn2_saveexec_b64 s[34:35], s[28:29]
; %bb.1563:                             ;   in Loop: Header=BB4_886 Depth=2
	v_or_b32_e32 v1, 0x10000, v14
	v_cmp_eq_u32_sdwa s[28:29], v14, v42 src0_sel:WORD_0 src1_sel:DWORD
	v_cndmask_b32_e64 v1, v1, v14, s[28:29]
; %bb.1564:                             ;   in Loop: Header=BB4_886 Depth=2
	s_or_b64 exec, exec, s[34:35]
	v_and_b32_e32 v14, 0xffff0000, v15
	v_and_b32_e32 v11, 0xffff0000, v11
	v_max_f32_e32 v11, v11, v11
	v_max_f32_e32 v14, v14, v14
	v_min_f32_e32 v15, v14, v11
	v_max_f32_e32 v11, v14, v11
	v_cndmask_b32_e32 v14, v11, v15, vcc
	v_and_b32_e32 v11, 0x7f800000, v14
	v_cmp_ne_u32_e32 vcc, s91, v11
                                        ; implicit-def: $vgpr11
	s_and_saveexec_b64 s[28:29], vcc
	s_xor_b64 s[28:29], exec, s[28:29]
; %bb.1565:                             ;   in Loop: Header=BB4_886 Depth=2
	v_bfe_u32 v11, v14, 16, 1
	v_add3_u32 v11, v14, v11, s92
                                        ; implicit-def: $vgpr14
; %bb.1566:                             ;   in Loop: Header=BB4_886 Depth=2
	s_andn2_saveexec_b64 s[28:29], s[28:29]
; %bb.1567:                             ;   in Loop: Header=BB4_886 Depth=2
	v_or_b32_e32 v11, 0x10000, v14
	v_cmp_eq_u32_sdwa vcc, v14, v42 src0_sel:WORD_0 src1_sel:DWORD
	v_cndmask_b32_e32 v11, v11, v14, vcc
; %bb.1568:                             ;   in Loop: Header=BB4_886 Depth=2
	s_or_b64 exec, exec, s[28:29]
	v_lshrrev_b32_e32 v0, 16, v0
	v_and_or_b32 v15, v16, s93, v0
	v_lshrrev_b32_e32 v0, 16, v4
	v_and_or_b32 v14, v5, s93, v0
	;; [unrolled: 2-line block ×8, first 2 shown]
	global_store_dwordx4 v[52:53], v[14:17], off glc slc
	global_store_dwordx4 v[52:53], v[2:5], off offset:1024 glc slc
.LBB4_1569:                             ;   in Loop: Header=BB4_886 Depth=2
	s_or_b64 exec, exec, s[30:31]
	v_accvgpr_read_b32 v0, a6
	v_lshlrev_b32_e32 v10, 11, v0
	v_accvgpr_read_b32 v0, a0
	v_cmp_ne_u32_e32 vcc, v0, v10
                                        ; implicit-def: $vgpr16
                                        ; implicit-def: $vgpr17
                                        ; implicit-def: $vgpr12
                                        ; implicit-def: $vgpr4
	s_and_saveexec_b64 s[60:61], vcc
	s_cbranch_execz .LBB4_1684
; %bb.1570:                             ;   in Loop: Header=BB4_886 Depth=2
	v_lshlrev_b32_e32 v1, 6, v55
	v_accvgpr_read_b32 v2, a35
	v_sub_u32_e32 v1, v2, v1
	v_ashrrev_i32_e32 v2, 31, v1
	v_lshrrev_b32_e32 v2, 26, v2
	v_add_u32_e32 v2, v1, v2
	v_ashrrev_i32_e32 v3, 6, v2
	v_and_b32_e32 v2, 0xffffffc0, v2
	v_sub_u32_e32 v12, v1, v2
	v_accvgpr_read_b32 v0, a0
	v_lshlrev_b32_e32 v1, 4, v12
	v_sub_u32_e32 v0, v0, v10
	v_lshl_add_u32 v1, v3, 10, v1
	v_add_u32_e32 v4, v1, v10
	v_sub_u32_e32 v16, v0, v1
	v_ashrrev_i32_e32 v1, 31, v0
	v_lshrrev_b32_e32 v1, 22, v1
	v_add_u32_e32 v1, v0, v1
	v_and_b32_e32 v13, 0xfffffc00, v1
	v_sub_u32_e32 v14, v0, v13
	v_ashrrev_i32_e32 v2, 10, v1
	v_cmp_lt_i32_e64 s[28:29], 15, v14
	v_addc_co_u32_e64 v0, vcc, 0, v2, s[28:29]
	v_sub_u32_e32 v15, v0, v3
	v_accvgpr_read_b32 v0, a4
	v_ashrrev_i32_e32 v5, 31, v4
	v_accvgpr_read_b32 v1, a5
	v_add_co_u32_e32 v2, vcc, v4, v0
	v_addc_co_u32_e32 v3, vcc, v5, v1, vcc
	s_mov_b64 s[30:31], 0
	v_cmp_lt_i32_e32 vcc, 15, v16
	s_mov_b64 s[62:63], exec
	buffer_load_dword v24, off, s[0:3], s33 offset:288 ; 4-byte Folded Reload
	s_and_b64 vcc, s[62:63], vcc
	v_accvgpr_read_b32 v25, a2
	s_mov_b64 exec, vcc
	s_cbranch_execz .LBB4_1647
; %bb.1571:                             ;   in Loop: Header=BB4_886 Depth=2
	s_trap 2
	ds_read_b128 v[18:21], v0
	v_accvgpr_read_b32 v1, a1
	v_cmp_eq_u16_e64 s[30:31], 0, v1
	s_mov_b64 s[68:69], 0
	s_mov_b64 s[64:65], 0
	s_waitcnt lgkmcnt(0)
	v_add_co_u32_e32 v0, vcc, v18, v4
	v_addc_co_u32_e32 v9, vcc, v19, v5, vcc
	v_add_co_u32_e32 v8, vcc, v20, v4
	v_addc_co_u32_e32 v11, vcc, v21, v5, vcc
                                        ; implicit-def: $sgpr66_sgpr67
	s_branch .LBB4_1573
.LBB4_1572:                             ;   in Loop: Header=BB4_1573 Depth=3
	s_or_b64 exec, exec, s[34:35]
	v_cmp_gt_i32_e32 vcc, 16, v16
	s_or_b64 s[64:65], vcc, s[64:65]
	s_andn2_b64 vcc, s[66:67], exec
	s_and_b64 s[34:35], s[68:69], exec
	s_or_b64 s[66:67], vcc, s[34:35]
	s_andn2_b64 exec, exec, s[64:65]
	s_cbranch_execz .LBB4_1646
.LBB4_1573:                             ;   Parent Loop BB4_47 Depth=1
                                        ;     Parent Loop BB4_886 Depth=2
                                        ; =>    This Loop Header: Depth=3
                                        ;         Child Loop BB4_1574 Depth 4
                                        ;         Child Loop BB4_1611 Depth 4
	v_lshrrev_b32_e64 v1, 6, s33
	v_add_u32_e32 v1, 0xc0, v1
	s_mov_b64 s[70:71], -1
	s_mov_b64 s[72:73], 0
.LBB4_1574:                             ;   Parent Loop BB4_47 Depth=1
                                        ;     Parent Loop BB4_886 Depth=2
                                        ;       Parent Loop BB4_1573 Depth=3
                                        ; =>      This Inner Loop Header: Depth=4
	s_cmp_eq_u32 s72, 1
	s_cselect_b64 s[34:35], -1, 0
	v_cndmask_b32_e64 v5, v9, v11, s[34:35]
	v_cndmask_b32_e64 v4, v0, v8, s[34:35]
	global_load_dwordx4 v[18:21], v[4:5], off glc slc
	v_add_co_u32_e32 v4, vcc, s78, v4
	s_cmp_eq_u32 s72, 0
	v_addc_co_u32_e32 v5, vcc, 0, v5, vcc
	s_cselect_b64 vcc, -1, 0
	s_and_b64 s[36:37], exec, s[70:71]
	s_mov_b64 s[72:73], 1
	v_cndmask_b32_e64 v8, v8, v4, s[34:35]
	s_mov_b64 s[70:71], 0
	v_cndmask_b32_e32 v9, v9, v5, vcc
	v_cndmask_b32_e32 v0, v0, v4, vcc
	v_cndmask_b32_e64 v11, v11, v5, s[34:35]
	s_mov_b64 vcc, s[36:37]
	s_waitcnt vmcnt(0)
	buffer_store_dword v19, v1, s[0:3], 0 offen offset:4
	buffer_store_dword v18, v1, s[0:3], 0 offen
	buffer_store_dword v21, v1, s[0:3], 0 offen offset:12
	buffer_store_dword v20, v1, s[0:3], 0 offen offset:8
	v_mov_b32_e32 v1, v25
	s_cbranch_vccnz .LBB4_1574
; %bb.1575:                             ;   in Loop: Header=BB4_1573 Depth=3
	s_and_saveexec_b64 s[34:35], s[68:69]
	s_cbranch_execz .LBB4_1609
; %bb.1576:                             ;   in Loop: Header=BB4_1573 Depth=3
	buffer_load_dword v1, off, s[0:3], s33 offset:224
	buffer_load_dword v17, off, s[0:3], s33 offset:240
	buffer_load_dword v21, off, s[0:3], s33 offset:228
	buffer_load_dword v19, off, s[0:3], s33 offset:232
	buffer_load_dword v5, off, s[0:3], s33 offset:236
	buffer_load_dword v22, off, s[0:3], s33 offset:244
	buffer_load_dword v20, off, s[0:3], s33 offset:248
	buffer_load_dword v6, off, s[0:3], s33 offset:252
	s_waitcnt vmcnt(7)
	v_lshlrev_b32_e32 v4, 16, v1
	s_waitcnt vmcnt(6)
	v_lshlrev_b32_e32 v18, 16, v17
	v_max_f32_e32 v18, v18, v18
	v_max_f32_e32 v4, v4, v4
	v_min_f32_e32 v23, v4, v18
	v_max_f32_e32 v4, v4, v18
	v_cndmask_b32_e64 v18, v4, v23, s[30:31]
	v_and_b32_e32 v4, 0x7f800000, v18
	v_cmp_ne_u32_e32 vcc, s91, v4
                                        ; implicit-def: $vgpr4
	s_and_saveexec_b64 s[36:37], vcc
	s_xor_b64 vcc, exec, s[36:37]
; %bb.1577:                             ;   in Loop: Header=BB4_1573 Depth=3
	v_bfe_u32 v4, v18, 16, 1
	v_add3_u32 v4, v18, v4, s92
                                        ; implicit-def: $vgpr18
; %bb.1578:                             ;   in Loop: Header=BB4_1573 Depth=3
	s_andn2_saveexec_b64 s[36:37], vcc
; %bb.1579:                             ;   in Loop: Header=BB4_1573 Depth=3
	v_or_b32_e32 v4, 0x10000, v18
	v_cmp_eq_u32_sdwa vcc, v18, v42 src0_sel:WORD_0 src1_sel:DWORD
	v_cndmask_b32_e32 v4, v4, v18, vcc
; %bb.1580:                             ;   in Loop: Header=BB4_1573 Depth=3
	s_or_b64 exec, exec, s[36:37]
	v_and_b32_e32 v1, 0xffff0000, v1
	v_and_b32_e32 v17, 0xffff0000, v17
	v_max_f32_e32 v17, v17, v17
	v_max_f32_e32 v1, v1, v1
	v_min_f32_e32 v18, v1, v17
	v_max_f32_e32 v1, v1, v17
	v_cndmask_b32_e64 v1, v1, v18, s[30:31]
	v_and_b32_e32 v17, 0x7f800000, v1
	v_cmp_ne_u32_e32 vcc, s91, v17
                                        ; implicit-def: $vgpr17
	s_and_saveexec_b64 s[36:37], vcc
	s_xor_b64 vcc, exec, s[36:37]
; %bb.1581:                             ;   in Loop: Header=BB4_1573 Depth=3
	v_bfe_u32 v17, v1, 16, 1
	v_add3_u32 v17, v1, v17, s92
                                        ; implicit-def: $vgpr1
; %bb.1582:                             ;   in Loop: Header=BB4_1573 Depth=3
	s_andn2_saveexec_b64 s[36:37], vcc
; %bb.1583:                             ;   in Loop: Header=BB4_1573 Depth=3
	v_or_b32_e32 v17, 0x10000, v1
	v_cmp_eq_u32_sdwa vcc, v1, v42 src0_sel:WORD_0 src1_sel:DWORD
	v_cndmask_b32_e32 v17, v17, v1, vcc
; %bb.1584:                             ;   in Loop: Header=BB4_1573 Depth=3
	s_or_b64 exec, exec, s[36:37]
	s_waitcnt vmcnt(5)
	v_lshlrev_b32_e32 v1, 16, v21
	s_waitcnt vmcnt(2)
	v_lshlrev_b32_e32 v18, 16, v22
	v_max_f32_e32 v18, v18, v18
	v_max_f32_e32 v1, v1, v1
	v_min_f32_e32 v23, v1, v18
	v_max_f32_e32 v1, v1, v18
	v_cndmask_b32_e64 v1, v1, v23, s[30:31]
	v_and_b32_e32 v18, 0x7f800000, v1
	v_cmp_ne_u32_e32 vcc, s91, v18
                                        ; implicit-def: $vgpr18
	s_and_saveexec_b64 s[36:37], vcc
	s_xor_b64 vcc, exec, s[36:37]
; %bb.1585:                             ;   in Loop: Header=BB4_1573 Depth=3
	v_bfe_u32 v18, v1, 16, 1
	v_add3_u32 v18, v1, v18, s92
                                        ; implicit-def: $vgpr1
; %bb.1586:                             ;   in Loop: Header=BB4_1573 Depth=3
	s_andn2_saveexec_b64 s[36:37], vcc
; %bb.1587:                             ;   in Loop: Header=BB4_1573 Depth=3
	v_or_b32_e32 v18, 0x10000, v1
	v_cmp_eq_u32_sdwa vcc, v1, v42 src0_sel:WORD_0 src1_sel:DWORD
	v_cndmask_b32_e32 v18, v18, v1, vcc
; %bb.1588:                             ;   in Loop: Header=BB4_1573 Depth=3
	s_or_b64 exec, exec, s[36:37]
	v_and_b32_e32 v1, 0xffff0000, v21
	v_and_b32_e32 v21, 0xffff0000, v22
	v_max_f32_e32 v21, v21, v21
	v_max_f32_e32 v1, v1, v1
	v_min_f32_e32 v22, v1, v21
	v_max_f32_e32 v1, v1, v21
	v_cndmask_b32_e64 v1, v1, v22, s[30:31]
	v_and_b32_e32 v21, 0x7f800000, v1
	v_cmp_ne_u32_e32 vcc, s91, v21
                                        ; implicit-def: $vgpr21
	s_and_saveexec_b64 s[36:37], vcc
	s_xor_b64 vcc, exec, s[36:37]
; %bb.1589:                             ;   in Loop: Header=BB4_1573 Depth=3
	v_bfe_u32 v21, v1, 16, 1
	v_add3_u32 v21, v1, v21, s92
                                        ; implicit-def: $vgpr1
; %bb.1590:                             ;   in Loop: Header=BB4_1573 Depth=3
	s_andn2_saveexec_b64 s[36:37], vcc
; %bb.1591:                             ;   in Loop: Header=BB4_1573 Depth=3
	v_or_b32_e32 v21, 0x10000, v1
	v_cmp_eq_u32_sdwa vcc, v1, v42 src0_sel:WORD_0 src1_sel:DWORD
	v_cndmask_b32_e32 v21, v21, v1, vcc
; %bb.1592:                             ;   in Loop: Header=BB4_1573 Depth=3
	s_or_b64 exec, exec, s[36:37]
	v_lshlrev_b32_e32 v1, 16, v19
	s_waitcnt vmcnt(1)
	v_lshlrev_b32_e32 v22, 16, v20
	v_max_f32_e32 v22, v22, v22
	v_max_f32_e32 v1, v1, v1
	v_min_f32_e32 v23, v1, v22
	v_max_f32_e32 v1, v1, v22
	v_cndmask_b32_e64 v1, v1, v23, s[30:31]
	v_and_b32_e32 v22, 0x7f800000, v1
	v_cmp_ne_u32_e32 vcc, s91, v22
                                        ; implicit-def: $vgpr22
	s_and_saveexec_b64 s[36:37], vcc
	s_xor_b64 vcc, exec, s[36:37]
; %bb.1593:                             ;   in Loop: Header=BB4_1573 Depth=3
	v_bfe_u32 v22, v1, 16, 1
	v_add3_u32 v22, v1, v22, s92
                                        ; implicit-def: $vgpr1
; %bb.1594:                             ;   in Loop: Header=BB4_1573 Depth=3
	s_andn2_saveexec_b64 s[36:37], vcc
; %bb.1595:                             ;   in Loop: Header=BB4_1573 Depth=3
	v_or_b32_e32 v22, 0x10000, v1
	v_cmp_eq_u32_sdwa vcc, v1, v42 src0_sel:WORD_0 src1_sel:DWORD
	v_cndmask_b32_e32 v22, v22, v1, vcc
; %bb.1596:                             ;   in Loop: Header=BB4_1573 Depth=3
	s_or_b64 exec, exec, s[36:37]
	v_and_b32_e32 v1, 0xffff0000, v19
	v_and_b32_e32 v19, 0xffff0000, v20
	v_max_f32_e32 v19, v19, v19
	v_max_f32_e32 v1, v1, v1
	v_min_f32_e32 v20, v1, v19
	v_max_f32_e32 v1, v1, v19
	v_cndmask_b32_e64 v1, v1, v20, s[30:31]
	v_and_b32_e32 v19, 0x7f800000, v1
	v_cmp_ne_u32_e32 vcc, s91, v19
                                        ; implicit-def: $vgpr19
	s_and_saveexec_b64 s[36:37], vcc
	s_xor_b64 vcc, exec, s[36:37]
; %bb.1597:                             ;   in Loop: Header=BB4_1573 Depth=3
	v_bfe_u32 v19, v1, 16, 1
	v_add3_u32 v19, v1, v19, s92
                                        ; implicit-def: $vgpr1
; %bb.1598:                             ;   in Loop: Header=BB4_1573 Depth=3
	s_andn2_saveexec_b64 s[36:37], vcc
; %bb.1599:                             ;   in Loop: Header=BB4_1573 Depth=3
	v_or_b32_e32 v19, 0x10000, v1
	v_cmp_eq_u32_sdwa vcc, v1, v42 src0_sel:WORD_0 src1_sel:DWORD
	v_cndmask_b32_e32 v19, v19, v1, vcc
; %bb.1600:                             ;   in Loop: Header=BB4_1573 Depth=3
	s_or_b64 exec, exec, s[36:37]
	v_lshlrev_b32_e32 v1, 16, v5
	s_waitcnt vmcnt(0)
	v_lshlrev_b32_e32 v20, 16, v6
	v_max_f32_e32 v20, v20, v20
	v_max_f32_e32 v1, v1, v1
	v_min_f32_e32 v23, v1, v20
	v_max_f32_e32 v1, v1, v20
	v_cndmask_b32_e64 v20, v1, v23, s[30:31]
	v_and_b32_e32 v1, 0x7f800000, v20
	v_cmp_ne_u32_e32 vcc, s91, v1
                                        ; implicit-def: $vgpr1
	s_and_saveexec_b64 s[36:37], vcc
	s_xor_b64 vcc, exec, s[36:37]
; %bb.1601:                             ;   in Loop: Header=BB4_1573 Depth=3
	v_bfe_u32 v1, v20, 16, 1
	v_add3_u32 v1, v20, v1, s92
                                        ; implicit-def: $vgpr20
; %bb.1602:                             ;   in Loop: Header=BB4_1573 Depth=3
	s_andn2_saveexec_b64 s[36:37], vcc
; %bb.1603:                             ;   in Loop: Header=BB4_1573 Depth=3
	v_or_b32_e32 v1, 0x10000, v20
	v_cmp_eq_u32_sdwa vcc, v20, v42 src0_sel:WORD_0 src1_sel:DWORD
	v_cndmask_b32_e32 v1, v1, v20, vcc
; %bb.1604:                             ;   in Loop: Header=BB4_1573 Depth=3
	s_or_b64 exec, exec, s[36:37]
	v_and_b32_e32 v5, 0xffff0000, v5
	v_and_b32_e32 v6, 0xffff0000, v6
	v_max_f32_e32 v6, v6, v6
	v_max_f32_e32 v5, v5, v5
	v_min_f32_e32 v20, v5, v6
	v_max_f32_e32 v5, v5, v6
	v_cndmask_b32_e64 v6, v5, v20, s[30:31]
	v_and_b32_e32 v5, 0x7f800000, v6
	v_cmp_ne_u32_e32 vcc, s91, v5
                                        ; implicit-def: $vgpr5
	s_and_saveexec_b64 s[36:37], vcc
	s_xor_b64 vcc, exec, s[36:37]
; %bb.1605:                             ;   in Loop: Header=BB4_1573 Depth=3
	v_bfe_u32 v5, v6, 16, 1
	v_add3_u32 v5, v6, v5, s92
                                        ; implicit-def: $vgpr6
; %bb.1606:                             ;   in Loop: Header=BB4_1573 Depth=3
	s_andn2_saveexec_b64 s[36:37], vcc
; %bb.1607:                             ;   in Loop: Header=BB4_1573 Depth=3
	v_or_b32_e32 v5, 0x10000, v6
	v_cmp_eq_u32_sdwa vcc, v6, v42 src0_sel:WORD_0 src1_sel:DWORD
	v_cndmask_b32_e32 v5, v5, v6, vcc
; %bb.1608:                             ;   in Loop: Header=BB4_1573 Depth=3
	s_or_b64 exec, exec, s[36:37]
	v_lshrrev_b32_e32 v4, 16, v4
	v_lshrrev_b32_e32 v6, 16, v18
	v_and_or_b32 v20, v17, s93, v4
	v_lshrrev_b32_e32 v4, 16, v22
	v_lshrrev_b32_e32 v1, 16, v1
	v_and_or_b32 v21, v21, s93, v6
	v_and_or_b32 v22, v19, s93, v4
	;; [unrolled: 1-line block ×3, first 2 shown]
	v_accvgpr_read_b32 v1, a37
	buffer_store_dword v21, off, s[0:3], s33 offset:228
	buffer_store_dword v20, off, s[0:3], s33 offset:224
	;; [unrolled: 1-line block ×4, first 2 shown]
	global_store_dwordx4 v[2:3], v[20:23], off glc slc
	v_add_co_u32_e32 v2, vcc, v1, v2
	v_accvgpr_read_b32 v1, a38
	v_addc_co_u32_e32 v3, vcc, v1, v3, vcc
.LBB4_1609:                             ;   in Loop: Header=BB4_1573 Depth=3
	s_or_b64 exec, exec, s[34:35]
	v_accvgpr_read_b32 v4, a28
	v_add_co_u32_e32 v0, vcc, v0, v4
	v_accvgpr_read_b32 v1, a33
	v_addc_co_u32_e32 v9, vcc, v9, v1, vcc
	v_add_co_u32_e32 v8, vcc, v8, v4
	v_sub_u32_e32 v16, v16, v39
	v_addc_co_u32_e32 v11, vcc, v11, v1, vcc
	v_cmp_lt_i32_e64 s[68:69], 15, v16
	s_and_saveexec_b64 s[70:71], s[68:69]
	s_cbranch_execz .LBB4_1612
; %bb.1610:                             ;   in Loop: Header=BB4_1573 Depth=3
	v_lshrrev_b32_e64 v1, 6, s33
	v_add_u32_e32 v1, 0xe0, v1
	s_mov_b64 s[74:75], 0
	s_mov_b64 s[72:73], -1
.LBB4_1611:                             ;   Parent Loop BB4_47 Depth=1
                                        ;     Parent Loop BB4_886 Depth=2
                                        ;       Parent Loop BB4_1573 Depth=3
                                        ; =>      This Inner Loop Header: Depth=4
	s_cmp_eq_u32 s74, 1
	s_cselect_b64 s[34:35], -1, 0
	v_cndmask_b32_e64 v5, v9, v11, s[34:35]
	v_cndmask_b32_e64 v4, v0, v8, s[34:35]
	global_load_dwordx4 v[18:21], v[4:5], off glc slc
	v_add_co_u32_e32 v4, vcc, s78, v4
	s_cmp_eq_u32 s74, 0
	v_addc_co_u32_e32 v5, vcc, 0, v5, vcc
	s_cselect_b64 vcc, -1, 0
	s_and_b64 s[36:37], exec, s[72:73]
	s_mov_b64 s[74:75], 1
	v_cndmask_b32_e64 v8, v8, v4, s[34:35]
	s_mov_b64 s[72:73], 0
	v_cndmask_b32_e32 v9, v9, v5, vcc
	v_cndmask_b32_e32 v0, v0, v4, vcc
	v_cndmask_b32_e64 v11, v11, v5, s[34:35]
	s_mov_b64 vcc, s[36:37]
	s_waitcnt vmcnt(0)
	buffer_store_dword v19, v1, s[0:3], 0 offen offset:4
	buffer_store_dword v18, v1, s[0:3], 0 offen
	buffer_store_dword v21, v1, s[0:3], 0 offen offset:12
	buffer_store_dword v20, v1, s[0:3], 0 offen offset:8
	v_mov_b32_e32 v1, v24
	s_cbranch_vccnz .LBB4_1611
.LBB4_1612:                             ;   in Loop: Header=BB4_1573 Depth=3
	s_or_b64 exec, exec, s[70:71]
	buffer_load_dword v1, off, s[0:3], s33 offset:192
	buffer_load_dword v17, off, s[0:3], s33 offset:208
	;; [unrolled: 1-line block ×8, first 2 shown]
	s_waitcnt vmcnt(7)
	v_lshlrev_b32_e32 v4, 16, v1
	s_waitcnt vmcnt(6)
	v_lshlrev_b32_e32 v18, 16, v17
	v_max_f32_e32 v18, v18, v18
	v_max_f32_e32 v4, v4, v4
	v_min_f32_e32 v23, v4, v18
	v_max_f32_e32 v4, v4, v18
	v_cndmask_b32_e64 v18, v4, v23, s[30:31]
	v_and_b32_e32 v4, 0x7f800000, v18
	v_cmp_ne_u32_e32 vcc, s91, v4
                                        ; implicit-def: $vgpr4
	s_and_saveexec_b64 s[34:35], vcc
	s_xor_b64 vcc, exec, s[34:35]
; %bb.1613:                             ;   in Loop: Header=BB4_1573 Depth=3
	v_bfe_u32 v4, v18, 16, 1
	v_add3_u32 v4, v18, v4, s92
                                        ; implicit-def: $vgpr18
; %bb.1614:                             ;   in Loop: Header=BB4_1573 Depth=3
	s_andn2_saveexec_b64 s[34:35], vcc
; %bb.1615:                             ;   in Loop: Header=BB4_1573 Depth=3
	v_or_b32_e32 v4, 0x10000, v18
	v_cmp_eq_u32_sdwa vcc, v18, v42 src0_sel:WORD_0 src1_sel:DWORD
	v_cndmask_b32_e32 v4, v4, v18, vcc
; %bb.1616:                             ;   in Loop: Header=BB4_1573 Depth=3
	s_or_b64 exec, exec, s[34:35]
	v_and_b32_e32 v1, 0xffff0000, v1
	v_and_b32_e32 v17, 0xffff0000, v17
	v_max_f32_e32 v17, v17, v17
	v_max_f32_e32 v1, v1, v1
	v_min_f32_e32 v18, v1, v17
	v_max_f32_e32 v1, v1, v17
	v_cndmask_b32_e64 v1, v1, v18, s[30:31]
	v_and_b32_e32 v17, 0x7f800000, v1
	v_cmp_ne_u32_e32 vcc, s91, v17
                                        ; implicit-def: $vgpr17
	s_and_saveexec_b64 s[34:35], vcc
	s_xor_b64 vcc, exec, s[34:35]
; %bb.1617:                             ;   in Loop: Header=BB4_1573 Depth=3
	v_bfe_u32 v17, v1, 16, 1
	v_add3_u32 v17, v1, v17, s92
                                        ; implicit-def: $vgpr1
; %bb.1618:                             ;   in Loop: Header=BB4_1573 Depth=3
	s_andn2_saveexec_b64 s[34:35], vcc
; %bb.1619:                             ;   in Loop: Header=BB4_1573 Depth=3
	v_or_b32_e32 v17, 0x10000, v1
	v_cmp_eq_u32_sdwa vcc, v1, v42 src0_sel:WORD_0 src1_sel:DWORD
	v_cndmask_b32_e32 v17, v17, v1, vcc
; %bb.1620:                             ;   in Loop: Header=BB4_1573 Depth=3
	s_or_b64 exec, exec, s[34:35]
	s_waitcnt vmcnt(5)
	v_lshlrev_b32_e32 v1, 16, v21
	s_waitcnt vmcnt(2)
	v_lshlrev_b32_e32 v18, 16, v22
	v_max_f32_e32 v18, v18, v18
	v_max_f32_e32 v1, v1, v1
	v_min_f32_e32 v23, v1, v18
	v_max_f32_e32 v1, v1, v18
	v_cndmask_b32_e64 v1, v1, v23, s[30:31]
	v_and_b32_e32 v18, 0x7f800000, v1
	v_cmp_ne_u32_e32 vcc, s91, v18
                                        ; implicit-def: $vgpr18
	s_and_saveexec_b64 s[34:35], vcc
	s_xor_b64 vcc, exec, s[34:35]
; %bb.1621:                             ;   in Loop: Header=BB4_1573 Depth=3
	v_bfe_u32 v18, v1, 16, 1
	v_add3_u32 v18, v1, v18, s92
                                        ; implicit-def: $vgpr1
; %bb.1622:                             ;   in Loop: Header=BB4_1573 Depth=3
	s_andn2_saveexec_b64 s[34:35], vcc
; %bb.1623:                             ;   in Loop: Header=BB4_1573 Depth=3
	v_or_b32_e32 v18, 0x10000, v1
	v_cmp_eq_u32_sdwa vcc, v1, v42 src0_sel:WORD_0 src1_sel:DWORD
	v_cndmask_b32_e32 v18, v18, v1, vcc
; %bb.1624:                             ;   in Loop: Header=BB4_1573 Depth=3
	s_or_b64 exec, exec, s[34:35]
	v_and_b32_e32 v1, 0xffff0000, v21
	v_and_b32_e32 v21, 0xffff0000, v22
	v_max_f32_e32 v21, v21, v21
	v_max_f32_e32 v1, v1, v1
	v_min_f32_e32 v22, v1, v21
	v_max_f32_e32 v1, v1, v21
	v_cndmask_b32_e64 v1, v1, v22, s[30:31]
	v_and_b32_e32 v21, 0x7f800000, v1
	v_cmp_ne_u32_e32 vcc, s91, v21
                                        ; implicit-def: $vgpr21
	s_and_saveexec_b64 s[34:35], vcc
	s_xor_b64 vcc, exec, s[34:35]
; %bb.1625:                             ;   in Loop: Header=BB4_1573 Depth=3
	v_bfe_u32 v21, v1, 16, 1
	v_add3_u32 v21, v1, v21, s92
                                        ; implicit-def: $vgpr1
; %bb.1626:                             ;   in Loop: Header=BB4_1573 Depth=3
	s_andn2_saveexec_b64 s[34:35], vcc
; %bb.1627:                             ;   in Loop: Header=BB4_1573 Depth=3
	v_or_b32_e32 v21, 0x10000, v1
	v_cmp_eq_u32_sdwa vcc, v1, v42 src0_sel:WORD_0 src1_sel:DWORD
	v_cndmask_b32_e32 v21, v21, v1, vcc
; %bb.1628:                             ;   in Loop: Header=BB4_1573 Depth=3
	s_or_b64 exec, exec, s[34:35]
	v_lshlrev_b32_e32 v1, 16, v19
	s_waitcnt vmcnt(1)
	v_lshlrev_b32_e32 v22, 16, v20
	v_max_f32_e32 v22, v22, v22
	v_max_f32_e32 v1, v1, v1
	v_min_f32_e32 v23, v1, v22
	v_max_f32_e32 v1, v1, v22
	v_cndmask_b32_e64 v1, v1, v23, s[30:31]
	v_and_b32_e32 v22, 0x7f800000, v1
	v_cmp_ne_u32_e32 vcc, s91, v22
                                        ; implicit-def: $vgpr22
	s_and_saveexec_b64 s[34:35], vcc
	s_xor_b64 vcc, exec, s[34:35]
; %bb.1629:                             ;   in Loop: Header=BB4_1573 Depth=3
	v_bfe_u32 v22, v1, 16, 1
	v_add3_u32 v22, v1, v22, s92
                                        ; implicit-def: $vgpr1
; %bb.1630:                             ;   in Loop: Header=BB4_1573 Depth=3
	s_andn2_saveexec_b64 s[34:35], vcc
; %bb.1631:                             ;   in Loop: Header=BB4_1573 Depth=3
	v_or_b32_e32 v22, 0x10000, v1
	v_cmp_eq_u32_sdwa vcc, v1, v42 src0_sel:WORD_0 src1_sel:DWORD
	v_cndmask_b32_e32 v22, v22, v1, vcc
; %bb.1632:                             ;   in Loop: Header=BB4_1573 Depth=3
	s_or_b64 exec, exec, s[34:35]
	v_and_b32_e32 v1, 0xffff0000, v19
	v_and_b32_e32 v19, 0xffff0000, v20
	v_max_f32_e32 v19, v19, v19
	v_max_f32_e32 v1, v1, v1
	v_min_f32_e32 v20, v1, v19
	v_max_f32_e32 v1, v1, v19
	v_cndmask_b32_e64 v1, v1, v20, s[30:31]
	v_and_b32_e32 v19, 0x7f800000, v1
	v_cmp_ne_u32_e32 vcc, s91, v19
                                        ; implicit-def: $vgpr19
	s_and_saveexec_b64 s[34:35], vcc
	s_xor_b64 vcc, exec, s[34:35]
; %bb.1633:                             ;   in Loop: Header=BB4_1573 Depth=3
	v_bfe_u32 v19, v1, 16, 1
	v_add3_u32 v19, v1, v19, s92
                                        ; implicit-def: $vgpr1
; %bb.1634:                             ;   in Loop: Header=BB4_1573 Depth=3
	s_andn2_saveexec_b64 s[34:35], vcc
; %bb.1635:                             ;   in Loop: Header=BB4_1573 Depth=3
	v_or_b32_e32 v19, 0x10000, v1
	v_cmp_eq_u32_sdwa vcc, v1, v42 src0_sel:WORD_0 src1_sel:DWORD
	v_cndmask_b32_e32 v19, v19, v1, vcc
; %bb.1636:                             ;   in Loop: Header=BB4_1573 Depth=3
	s_or_b64 exec, exec, s[34:35]
	v_lshlrev_b32_e32 v1, 16, v5
	s_waitcnt vmcnt(0)
	v_lshlrev_b32_e32 v20, 16, v6
	v_max_f32_e32 v20, v20, v20
	v_max_f32_e32 v1, v1, v1
	v_min_f32_e32 v23, v1, v20
	v_max_f32_e32 v1, v1, v20
	v_cndmask_b32_e64 v20, v1, v23, s[30:31]
	v_and_b32_e32 v1, 0x7f800000, v20
	v_cmp_ne_u32_e32 vcc, s91, v1
                                        ; implicit-def: $vgpr1
	s_and_saveexec_b64 s[34:35], vcc
	s_xor_b64 vcc, exec, s[34:35]
; %bb.1637:                             ;   in Loop: Header=BB4_1573 Depth=3
	v_bfe_u32 v1, v20, 16, 1
	v_add3_u32 v1, v20, v1, s92
                                        ; implicit-def: $vgpr20
; %bb.1638:                             ;   in Loop: Header=BB4_1573 Depth=3
	s_andn2_saveexec_b64 s[34:35], vcc
; %bb.1639:                             ;   in Loop: Header=BB4_1573 Depth=3
	v_or_b32_e32 v1, 0x10000, v20
	v_cmp_eq_u32_sdwa vcc, v20, v42 src0_sel:WORD_0 src1_sel:DWORD
	v_cndmask_b32_e32 v1, v1, v20, vcc
; %bb.1640:                             ;   in Loop: Header=BB4_1573 Depth=3
	s_or_b64 exec, exec, s[34:35]
	v_and_b32_e32 v5, 0xffff0000, v5
	v_and_b32_e32 v6, 0xffff0000, v6
	v_max_f32_e32 v6, v6, v6
	v_max_f32_e32 v5, v5, v5
	v_min_f32_e32 v20, v5, v6
	v_max_f32_e32 v5, v5, v6
	v_cndmask_b32_e64 v6, v5, v20, s[30:31]
	v_and_b32_e32 v5, 0x7f800000, v6
	v_cmp_ne_u32_e32 vcc, s91, v5
                                        ; implicit-def: $vgpr5
	s_and_saveexec_b64 s[34:35], vcc
	s_xor_b64 vcc, exec, s[34:35]
; %bb.1641:                             ;   in Loop: Header=BB4_1573 Depth=3
	v_bfe_u32 v5, v6, 16, 1
	v_add3_u32 v5, v6, v5, s92
                                        ; implicit-def: $vgpr6
; %bb.1642:                             ;   in Loop: Header=BB4_1573 Depth=3
	s_andn2_saveexec_b64 s[34:35], vcc
; %bb.1643:                             ;   in Loop: Header=BB4_1573 Depth=3
	v_or_b32_e32 v5, 0x10000, v6
	v_cmp_eq_u32_sdwa vcc, v6, v42 src0_sel:WORD_0 src1_sel:DWORD
	v_cndmask_b32_e32 v5, v5, v6, vcc
; %bb.1644:                             ;   in Loop: Header=BB4_1573 Depth=3
	s_or_b64 exec, exec, s[34:35]
	v_lshrrev_b32_e32 v4, 16, v4
	v_lshrrev_b32_e32 v6, 16, v18
	v_and_or_b32 v20, v17, s93, v4
	v_lshrrev_b32_e32 v4, 16, v22
	v_lshrrev_b32_e32 v1, 16, v1
	v_and_or_b32 v21, v21, s93, v6
	v_and_or_b32 v22, v19, s93, v4
	;; [unrolled: 1-line block ×3, first 2 shown]
	buffer_store_dword v21, off, s[0:3], s33 offset:196
	buffer_store_dword v20, off, s[0:3], s33 offset:192
	;; [unrolled: 1-line block ×4, first 2 shown]
	global_store_dwordx4 v[2:3], v[20:23], off glc slc
	v_add_co_u32_e32 v2, vcc, 0x400, v2
	v_sub_u32_e32 v15, v15, v28
	v_addc_co_u32_e32 v3, vcc, 0, v3, vcc
	s_and_saveexec_b64 s[34:35], s[68:69]
	s_cbranch_execz .LBB4_1572
; %bb.1645:                             ;   in Loop: Header=BB4_1573 Depth=3
	v_accvgpr_read_b32 v4, a28
	v_add_co_u32_e32 v0, vcc, v0, v4
	v_accvgpr_read_b32 v1, a33
	v_addc_co_u32_e32 v9, vcc, v9, v1, vcc
	v_add_co_u32_e32 v8, vcc, v8, v4
	v_addc_co_u32_e32 v11, vcc, v11, v1, vcc
	v_add_co_u32_e32 v2, vcc, v2, v4
	v_addc_co_u32_e32 v3, vcc, v3, v1, vcc
	v_sub_u32_e32 v16, v16, v39
	v_sub_u32_e32 v15, v15, v28
	s_branch .LBB4_1572
.LBB4_1646:                             ;   in Loop: Header=BB4_886 Depth=2
	s_or_b64 exec, exec, s[64:65]
	s_and_b64 s[30:31], s[66:67], exec
.LBB4_1647:                             ;   in Loop: Header=BB4_886 Depth=2
	s_or_b64 exec, exec, s[62:63]
	s_mov_b64 s[34:35], exec
	s_and_b64 vcc, s[34:35], s[30:31]
	v_accvgpr_read_b32 v22, a0
	s_mov_b64 exec, vcc
	s_cbranch_execz .LBB4_1681
; %bb.1648:                             ;   in Loop: Header=BB4_886 Depth=2
	buffer_load_dword v1, off, s[0:3], s33 offset:224
	buffer_load_dword v6, off, s[0:3], s33 offset:240
	;; [unrolled: 1-line block ×8, first 2 shown]
	s_waitcnt vmcnt(0)
	v_lshlrev_b32_e32 v0, 16, v1
	v_lshlrev_b32_e32 v8, 16, v6
	v_max_f32_e32 v8, v8, v8
	v_max_f32_e32 v0, v0, v0
	v_min_f32_e32 v18, v0, v8
	v_max_f32_e32 v0, v0, v8
	v_accvgpr_read_b32 v8, a1
	v_cmp_eq_u16_e32 vcc, 0, v8
	v_cndmask_b32_e32 v8, v0, v18, vcc
	v_and_b32_e32 v0, 0x7f800000, v8
	v_cmp_ne_u32_e64 s[30:31], s91, v0
                                        ; implicit-def: $vgpr0
	s_and_saveexec_b64 s[36:37], s[30:31]
	s_xor_b64 s[30:31], exec, s[36:37]
; %bb.1649:                             ;   in Loop: Header=BB4_886 Depth=2
	v_bfe_u32 v0, v8, 16, 1
	v_add3_u32 v0, v8, v0, s92
                                        ; implicit-def: $vgpr8
; %bb.1650:                             ;   in Loop: Header=BB4_886 Depth=2
	s_andn2_saveexec_b64 s[36:37], s[30:31]
; %bb.1651:                             ;   in Loop: Header=BB4_886 Depth=2
	v_or_b32_e32 v0, 0x10000, v8
	v_cmp_eq_u32_sdwa s[30:31], v8, v42 src0_sel:WORD_0 src1_sel:DWORD
	v_cndmask_b32_e64 v0, v0, v8, s[30:31]
; %bb.1652:                             ;   in Loop: Header=BB4_886 Depth=2
	s_or_b64 exec, exec, s[36:37]
	v_and_b32_e32 v1, 0xffff0000, v1
	v_and_b32_e32 v6, 0xffff0000, v6
	v_max_f32_e32 v6, v6, v6
	v_max_f32_e32 v1, v1, v1
	v_min_f32_e32 v8, v1, v6
	v_max_f32_e32 v1, v1, v6
	v_cndmask_b32_e32 v1, v1, v8, vcc
	v_and_b32_e32 v6, 0x7f800000, v1
	v_cmp_ne_u32_e64 s[30:31], s91, v6
                                        ; implicit-def: $vgpr6
	s_and_saveexec_b64 s[36:37], s[30:31]
	s_xor_b64 s[30:31], exec, s[36:37]
; %bb.1653:                             ;   in Loop: Header=BB4_886 Depth=2
	v_bfe_u32 v6, v1, 16, 1
	v_add3_u32 v6, v1, v6, s92
                                        ; implicit-def: $vgpr1
; %bb.1654:                             ;   in Loop: Header=BB4_886 Depth=2
	s_andn2_saveexec_b64 s[36:37], s[30:31]
; %bb.1655:                             ;   in Loop: Header=BB4_886 Depth=2
	v_or_b32_e32 v6, 0x10000, v1
	v_cmp_eq_u32_sdwa s[30:31], v1, v42 src0_sel:WORD_0 src1_sel:DWORD
	v_cndmask_b32_e64 v6, v6, v1, s[30:31]
; %bb.1656:                             ;   in Loop: Header=BB4_886 Depth=2
	s_or_b64 exec, exec, s[36:37]
	v_lshlrev_b32_e32 v1, 16, v16
	v_lshlrev_b32_e32 v8, 16, v17
	v_max_f32_e32 v8, v8, v8
	v_max_f32_e32 v1, v1, v1
	v_min_f32_e32 v18, v1, v8
	v_max_f32_e32 v1, v1, v8
	v_cndmask_b32_e32 v1, v1, v18, vcc
	v_and_b32_e32 v8, 0x7f800000, v1
	v_cmp_ne_u32_e64 s[30:31], s91, v8
                                        ; implicit-def: $vgpr8
	s_and_saveexec_b64 s[36:37], s[30:31]
	s_xor_b64 s[30:31], exec, s[36:37]
; %bb.1657:                             ;   in Loop: Header=BB4_886 Depth=2
	v_bfe_u32 v8, v1, 16, 1
	v_add3_u32 v8, v1, v8, s92
                                        ; implicit-def: $vgpr1
; %bb.1658:                             ;   in Loop: Header=BB4_886 Depth=2
	s_andn2_saveexec_b64 s[36:37], s[30:31]
; %bb.1659:                             ;   in Loop: Header=BB4_886 Depth=2
	v_or_b32_e32 v8, 0x10000, v1
	v_cmp_eq_u32_sdwa s[30:31], v1, v42 src0_sel:WORD_0 src1_sel:DWORD
	v_cndmask_b32_e64 v8, v8, v1, s[30:31]
; %bb.1660:                             ;   in Loop: Header=BB4_886 Depth=2
	s_or_b64 exec, exec, s[36:37]
	v_and_b32_e32 v1, 0xffff0000, v16
	v_and_b32_e32 v16, 0xffff0000, v17
	v_max_f32_e32 v16, v16, v16
	v_max_f32_e32 v1, v1, v1
	v_min_f32_e32 v17, v1, v16
	v_max_f32_e32 v1, v1, v16
	v_cndmask_b32_e32 v1, v1, v17, vcc
	v_and_b32_e32 v16, 0x7f800000, v1
	v_cmp_ne_u32_e64 s[30:31], s91, v16
                                        ; implicit-def: $vgpr16
	s_and_saveexec_b64 s[36:37], s[30:31]
	s_xor_b64 s[30:31], exec, s[36:37]
; %bb.1661:                             ;   in Loop: Header=BB4_886 Depth=2
	v_bfe_u32 v16, v1, 16, 1
	v_add3_u32 v16, v1, v16, s92
                                        ; implicit-def: $vgpr1
; %bb.1662:                             ;   in Loop: Header=BB4_886 Depth=2
	s_andn2_saveexec_b64 s[36:37], s[30:31]
; %bb.1663:                             ;   in Loop: Header=BB4_886 Depth=2
	v_or_b32_e32 v16, 0x10000, v1
	v_cmp_eq_u32_sdwa s[30:31], v1, v42 src0_sel:WORD_0 src1_sel:DWORD
	v_cndmask_b32_e64 v16, v16, v1, s[30:31]
; %bb.1664:                             ;   in Loop: Header=BB4_886 Depth=2
	s_or_b64 exec, exec, s[36:37]
	v_lshlrev_b32_e32 v1, 16, v9
	v_lshlrev_b32_e32 v17, 16, v11
	v_max_f32_e32 v17, v17, v17
	v_max_f32_e32 v1, v1, v1
	v_min_f32_e32 v18, v1, v17
	v_max_f32_e32 v1, v1, v17
	v_cndmask_b32_e32 v1, v1, v18, vcc
	v_and_b32_e32 v17, 0x7f800000, v1
	v_cmp_ne_u32_e64 s[30:31], s91, v17
                                        ; implicit-def: $vgpr17
	s_and_saveexec_b64 s[36:37], s[30:31]
	s_xor_b64 s[30:31], exec, s[36:37]
; %bb.1665:                             ;   in Loop: Header=BB4_886 Depth=2
	v_bfe_u32 v17, v1, 16, 1
	v_add3_u32 v17, v1, v17, s92
                                        ; implicit-def: $vgpr1
; %bb.1666:                             ;   in Loop: Header=BB4_886 Depth=2
	s_andn2_saveexec_b64 s[36:37], s[30:31]
; %bb.1667:                             ;   in Loop: Header=BB4_886 Depth=2
	v_or_b32_e32 v17, 0x10000, v1
	v_cmp_eq_u32_sdwa s[30:31], v1, v42 src0_sel:WORD_0 src1_sel:DWORD
	v_cndmask_b32_e64 v17, v17, v1, s[30:31]
; %bb.1668:                             ;   in Loop: Header=BB4_886 Depth=2
	s_or_b64 exec, exec, s[36:37]
	v_and_b32_e32 v1, 0xffff0000, v9
	v_and_b32_e32 v9, 0xffff0000, v11
	v_max_f32_e32 v9, v9, v9
	v_max_f32_e32 v1, v1, v1
	v_min_f32_e32 v11, v1, v9
	v_max_f32_e32 v1, v1, v9
	v_cndmask_b32_e32 v1, v1, v11, vcc
	v_and_b32_e32 v9, 0x7f800000, v1
	v_cmp_ne_u32_e64 s[30:31], s91, v9
                                        ; implicit-def: $vgpr9
	s_and_saveexec_b64 s[36:37], s[30:31]
	s_xor_b64 s[30:31], exec, s[36:37]
; %bb.1669:                             ;   in Loop: Header=BB4_886 Depth=2
	v_bfe_u32 v9, v1, 16, 1
	v_add3_u32 v9, v1, v9, s92
                                        ; implicit-def: $vgpr1
; %bb.1670:                             ;   in Loop: Header=BB4_886 Depth=2
	s_andn2_saveexec_b64 s[36:37], s[30:31]
; %bb.1671:                             ;   in Loop: Header=BB4_886 Depth=2
	v_or_b32_e32 v9, 0x10000, v1
	v_cmp_eq_u32_sdwa s[30:31], v1, v42 src0_sel:WORD_0 src1_sel:DWORD
	v_cndmask_b32_e64 v9, v9, v1, s[30:31]
; %bb.1672:                             ;   in Loop: Header=BB4_886 Depth=2
	s_or_b64 exec, exec, s[36:37]
	v_lshlrev_b32_e32 v1, 16, v4
	v_lshlrev_b32_e32 v11, 16, v5
	v_max_f32_e32 v11, v11, v11
	v_max_f32_e32 v1, v1, v1
	v_min_f32_e32 v18, v1, v11
	v_max_f32_e32 v1, v1, v11
	v_cndmask_b32_e32 v11, v1, v18, vcc
	v_and_b32_e32 v1, 0x7f800000, v11
	v_cmp_ne_u32_e64 s[30:31], s91, v1
                                        ; implicit-def: $vgpr1
	s_and_saveexec_b64 s[36:37], s[30:31]
	s_xor_b64 s[30:31], exec, s[36:37]
; %bb.1673:                             ;   in Loop: Header=BB4_886 Depth=2
	v_bfe_u32 v1, v11, 16, 1
	v_add3_u32 v1, v11, v1, s92
                                        ; implicit-def: $vgpr11
; %bb.1674:                             ;   in Loop: Header=BB4_886 Depth=2
	s_andn2_saveexec_b64 s[36:37], s[30:31]
; %bb.1675:                             ;   in Loop: Header=BB4_886 Depth=2
	v_or_b32_e32 v1, 0x10000, v11
	v_cmp_eq_u32_sdwa s[30:31], v11, v42 src0_sel:WORD_0 src1_sel:DWORD
	v_cndmask_b32_e64 v1, v1, v11, s[30:31]
; %bb.1676:                             ;   in Loop: Header=BB4_886 Depth=2
	s_or_b64 exec, exec, s[36:37]
	v_and_b32_e32 v4, 0xffff0000, v4
	v_and_b32_e32 v5, 0xffff0000, v5
	v_max_f32_e32 v5, v5, v5
	v_max_f32_e32 v4, v4, v4
	v_min_f32_e32 v11, v4, v5
	v_max_f32_e32 v4, v4, v5
	v_cndmask_b32_e32 v5, v4, v11, vcc
	v_and_b32_e32 v4, 0x7f800000, v5
	v_cmp_ne_u32_e32 vcc, s91, v4
                                        ; implicit-def: $vgpr4
	s_and_saveexec_b64 s[30:31], vcc
	s_xor_b64 vcc, exec, s[30:31]
; %bb.1677:                             ;   in Loop: Header=BB4_886 Depth=2
	v_bfe_u32 v4, v5, 16, 1
	v_add3_u32 v4, v5, v4, s92
                                        ; implicit-def: $vgpr5
; %bb.1678:                             ;   in Loop: Header=BB4_886 Depth=2
	s_andn2_saveexec_b64 s[30:31], vcc
; %bb.1679:                             ;   in Loop: Header=BB4_886 Depth=2
	v_or_b32_e32 v4, 0x10000, v5
	v_cmp_eq_u32_sdwa vcc, v5, v42 src0_sel:WORD_0 src1_sel:DWORD
	v_cndmask_b32_e32 v4, v4, v5, vcc
; %bb.1680:                             ;   in Loop: Header=BB4_886 Depth=2
	s_or_b64 exec, exec, s[30:31]
	v_lshrrev_b32_e32 v0, 16, v0
	v_and_or_b32 v18, v6, s93, v0
	v_lshrrev_b32_e32 v0, 16, v17
	v_lshrrev_b32_e32 v5, 16, v8
	v_and_or_b32 v20, v9, s93, v0
	v_lshrrev_b32_e32 v0, 16, v1
	v_and_or_b32 v19, v16, s93, v5
	v_and_or_b32 v21, v4, s93, v0
	global_store_dwordx4 v[2:3], v[18:21], off glc slc
.LBB4_1681:                             ;   in Loop: Header=BB4_886 Depth=2
	s_or_b64 exec, exec, s[34:35]
	v_and_b32_e32 v0, 14, v22
	v_cndmask_b32_e64 v1, v14, v0, s[28:29]
	v_accvgpr_write_b32 a0, v1
	v_cmp_ne_u32_e32 vcc, 0, v1
	s_mov_b64 s[30:31], s[58:59]
                                        ; implicit-def: $vgpr16
                                        ; implicit-def: $vgpr17
                                        ; implicit-def: $vgpr4
	s_and_saveexec_b64 s[34:35], vcc
	s_cbranch_execz .LBB4_1683
; %bb.1682:                             ;   in Loop: Header=BB4_886 Depth=2
	v_sub_u32_e32 v0, v14, v0
	v_cndmask_b32_e64 v0, 0, v0, s[28:29]
	v_cmp_lt_i32_e32 vcc, 0, v15
	v_add3_u32 v16, v13, v10, v0
	v_cndmask_b32_e32 v0, 0, v28, vcc
	v_sub_u32_e32 v0, v0, v15
	v_lshl_add_u32 v0, v0, 6, v12
	v_ashrrev_i32_e32 v1, 31, v0
	v_lshrrev_b32_e32 v1, 26, v1
	v_add_u32_e32 v1, v0, v1
	v_ashrrev_i32_e32 v4, 6, v1
	v_and_b32_e32 v1, 0xffffffc0, v1
	v_sub_u32_e32 v17, v0, v1
	s_or_b64 s[30:31], s[58:59], exec
.LBB4_1683:                             ;   in Loop: Header=BB4_886 Depth=2
	s_or_b64 exec, exec, s[34:35]
	s_andn2_b64 s[28:29], s[58:59], exec
	s_and_b64 vcc, s[30:31], exec
	s_or_b64 s[58:59], s[28:29], vcc
	v_accvgpr_read_b32 v12, a1
.LBB4_1684:                             ;   in Loop: Header=BB4_886 Depth=2
	s_or_b64 exec, exec, s[60:61]
	v_accvgpr_read_b32 v53, a17
	v_accvgpr_read_b32 v55, a23
	;; [unrolled: 1-line block ×6, first 2 shown]
	s_and_saveexec_b64 s[36:37], s[58:59]
	s_cbranch_execz .LBB4_1746
.LBB4_1685:                             ;   in Loop: Header=BB4_886 Depth=2
	v_lshlrev_b32_e32 v0, 8, v4
	v_lshlrev_b32_e32 v1, 1, v17
	v_accvgpr_read_b32 v2, a0
	v_add3_u32 v0, v16, v1, v0
	v_ashrrev_i32_e32 v1, 31, v2
	v_add_u32_sdwa v1, v2, v1 dst_sel:DWORD dst_unused:UNUSED_PAD src0_sel:DWORD src1_sel:BYTE_3
	s_trap 2
	ds_read_b64 v[2:3], v0
	v_ashrrev_i32_e32 v13, 8, v1
	v_ashrrev_i32_e32 v11, 31, v0
	v_sub_u32_e32 v6, v13, v4
	s_mov_b64 s[28:29], 0
	s_waitcnt lgkmcnt(0)
	v_add_co_u32_e32 v4, vcc, v2, v0
	v_addc_co_u32_e32 v5, vcc, v3, v11, vcc
	v_cmp_lt_i32_e32 vcc, 0, v6
	v_mov_b32_e32 v9, 0
	v_mov_b32_e32 v1, 0
	;; [unrolled: 1-line block ×4, first 2 shown]
	s_and_saveexec_b64 s[30:31], vcc
	s_cbranch_execz .LBB4_1709
; %bb.1686:                             ;   in Loop: Header=BB4_886 Depth=2
	s_trap 2
	ds_read_b128 v[18:21], v0
	v_cmp_eq_u16_sdwa s[28:29], v12, v42 src0_sel:BYTE_0 src1_sel:DWORD
	s_mov_b64 s[60:61], 0
	s_mov_b64 s[58:59], 0
                                        ; implicit-def: $sgpr34_sgpr35
                                        ; implicit-def: $vgpr15
                                        ; implicit-def: $vgpr14
	s_waitcnt lgkmcnt(0)
	v_add_co_u32_e32 v8, vcc, v18, v0
	v_addc_co_u32_e32 v9, vcc, v19, v11, vcc
	v_add_co_u32_e32 v10, vcc, v20, v0
	v_addc_co_u32_e32 v11, vcc, v21, v11, vcc
                                        ; implicit-def: $vgpr18
                                        ; implicit-def: $vgpr0
	s_branch .LBB4_1688
.LBB4_1687:                             ;   in Loop: Header=BB4_1688 Depth=3
	s_or_b64 exec, exec, s[62:63]
	flat_store_short_d16_hi v[4:5], v1 glc slc
	flat_store_short_d16_hi v[4:5], v20 offset:128 glc slc
	v_accvgpr_read_b32 v20, a48
	v_add_co_u32_e32 v1, vcc, v8, v20
	v_accvgpr_read_b32 v21, a49
	v_addc_co_u32_e32 v19, vcc, v9, v21, vcc
	v_add_co_u32_e32 v20, vcc, v10, v20
	v_accvgpr_read_b32 v23, a50
	v_mov_b32_e32 v24, 0x100
	v_addc_co_u32_e32 v21, vcc, v11, v21, vcc
	v_accvgpr_read_b32 v22, a51
	v_cndmask_b32_e64 v23, v24, v23, s[60:61]
	v_cndmask_b32_e64 v22, 0, v22, s[60:61]
	v_add_co_u32_e32 v4, vcc, v4, v23
	v_cndmask_b32_e64 v8, v8, v1, s[60:61]
	v_cndmask_b32_e64 v1, 0, v28, s[60:61]
	v_addc_co_u32_e32 v5, vcc, v5, v22, vcc
	v_sub_u32_e32 v6, v6, v1
	v_cmp_gt_i32_e32 vcc, 1, v6
	s_or_b64 s[58:59], vcc, s[58:59]
	s_andn2_b64 vcc, s[34:35], exec
	s_and_b64 s[34:35], s[60:61], exec
	v_cndmask_b32_e64 v9, v9, v19, s[60:61]
	v_cndmask_b32_e64 v11, v11, v21, s[60:61]
	;; [unrolled: 1-line block ×3, first 2 shown]
	s_or_b64 s[34:35], vcc, s[34:35]
	s_andn2_b64 exec, exec, s[58:59]
	s_cbranch_execz .LBB4_1708
.LBB4_1688:                             ;   Parent Loop BB4_47 Depth=1
                                        ;     Parent Loop BB4_886 Depth=2
                                        ; =>    This Inner Loop Header: Depth=3
	flat_load_ushort v21, v[8:9] glc slc
	flat_load_ushort v19, v[8:9] offset:128 glc slc
	flat_load_ushort v22, v[10:11] glc slc
	flat_load_ushort v20, v[10:11] offset:128 glc slc
	s_and_saveexec_b64 s[62:63], s[60:61]
	s_cbranch_execz .LBB4_1698
; %bb.1689:                             ;   in Loop: Header=BB4_1688 Depth=3
	v_lshlrev_b32_e32 v1, 16, v18
	v_lshlrev_b32_e32 v18, 16, v0
	v_max_f32_e32 v18, v18, v18
	v_max_f32_e32 v1, v1, v1
	v_min_f32_e32 v23, v1, v18
	v_max_f32_e32 v1, v1, v18
	v_cndmask_b32_e64 v18, v1, v23, s[28:29]
	v_and_b32_e32 v1, 0x7f800000, v18
	v_cmp_ne_u32_e32 vcc, s91, v1
                                        ; implicit-def: $vgpr1
	s_and_saveexec_b64 s[60:61], vcc
	s_xor_b64 vcc, exec, s[60:61]
; %bb.1690:                             ;   in Loop: Header=BB4_1688 Depth=3
	v_bfe_u32 v1, v18, 16, 1
	v_add3_u32 v1, v18, v1, s92
                                        ; implicit-def: $vgpr18
; %bb.1691:                             ;   in Loop: Header=BB4_1688 Depth=3
	s_andn2_saveexec_b64 s[60:61], vcc
; %bb.1692:                             ;   in Loop: Header=BB4_1688 Depth=3
	v_or_b32_e32 v1, 0x10000, v18
	v_cmp_eq_u32_sdwa vcc, v18, v42 src0_sel:WORD_0 src1_sel:DWORD
	v_cndmask_b32_e32 v1, v1, v18, vcc
; %bb.1693:                             ;   in Loop: Header=BB4_1688 Depth=3
	s_or_b64 exec, exec, s[60:61]
	v_lshlrev_b32_e32 v15, 16, v15
	v_lshlrev_b32_e32 v18, 16, v14
	v_max_f32_e32 v18, v18, v18
	v_max_f32_e32 v15, v15, v15
	v_min_f32_e32 v23, v15, v18
	v_max_f32_e32 v15, v15, v18
	v_cndmask_b32_e64 v15, v15, v23, s[28:29]
	v_and_b32_e32 v18, 0x7f800000, v15
	v_cmp_ne_u32_e32 vcc, s91, v18
                                        ; implicit-def: $vgpr23
	s_and_saveexec_b64 s[60:61], vcc
	s_xor_b64 vcc, exec, s[60:61]
; %bb.1694:                             ;   in Loop: Header=BB4_1688 Depth=3
	v_bfe_u32 v18, v15, 16, 1
	v_add3_u32 v23, v15, v18, s92
                                        ; implicit-def: $vgpr15
; %bb.1695:                             ;   in Loop: Header=BB4_1688 Depth=3
	s_andn2_saveexec_b64 s[60:61], vcc
; %bb.1696:                             ;   in Loop: Header=BB4_1688 Depth=3
	v_or_b32_e32 v18, 0x10000, v15
	v_cmp_eq_u32_sdwa vcc, v15, v42 src0_sel:WORD_0 src1_sel:DWORD
	v_cndmask_b32_e32 v23, v18, v15, vcc
; %bb.1697:                             ;   in Loop: Header=BB4_1688 Depth=3
	s_or_b64 exec, exec, s[60:61]
	v_lshrrev_b32_e32 v18, 16, v1
	v_accvgpr_read_b32 v1, a50
	v_lshrrev_b32_e32 v15, 16, v23
	flat_store_short v[4:5], v18 glc slc
	flat_store_short v[4:5], v15 offset:128 glc slc
	v_add_co_u32_e32 v4, vcc, v4, v1
	v_accvgpr_read_b32 v1, a51
	v_addc_co_u32_e32 v5, vcc, v5, v1, vcc
.LBB4_1698:                             ;   in Loop: Header=BB4_1688 Depth=3
	s_or_b64 exec, exec, s[62:63]
	v_accvgpr_read_b32 v1, a50
	v_add_co_u32_e32 v8, vcc, v8, v1
	v_accvgpr_read_b32 v23, a51
	v_addc_co_u32_e32 v9, vcc, v9, v23, vcc
	v_add_co_u32_e32 v10, vcc, v10, v1
	v_sub_u32_e32 v6, v6, v28
	v_addc_co_u32_e32 v11, vcc, v11, v23, vcc
	v_cmp_lt_i32_e64 s[60:61], 0, v6
	s_and_saveexec_b64 s[62:63], s[60:61]
	s_cbranch_execz .LBB4_1700
; %bb.1699:                             ;   in Loop: Header=BB4_1688 Depth=3
	flat_load_ushort v18, v[8:9] glc slc
	flat_load_ushort v15, v[8:9] offset:128 glc slc
	flat_load_ushort v0, v[10:11] glc slc
	flat_load_ushort v14, v[10:11] offset:128 glc slc
	v_add_co_u32_e32 v8, vcc, 0x100, v8
	v_addc_co_u32_e32 v9, vcc, 0, v9, vcc
	v_add_co_u32_e32 v10, vcc, 0x100, v10
	v_addc_co_u32_e32 v11, vcc, 0, v11, vcc
.LBB4_1700:                             ;   in Loop: Header=BB4_1688 Depth=3
	s_or_b64 exec, exec, s[62:63]
	s_waitcnt vmcnt(0) lgkmcnt(0)
	v_lshlrev_b32_e32 v1, 16, v21
	v_lshlrev_b32_e32 v21, 16, v22
	v_max_f32_e32 v21, v21, v21
	v_max_f32_e32 v1, v1, v1
	v_min_f32_e32 v22, v1, v21
	v_max_f32_e32 v1, v1, v21
	v_cndmask_b32_e64 v21, v1, v22, s[28:29]
	v_and_b32_e32 v1, 0x7f800000, v21
	v_cmp_ne_u32_e32 vcc, s91, v1
                                        ; implicit-def: $vgpr1
	s_and_saveexec_b64 s[62:63], vcc
	s_xor_b64 vcc, exec, s[62:63]
; %bb.1701:                             ;   in Loop: Header=BB4_1688 Depth=3
	v_bfe_u32 v1, v21, 16, 1
	v_add3_u32 v1, v21, v1, s92
                                        ; implicit-def: $vgpr21
; %bb.1702:                             ;   in Loop: Header=BB4_1688 Depth=3
	s_andn2_saveexec_b64 s[62:63], vcc
; %bb.1703:                             ;   in Loop: Header=BB4_1688 Depth=3
	v_or_b32_e32 v1, 0x10000, v21
	v_cmp_eq_u32_sdwa vcc, v21, v42 src0_sel:WORD_0 src1_sel:DWORD
	v_cndmask_b32_e32 v1, v1, v21, vcc
; %bb.1704:                             ;   in Loop: Header=BB4_1688 Depth=3
	s_or_b64 exec, exec, s[62:63]
	v_lshlrev_b32_e32 v19, 16, v19
	v_lshlrev_b32_e32 v20, 16, v20
	v_max_f32_e32 v20, v20, v20
	v_max_f32_e32 v19, v19, v19
	v_min_f32_e32 v21, v19, v20
	v_max_f32_e32 v19, v19, v20
	v_cndmask_b32_e64 v19, v19, v21, s[28:29]
	v_and_b32_e32 v20, 0x7f800000, v19
	v_cmp_ne_u32_e32 vcc, s91, v20
                                        ; implicit-def: $vgpr20
	s_and_saveexec_b64 s[62:63], vcc
	s_xor_b64 vcc, exec, s[62:63]
; %bb.1705:                             ;   in Loop: Header=BB4_1688 Depth=3
	v_bfe_u32 v20, v19, 16, 1
	v_add3_u32 v20, v19, v20, s92
                                        ; implicit-def: $vgpr19
; %bb.1706:                             ;   in Loop: Header=BB4_1688 Depth=3
	s_andn2_saveexec_b64 s[62:63], vcc
	s_cbranch_execz .LBB4_1687
; %bb.1707:                             ;   in Loop: Header=BB4_1688 Depth=3
	v_or_b32_e32 v20, 0x10000, v19
	v_cmp_eq_u32_sdwa vcc, v19, v42 src0_sel:WORD_0 src1_sel:DWORD
	v_cndmask_b32_e32 v20, v20, v19, vcc
	s_branch .LBB4_1687
.LBB4_1708:                             ;   in Loop: Header=BB4_886 Depth=2
	s_or_b64 exec, exec, s[58:59]
	v_lshlrev_b32_e32 v9, 16, v18
	v_lshlrev_b32_e32 v10, 16, v0
	v_lshlrev_b32_e32 v1, 16, v15
	v_lshlrev_b32_e32 v8, 16, v14
	s_and_b64 s[28:29], s[34:35], exec
.LBB4_1709:                             ;   in Loop: Header=BB4_886 Depth=2
	s_or_b64 exec, exec, s[30:31]
	s_and_saveexec_b64 s[30:31], s[28:29]
	s_cbranch_execz .LBB4_1719
; %bb.1710:                             ;   in Loop: Header=BB4_886 Depth=2
	v_max_f32_e32 v0, v10, v10
	v_max_f32_e32 v9, v9, v9
	v_min_f32_e32 v10, v9, v0
	v_max_f32_e32 v0, v9, v0
	v_cmp_eq_u16_sdwa vcc, v12, v42 src0_sel:BYTE_0 src1_sel:DWORD
	v_cndmask_b32_e32 v9, v0, v10, vcc
	v_and_b32_e32 v0, 0x7f800000, v9
	v_cmp_ne_u32_e64 s[28:29], s91, v0
                                        ; implicit-def: $vgpr0
	s_and_saveexec_b64 s[34:35], s[28:29]
	s_xor_b64 s[28:29], exec, s[34:35]
; %bb.1711:                             ;   in Loop: Header=BB4_886 Depth=2
	v_bfe_u32 v0, v9, 16, 1
	v_add3_u32 v0, v9, v0, s92
                                        ; implicit-def: $vgpr9
; %bb.1712:                             ;   in Loop: Header=BB4_886 Depth=2
	s_andn2_saveexec_b64 s[34:35], s[28:29]
; %bb.1713:                             ;   in Loop: Header=BB4_886 Depth=2
	v_or_b32_e32 v0, 0x10000, v9
	v_cmp_eq_u32_sdwa s[28:29], v9, v42 src0_sel:WORD_0 src1_sel:DWORD
	v_cndmask_b32_e64 v0, v0, v9, s[28:29]
; %bb.1714:                             ;   in Loop: Header=BB4_886 Depth=2
	s_or_b64 exec, exec, s[34:35]
	v_max_f32_e32 v8, v8, v8
	v_max_f32_e32 v1, v1, v1
	v_min_f32_e32 v9, v1, v8
	v_max_f32_e32 v1, v1, v8
	v_cndmask_b32_e32 v1, v1, v9, vcc
	v_and_b32_e32 v8, 0x7f800000, v1
	v_cmp_ne_u32_e32 vcc, s91, v8
                                        ; implicit-def: $vgpr8
	s_and_saveexec_b64 s[28:29], vcc
	s_xor_b64 s[28:29], exec, s[28:29]
; %bb.1715:                             ;   in Loop: Header=BB4_886 Depth=2
	v_bfe_u32 v8, v1, 16, 1
	v_add3_u32 v8, v1, v8, s92
                                        ; implicit-def: $vgpr1
; %bb.1716:                             ;   in Loop: Header=BB4_886 Depth=2
	s_andn2_saveexec_b64 s[28:29], s[28:29]
; %bb.1717:                             ;   in Loop: Header=BB4_886 Depth=2
	v_or_b32_e32 v8, 0x10000, v1
	v_cmp_eq_u32_sdwa vcc, v1, v42 src0_sel:WORD_0 src1_sel:DWORD
	v_cndmask_b32_e32 v8, v8, v1, vcc
; %bb.1718:                             ;   in Loop: Header=BB4_886 Depth=2
	s_or_b64 exec, exec, s[28:29]
	flat_store_short_d16_hi v[4:5], v0 glc slc
	flat_store_short_d16_hi v[4:5], v8 offset:128 glc slc
.LBB4_1719:                             ;   in Loop: Header=BB4_886 Depth=2
	s_or_b64 exec, exec, s[30:31]
	v_lshlrev_b32_e32 v0, 8, v13
	v_accvgpr_read_b32 v9, a0
	v_cmp_ne_u32_e32 vcc, v9, v0
	s_and_saveexec_b64 s[58:59], vcc
	s_cbranch_execz .LBB4_1745
; %bb.1720:                             ;   in Loop: Header=BB4_886 Depth=2
	v_lshlrev_b32_e32 v1, 6, v6
	v_sub_u32_e32 v1, v17, v1
	v_ashrrev_i32_e32 v4, 31, v1
	v_lshrrev_b32_e32 v4, 26, v4
	v_add_u32_e32 v4, v1, v4
	v_and_b32_e32 v5, 0x7fffffc0, v4
	v_sub_u32_e32 v1, v1, v5
	v_lshlrev_b32_e32 v4, 1, v4
	v_and_b32_e32 v4, 0xffffff80, v4
	v_lshlrev_b32_e32 v1, 1, v1
	v_add3_u32 v0, v4, v1, v0
	v_add_u32_e32 v8, v0, v16
	v_ashrrev_i32_e32 v11, 31, v8
	v_add_co_u32_e32 v4, vcc, v8, v2
	v_sub_u32_e32 v6, v9, v0
	v_addc_co_u32_e32 v5, vcc, v11, v3, vcc
	v_cmp_lt_i32_e32 vcc, 1, v6
	s_mov_b64 s[28:29], 0
	s_and_saveexec_b64 s[60:61], vcc
	s_cbranch_execz .LBB4_1739
; %bb.1721:                             ;   in Loop: Header=BB4_886 Depth=2
	s_trap 2
	ds_read_b128 v[0:3], v0
	v_accvgpr_read_b32 v16, a30
	v_cmp_eq_u16_sdwa s[28:29], v12, v42 src0_sel:BYTE_0 src1_sel:DWORD
	s_mov_b64 s[66:67], 0
	s_mov_b64 s[62:63], 0
	s_waitcnt lgkmcnt(0)
	v_add_co_u32_e32 v0, vcc, v0, v8
	v_addc_co_u32_e32 v9, vcc, v1, v11, vcc
	v_add_co_u32_e32 v2, vcc, v2, v8
	v_addc_co_u32_e32 v3, vcc, v3, v11, vcc
	v_accvgpr_read_b32 v17, a31
                                        ; implicit-def: $sgpr64_sgpr65
	s_branch .LBB4_1723
.LBB4_1722:                             ;   in Loop: Header=BB4_1723 Depth=3
	s_or_b64 exec, exec, s[30:31]
	v_lshrrev_b32_e32 v1, 16, v8
	buffer_store_short v1, off, s[0:3], s33 offset:192
	flat_store_short v[4:5], v1 glc slc
	v_add_co_u32_e32 v1, vcc, v0, v16
	v_addc_co_u32_e32 v8, vcc, v9, v17, vcc
	v_add_co_u32_e32 v10, vcc, v2, v16
	v_accvgpr_read_b32 v14, a39
	v_mov_b32_e32 v15, 0x80
	v_addc_co_u32_e32 v11, vcc, v3, v17, vcc
	v_accvgpr_read_b32 v13, a40
	v_cndmask_b32_e64 v14, v15, v14, s[66:67]
	v_cndmask_b32_e64 v13, 0, v13, s[66:67]
	v_add_co_u32_e32 v4, vcc, v4, v14
	v_cndmask_b32_e64 v0, v0, v1, s[66:67]
	v_cndmask_b32_e64 v1, 0, v51, s[66:67]
	v_addc_co_u32_e32 v5, vcc, v5, v13, vcc
	v_sub_u32_e32 v6, v6, v1
	v_cmp_gt_i32_e32 vcc, 2, v6
	s_or_b64 s[62:63], vcc, s[62:63]
	s_andn2_b64 vcc, s[64:65], exec
	s_and_b64 s[30:31], s[66:67], exec
	v_cndmask_b32_e64 v3, v3, v11, s[66:67]
	v_cndmask_b32_e64 v2, v2, v10, s[66:67]
	;; [unrolled: 1-line block ×3, first 2 shown]
	s_or_b64 s[64:65], vcc, s[30:31]
	s_andn2_b64 exec, exec, s[62:63]
	s_cbranch_execz .LBB4_1738
.LBB4_1723:                             ;   Parent Loop BB4_47 Depth=1
                                        ;     Parent Loop BB4_886 Depth=2
                                        ; =>    This Loop Header: Depth=3
                                        ;         Child Loop BB4_1724 Depth 4
                                        ;         Child Loop BB4_1733 Depth 4
	v_lshrrev_b32_e64 v1, 6, s33
	v_add_u32_e32 v1, 0xc0, v1
	s_mov_b64 s[68:69], -1
	s_mov_b64 s[70:71], 0
.LBB4_1724:                             ;   Parent Loop BB4_47 Depth=1
                                        ;     Parent Loop BB4_886 Depth=2
                                        ;       Parent Loop BB4_1723 Depth=3
                                        ; =>      This Inner Loop Header: Depth=4
	s_cmp_eq_u32 s70, 1
	s_cselect_b64 s[30:31], -1, 0
	v_cndmask_b32_e64 v11, v9, v3, s[30:31]
	v_cndmask_b32_e64 v10, v0, v2, s[30:31]
	flat_load_ushort v8, v[10:11] glc slc
	v_add_co_u32_e32 v10, vcc, 0x80, v10
	s_cmp_eq_u32 s70, 0
	v_addc_co_u32_e32 v11, vcc, 0, v11, vcc
	s_cselect_b64 vcc, -1, 0
	s_and_b64 s[34:35], exec, s[68:69]
	s_mov_b64 s[70:71], 1
	v_cndmask_b32_e64 v2, v2, v10, s[30:31]
	s_mov_b64 s[68:69], 0
	v_cndmask_b32_e64 v3, v3, v11, s[30:31]
	v_cndmask_b32_e32 v9, v9, v11, vcc
	v_cndmask_b32_e32 v0, v0, v10, vcc
	s_mov_b64 vcc, s[34:35]
	s_waitcnt vmcnt(0) lgkmcnt(0)
	buffer_store_short v8, v1, s[0:3], 0 offen
	v_lshrrev_b32_e64 v1, 6, s33
	v_add_u32_e32 v1, 0xe0, v1
	s_cbranch_vccnz .LBB4_1724
; %bb.1725:                             ;   in Loop: Header=BB4_1723 Depth=3
	s_and_saveexec_b64 s[30:31], s[66:67]
	s_cbranch_execz .LBB4_1731
; %bb.1726:                             ;   in Loop: Header=BB4_1723 Depth=3
	buffer_load_ushort v1, off, s[0:3], s33 offset:188
	buffer_load_ushort v8, off, s[0:3], s33 offset:190
	s_waitcnt vmcnt(1)
	v_lshlrev_b32_e32 v1, 16, v1
	s_waitcnt vmcnt(0)
	v_lshlrev_b32_e32 v8, 16, v8
	v_max_f32_e32 v8, v8, v8
	v_max_f32_e32 v1, v1, v1
	v_min_f32_e32 v10, v1, v8
	v_max_f32_e32 v1, v1, v8
	v_cndmask_b32_e64 v1, v1, v10, s[28:29]
	v_and_b32_e32 v8, 0x7f800000, v1
	v_cmp_ne_u32_e32 vcc, s91, v8
                                        ; implicit-def: $vgpr8
	s_and_saveexec_b64 s[34:35], vcc
	s_xor_b64 vcc, exec, s[34:35]
; %bb.1727:                             ;   in Loop: Header=BB4_1723 Depth=3
	v_bfe_u32 v8, v1, 16, 1
	v_add3_u32 v8, v1, v8, s92
                                        ; implicit-def: $vgpr1
; %bb.1728:                             ;   in Loop: Header=BB4_1723 Depth=3
	s_andn2_saveexec_b64 s[34:35], vcc
; %bb.1729:                             ;   in Loop: Header=BB4_1723 Depth=3
	v_or_b32_e32 v8, 0x10000, v1
	v_cmp_eq_u32_sdwa vcc, v1, v42 src0_sel:WORD_0 src1_sel:DWORD
	v_cndmask_b32_e32 v8, v8, v1, vcc
; %bb.1730:                             ;   in Loop: Header=BB4_1723 Depth=3
	s_or_b64 exec, exec, s[34:35]
	v_lshrrev_b32_e32 v1, 16, v8
	buffer_store_short v1, off, s[0:3], s33 offset:188
	flat_store_short v[4:5], v1 glc slc
	v_accvgpr_read_b32 v1, a39
	v_add_co_u32_e32 v4, vcc, v4, v1
	v_accvgpr_read_b32 v1, a40
	v_addc_co_u32_e32 v5, vcc, v5, v1, vcc
.LBB4_1731:                             ;   in Loop: Header=BB4_1723 Depth=3
	s_or_b64 exec, exec, s[30:31]
	v_add_co_u32_e32 v0, vcc, v0, v16
	v_addc_co_u32_e32 v9, vcc, v9, v17, vcc
	v_add_co_u32_e32 v2, vcc, v2, v16
	v_sub_u32_e32 v6, v6, v51
	v_addc_co_u32_e32 v3, vcc, v3, v17, vcc
	v_cmp_lt_i32_e64 s[66:67], 1, v6
	s_and_saveexec_b64 s[68:69], s[66:67]
	s_cbranch_execz .LBB4_1734
; %bb.1732:                             ;   in Loop: Header=BB4_1723 Depth=3
	v_lshrrev_b32_e64 v1, 6, s33
	v_add_u32_e32 v1, 0xbc, v1
	s_mov_b64 s[72:73], 0
	s_mov_b64 s[70:71], -1
.LBB4_1733:                             ;   Parent Loop BB4_47 Depth=1
                                        ;     Parent Loop BB4_886 Depth=2
                                        ;       Parent Loop BB4_1723 Depth=3
                                        ; =>      This Inner Loop Header: Depth=4
	s_cmp_eq_u32 s72, 1
	s_cselect_b64 s[30:31], -1, 0
	v_cndmask_b32_e64 v11, v9, v3, s[30:31]
	v_cndmask_b32_e64 v10, v0, v2, s[30:31]
	flat_load_ushort v8, v[10:11] glc slc
	v_add_co_u32_e32 v10, vcc, 0x80, v10
	s_cmp_eq_u32 s72, 0
	v_addc_co_u32_e32 v11, vcc, 0, v11, vcc
	s_cselect_b64 vcc, -1, 0
	s_and_b64 s[34:35], exec, s[70:71]
	s_mov_b64 s[72:73], 1
	v_cndmask_b32_e64 v2, v2, v10, s[30:31]
	s_mov_b64 s[70:71], 0
	v_cndmask_b32_e32 v9, v9, v11, vcc
	v_cndmask_b32_e32 v0, v0, v10, vcc
	v_cndmask_b32_e64 v3, v3, v11, s[30:31]
	s_mov_b64 vcc, s[34:35]
	s_waitcnt vmcnt(0) lgkmcnt(0)
	buffer_store_short v8, v1, s[0:3], 0 offen
	v_lshrrev_b32_e64 v1, 6, s33
	v_add_u32_e32 v1, 0xbe, v1
	s_cbranch_vccnz .LBB4_1733
.LBB4_1734:                             ;   in Loop: Header=BB4_1723 Depth=3
	s_or_b64 exec, exec, s[68:69]
	buffer_load_ushort v1, off, s[0:3], s33 offset:192
	buffer_load_ushort v8, off, s[0:3], s33 offset:224
	s_waitcnt vmcnt(0)
	v_lshlrev_b32_e32 v1, 16, v1
	v_lshlrev_b32_e32 v8, 16, v8
	v_max_f32_e32 v8, v8, v8
	v_max_f32_e32 v1, v1, v1
	v_min_f32_e32 v10, v1, v8
	v_max_f32_e32 v1, v1, v8
	v_cndmask_b32_e64 v1, v1, v10, s[28:29]
	v_and_b32_e32 v8, 0x7f800000, v1
	v_cmp_ne_u32_e32 vcc, s91, v8
                                        ; implicit-def: $vgpr8
	s_and_saveexec_b64 s[30:31], vcc
	s_xor_b64 vcc, exec, s[30:31]
; %bb.1735:                             ;   in Loop: Header=BB4_1723 Depth=3
	v_bfe_u32 v8, v1, 16, 1
	v_add3_u32 v8, v1, v8, s92
                                        ; implicit-def: $vgpr1
; %bb.1736:                             ;   in Loop: Header=BB4_1723 Depth=3
	s_andn2_saveexec_b64 s[30:31], vcc
	s_cbranch_execz .LBB4_1722
; %bb.1737:                             ;   in Loop: Header=BB4_1723 Depth=3
	v_or_b32_e32 v8, 0x10000, v1
	v_cmp_eq_u32_sdwa vcc, v1, v42 src0_sel:WORD_0 src1_sel:DWORD
	v_cndmask_b32_e32 v8, v8, v1, vcc
	s_branch .LBB4_1722
.LBB4_1738:                             ;   in Loop: Header=BB4_886 Depth=2
	s_or_b64 exec, exec, s[62:63]
	s_and_b64 s[28:29], s[64:65], exec
.LBB4_1739:                             ;   in Loop: Header=BB4_886 Depth=2
	s_or_b64 exec, exec, s[60:61]
	s_and_b64 exec, exec, s[28:29]
	s_cbranch_execz .LBB4_1745
; %bb.1740:                             ;   in Loop: Header=BB4_886 Depth=2
	buffer_load_ushort v0, off, s[0:3], s33 offset:188
	buffer_load_ushort v1, off, s[0:3], s33 offset:190
	v_cmp_eq_u16_sdwa vcc, v12, v42 src0_sel:BYTE_0 src1_sel:DWORD
	s_waitcnt vmcnt(0)
	v_lshlrev_b32_e32 v0, 16, v0
	v_lshlrev_b32_e32 v1, 16, v1
	v_max_f32_e32 v1, v1, v1
	v_max_f32_e32 v0, v0, v0
	v_min_f32_e32 v2, v0, v1
	v_max_f32_e32 v0, v0, v1
	v_cndmask_b32_e32 v0, v0, v2, vcc
	v_and_b32_e32 v1, 0x7f800000, v0
	v_cmp_ne_u32_e32 vcc, s91, v1
                                        ; implicit-def: $vgpr1
	s_and_saveexec_b64 s[28:29], vcc
	s_xor_b64 s[28:29], exec, s[28:29]
; %bb.1741:                             ;   in Loop: Header=BB4_886 Depth=2
	v_bfe_u32 v1, v0, 16, 1
	v_add3_u32 v1, v0, v1, s92
                                        ; implicit-def: $vgpr0
; %bb.1742:                             ;   in Loop: Header=BB4_886 Depth=2
	s_andn2_saveexec_b64 s[28:29], s[28:29]
; %bb.1743:                             ;   in Loop: Header=BB4_886 Depth=2
	v_or_b32_e32 v1, 0x10000, v0
	v_cmp_eq_u32_sdwa vcc, v0, v42 src0_sel:WORD_0 src1_sel:DWORD
	v_cndmask_b32_e32 v1, v1, v0, vcc
; %bb.1744:                             ;   in Loop: Header=BB4_886 Depth=2
	s_or_b64 exec, exec, s[28:29]
	flat_store_short_d16_hi v[4:5], v1 glc slc
.LBB4_1745:                             ;   in Loop: Header=BB4_886 Depth=2
	s_or_b64 exec, exec, s[58:59]
.LBB4_1746:                             ;   in Loop: Header=BB4_886 Depth=2
	s_or_b64 exec, exec, s[36:37]
	v_accvgpr_read_b32 v16, a30
	v_accvgpr_read_b32 v17, a31
.LBB4_1747:                             ;   in Loop: Header=BB4_886 Depth=2
	s_and_saveexec_b64 s[28:29], s[10:11]
	s_cbranch_execz .LBB4_1766
; %bb.1748:                             ;   in Loop: Header=BB4_886 Depth=2
	s_and_saveexec_b64 vcc, s[44:45]
	s_xor_b64 s[30:31], exec, vcc
	s_cbranch_execz .LBB4_1763
; %bb.1749:                             ;   in Loop: Header=BB4_886 Depth=2
	s_and_saveexec_b64 s[34:35], s[16:17]
	s_cbranch_execz .LBB4_1762
; %bb.1750:                             ;   in Loop: Header=BB4_886 Depth=2
	s_mov_b64 s[58:59], exec
	v_mbcnt_lo_u32_b32 v0, s58, 0
	v_mbcnt_hi_u32_b32 v0, s59, v0
	v_cmp_eq_u32_e32 vcc, 0, v0
	s_waitcnt vmcnt(0) lgkmcnt(0)
	buffer_wbinvl1_vol
	s_and_saveexec_b64 s[36:37], vcc
	s_cbranch_execz .LBB4_1752
; %bb.1751:                             ;   in Loop: Header=BB4_886 Depth=2
	s_bcnt1_i32_b64 vcc_lo, s[58:59]
	v_mov_b32_e32 v0, vcc_lo
	v_mov_b32_e32 v1, v42
	ds_add_u64 v0, v[0:1]
	s_trap 2
.LBB4_1752:                             ;   in Loop: Header=BB4_886 Depth=2
	s_or_b64 exec, exec, s[36:37]
	s_trap 2
	ds_read_b64 v[0:1], v0
	v_add_co_u32_e32 v40, vcc, v40, v28
	v_addc_co_u32_e32 v41, vcc, 0, v41, vcc
	s_waitcnt lgkmcnt(0)
	v_cmp_lt_u64_e32 vcc, v[0:1], v[40:41]
	s_and_saveexec_b64 s[36:37], vcc
	s_cbranch_execz .LBB4_1761
; %bb.1753:                             ;   in Loop: Header=BB4_886 Depth=2
	s_mov_b32 s68, 0
	s_mov_b64 s[58:59], 0
                                        ; implicit-def: $sgpr60_sgpr61
                                        ; implicit-def: $sgpr62_sgpr63
	s_branch .LBB4_1755
.LBB4_1754:                             ;   in Loop: Header=BB4_1755 Depth=3
	s_or_b64 exec, exec, s[66:67]
	s_and_b64 vcc, exec, vcc
	s_or_b64 s[58:59], vcc, s[58:59]
	s_andn2_b64 vcc, s[60:61], exec
	s_and_b64 s[60:61], s[62:63], exec
	s_or_b64 s[60:61], vcc, s[60:61]
	s_andn2_b64 exec, exec, s[58:59]
	s_cbranch_execz .LBB4_1759
.LBB4_1755:                             ;   Parent Loop BB4_47 Depth=1
                                        ;     Parent Loop BB4_886 Depth=2
                                        ; =>    This Inner Loop Header: Depth=3
	s_add_i32 s68, s68, 1
	s_cmpk_lg_i32 s68, 0x2710
	s_cselect_b64 s[64:65], -1, 0
	s_and_b64 vcc, exec, s[64:65]
                                        ; implicit-def: $sgpr66_sgpr67
	s_cbranch_vccnz .LBB4_1757
; %bb.1756:                             ;   in Loop: Header=BB4_1755 Depth=3
	s_trap 2
	ds_read_b64 v[0:1], v0
	s_andn2_b64 s[64:65], s[64:65], exec
	s_mov_b32 s68, 0
	s_mov_b64 s[66:67], -1
	s_waitcnt lgkmcnt(0)
	flat_load_dword v0, v[0:1] glc
	s_waitcnt vmcnt(0) lgkmcnt(0)
	buffer_invl2
	buffer_wbinvl1_vol
	v_cmp_eq_u32_e32 vcc, 0, v0
	s_and_b64 vcc, vcc, exec
	s_or_b64 s[64:65], s[64:65], vcc
.LBB4_1757:                             ;   in Loop: Header=BB4_1755 Depth=3
	s_andn2_b64 s[62:63], s[62:63], exec
	s_and_b64 s[66:67], s[66:67], exec
	s_mov_b64 vcc, -1
	s_or_b64 s[62:63], s[62:63], s[66:67]
	s_and_saveexec_b64 s[66:67], s[64:65]
	s_cbranch_execz .LBB4_1754
; %bb.1758:                             ;   in Loop: Header=BB4_1755 Depth=3
	s_sleep 1
	s_trap 2
	ds_read_b64 v[0:1], v0
	s_andn2_b64 s[62:63], s[62:63], exec
	s_waitcnt lgkmcnt(0)
	v_cmp_ge_u64_e32 vcc, v[0:1], v[40:41]
	s_orn2_b64 vcc, vcc, exec
	s_branch .LBB4_1754
.LBB4_1759:                             ;   in Loop: Header=BB4_886 Depth=2
	s_or_b64 exec, exec, s[58:59]
	s_and_saveexec_b64 vcc, s[60:61]
	s_xor_b64 vcc, exec, vcc
	s_cbranch_execz .LBB4_1761
; %bb.1760:                             ;   in Loop: Header=BB4_886 Depth=2
	v_mov_b32_e32 v0, 1
	ds_write_b32 v0, v0
	s_trap 2
.LBB4_1761:                             ;   in Loop: Header=BB4_886 Depth=2
	s_or_b64 exec, exec, s[36:37]
	;;#ASMSTART
	s_wakeup
	;;#ASMEND
.LBB4_1762:                             ;   in Loop: Header=BB4_886 Depth=2
	s_or_b64 exec, exec, s[34:35]
.LBB4_1763:                             ;   in Loop: Header=BB4_886 Depth=2
	s_andn2_saveexec_b64 vcc, s[30:31]
	s_cbranch_execz .LBB4_1765
; %bb.1764:                             ;   in Loop: Header=BB4_886 Depth=2
	s_waitcnt vmcnt(0) lgkmcnt(0)
	buffer_wbinvl1_vol
	s_barrier
.LBB4_1765:                             ;   in Loop: Header=BB4_886 Depth=2
	s_or_b64 exec, exec, vcc
.LBB4_1766:                             ;   in Loop: Header=BB4_886 Depth=2
	s_or_b64 exec, exec, s[28:29]
	v_and_b32_e32 v0, 16, v62
	s_and_saveexec_b64 s[28:29], s[24:25]
	s_xor_b64 s[30:31], exec, s[28:29]
	s_cbranch_execz .LBB4_1770
; %bb.1767:                             ;   in Loop: Header=BB4_886 Depth=2
	v_and_b32_e32 v1, 16, v62
	v_cmp_lt_i32_e32 vcc, 0, v31
	v_cmp_ne_u32_e64 s[28:29], 0, v1
	v_and_b32_e32 v0, 16, v62
	s_and_b64 vcc, s[28:29], vcc
	s_and_saveexec_b64 s[28:29], vcc
	s_cbranch_execz .LBB4_1769
; %bb.1768:                             ;   in Loop: Header=BB4_886 Depth=2
	v_mov_b32_e32 v0, 1
	s_waitcnt vmcnt(0) lgkmcnt(0)
	buffer_wbinvl1_vol
.LBB4_1769:                             ;   in Loop: Header=BB4_886 Depth=2
	s_or_b64 exec, exec, s[28:29]
.LBB4_1770:                             ;   in Loop: Header=BB4_886 Depth=2
	s_andn2_saveexec_b64 s[28:29], s[30:31]
	s_cbranch_execz .LBB4_1789
; %bb.1771:                             ;   in Loop: Header=BB4_886 Depth=2
	s_and_saveexec_b64 vcc, s[44:45]
	s_xor_b64 s[30:31], exec, vcc
	s_cbranch_execz .LBB4_1786
; %bb.1772:                             ;   in Loop: Header=BB4_886 Depth=2
	s_and_saveexec_b64 s[34:35], s[16:17]
	s_cbranch_execz .LBB4_1785
; %bb.1773:                             ;   in Loop: Header=BB4_886 Depth=2
	s_mov_b64 s[58:59], exec
	v_mbcnt_lo_u32_b32 v1, s58, 0
	v_mbcnt_hi_u32_b32 v1, s59, v1
	v_cmp_eq_u32_e32 vcc, 0, v1
	;;#ASMSTART
	s_waitcnt lgkmcnt(0) vmcnt(0)
	;;#ASMEND
	s_and_saveexec_b64 s[36:37], vcc
	s_cbranch_execz .LBB4_1775
; %bb.1774:                             ;   in Loop: Header=BB4_886 Depth=2
	s_bcnt1_i32_b64 vcc_lo, s[58:59]
	v_mov_b32_e32 v2, vcc_lo
	v_mov_b32_e32 v3, v42
	ds_add_u64 v0, v[2:3]
	s_trap 2
.LBB4_1775:                             ;   in Loop: Header=BB4_886 Depth=2
	s_or_b64 exec, exec, s[36:37]
	s_trap 2
	ds_read_b64 v[2:3], v0
	v_add_co_u32_e32 v40, vcc, v40, v28
	v_addc_co_u32_e32 v41, vcc, 0, v41, vcc
	s_waitcnt lgkmcnt(0)
	v_cmp_lt_u64_e32 vcc, v[2:3], v[40:41]
	s_and_saveexec_b64 s[36:37], vcc
	s_cbranch_execz .LBB4_1784
; %bb.1776:                             ;   in Loop: Header=BB4_886 Depth=2
	s_mov_b32 s68, 0
	s_mov_b64 s[58:59], 0
                                        ; implicit-def: $sgpr60_sgpr61
                                        ; implicit-def: $sgpr62_sgpr63
	s_branch .LBB4_1778
.LBB4_1777:                             ;   in Loop: Header=BB4_1778 Depth=3
	s_or_b64 exec, exec, s[66:67]
	s_and_b64 vcc, exec, vcc
	s_or_b64 s[58:59], vcc, s[58:59]
	s_andn2_b64 vcc, s[60:61], exec
	s_and_b64 s[60:61], s[62:63], exec
	s_or_b64 s[60:61], vcc, s[60:61]
	s_andn2_b64 exec, exec, s[58:59]
	s_cbranch_execz .LBB4_1782
.LBB4_1778:                             ;   Parent Loop BB4_47 Depth=1
                                        ;     Parent Loop BB4_886 Depth=2
                                        ; =>    This Inner Loop Header: Depth=3
	s_add_i32 s68, s68, 1
	s_cmpk_lg_i32 s68, 0x2710
	s_cselect_b64 s[64:65], -1, 0
	s_and_b64 vcc, exec, s[64:65]
                                        ; implicit-def: $sgpr66_sgpr67
	s_cbranch_vccnz .LBB4_1780
; %bb.1779:                             ;   in Loop: Header=BB4_1778 Depth=3
	s_trap 2
	ds_read_b64 v[2:3], v0
	s_andn2_b64 s[64:65], s[64:65], exec
	s_mov_b32 s68, 0
	s_mov_b64 s[66:67], -1
	s_waitcnt vmcnt(0) lgkmcnt(0)
	flat_load_dword v1, v[2:3] glc
	s_waitcnt vmcnt(0) lgkmcnt(0)
	buffer_invl2
	buffer_wbinvl1_vol
	v_cmp_eq_u32_e32 vcc, 0, v1
	s_and_b64 vcc, vcc, exec
	s_or_b64 s[64:65], s[64:65], vcc
.LBB4_1780:                             ;   in Loop: Header=BB4_1778 Depth=3
	s_andn2_b64 s[62:63], s[62:63], exec
	s_and_b64 s[66:67], s[66:67], exec
	s_mov_b64 vcc, -1
	s_or_b64 s[62:63], s[62:63], s[66:67]
	s_and_saveexec_b64 s[66:67], s[64:65]
	s_cbranch_execz .LBB4_1777
; %bb.1781:                             ;   in Loop: Header=BB4_1778 Depth=3
	s_sleep 1
	s_trap 2
	ds_read_b64 v[2:3], v0
	s_andn2_b64 s[62:63], s[62:63], exec
	s_waitcnt lgkmcnt(0)
	v_cmp_ge_u64_e32 vcc, v[2:3], v[40:41]
	s_orn2_b64 vcc, vcc, exec
	s_branch .LBB4_1777
.LBB4_1782:                             ;   in Loop: Header=BB4_886 Depth=2
	s_or_b64 exec, exec, s[58:59]
	s_and_saveexec_b64 vcc, s[60:61]
	s_xor_b64 vcc, exec, vcc
	s_cbranch_execz .LBB4_1784
; %bb.1783:                             ;   in Loop: Header=BB4_886 Depth=2
	v_mov_b32_e32 v1, 1
	ds_write_b32 v0, v1
	s_trap 2
.LBB4_1784:                             ;   in Loop: Header=BB4_886 Depth=2
	s_or_b64 exec, exec, s[36:37]
	;;#ASMSTART
	s_wakeup
	;;#ASMEND
.LBB4_1785:                             ;   in Loop: Header=BB4_886 Depth=2
	s_or_b64 exec, exec, s[34:35]
.LBB4_1786:                             ;   in Loop: Header=BB4_886 Depth=2
	s_andn2_saveexec_b64 vcc, s[30:31]
	s_cbranch_execz .LBB4_1788
; %bb.1787:                             ;   in Loop: Header=BB4_886 Depth=2
	;;#ASMSTART
	s_waitcnt lgkmcnt(0) vmcnt(0)
	;;#ASMEND
	s_barrier
.LBB4_1788:                             ;   in Loop: Header=BB4_886 Depth=2
	s_or_b64 exec, exec, vcc
.LBB4_1789:                             ;   in Loop: Header=BB4_886 Depth=2
	s_or_b64 exec, exec, s[28:29]
	v_cmp_ne_u32_e32 vcc, 0, v0
	s_xor_b64 s[28:29], s[12:13], -1
	s_and_b64 vcc, vcc, s[28:29]
	s_and_saveexec_b64 s[28:29], vcc
	s_cbranch_execz .LBB4_1791
; %bb.1790:                             ;   in Loop: Header=BB4_886 Depth=2
	v_accvgpr_read_b32 v0, a18
	v_accvgpr_read_b32 v1, a19
	v_mov_b32_e32 v2, 1
	flat_store_dword v[0:1], v2
.LBB4_1791:                             ;   in Loop: Header=BB4_886 Depth=2
	s_or_b64 exec, exec, s[28:29]
	v_and_b32_e32 v0, 48, v62
	v_cmp_ne_u32_e32 vcc, 0, v0
	s_and_saveexec_b64 s[28:29], vcc
	s_cbranch_execz .LBB4_885
; %bb.1792:                             ;   in Loop: Header=BB4_886 Depth=2
	v_add_co_u32_e32 v44, vcc, 2, v44
	v_addc_co_u32_e32 v45, vcc, 0, v45, vcc
	flat_store_dwordx2 v[46:47], v[44:45]
	s_branch .LBB4_885
.LBB4_1793:                             ;   in Loop: Header=BB4_47 Depth=1
	s_or_b64 exec, exec, s[52:53]
	v_cmp_gt_i32_e32 vcc, 2, v0
	s_and_saveexec_b64 s[30:31], vcc
	s_cbranch_execz .LBB4_1869
.LBB4_1794:                             ;   in Loop: Header=BB4_47 Depth=1
	v_cmp_eq_u32_e64 s[28:29], 0, v0
	s_mov_b64 s[34:35], 0
	s_branch .LBB4_1796
.LBB4_1795:                             ;   in Loop: Header=BB4_1796 Depth=2
	s_or_b64 exec, exec, s[28:29]
	buffer_load_dword v0, off, s[0:3], s33 offset:256 ; 4-byte Folded Reload
	buffer_load_dword v1, off, s[0:3], s33 offset:260 ; 4-byte Folded Reload
	s_mov_b64 s[28:29], 0
	s_waitcnt vmcnt(0)
	v_add_u32_e32 v0, v30, v0
	buffer_store_dword v0, off, s[0:3], s33 offset:256 ; 4-byte Folded Spill
	s_nop 0
	buffer_store_dword v1, off, s[0:3], s33 offset:260 ; 4-byte Folded Spill
	s_andn2_b64 exec, exec, s[34:35]
	s_cbranch_execz .LBB4_1870
.LBB4_1796:                             ;   Parent Loop BB4_47 Depth=1
                                        ; =>  This Loop Header: Depth=2
                                        ;       Child Loop BB4_1802 Depth 3
                                        ;       Child Loop BB4_1830 Depth 3
	;; [unrolled: 1-line block ×3, first 2 shown]
	v_and_b32_e32 v0, 12, v62
	s_mov_b64 s[52:53], -1
	v_cmp_ne_u32_e32 vcc, 0, v0
	s_and_saveexec_b64 s[36:37], vcc
	s_cbranch_execz .LBB4_1808
; %bb.1797:                             ;   in Loop: Header=BB4_1796 Depth=2
	v_and_b32_e32 v0, 8, v62
	v_add_co_u32_e32 v4, vcc, v60, v0
	v_addc_co_u32_e32 v5, vcc, 0, v61, vcc
	v_add_co_u32_e32 v2, vcc, 2, v44
	v_addc_co_u32_e32 v3, vcc, 0, v45, vcc
	v_cmp_lt_u64_e32 vcc, v[4:5], v[2:3]
	v_mov_b32_e32 v1, 1
	s_and_saveexec_b64 s[52:53], vcc
	s_cbranch_execz .LBB4_1807
; %bb.1798:                             ;   in Loop: Header=BB4_1796 Depth=2
	s_mov_b64 s[54:55], 0
	v_mov_b32_e32 v1, 0
                                        ; implicit-def: $sgpr56_sgpr57
	s_branch .LBB4_1802
.LBB4_1799:                             ;   in Loop: Header=BB4_1802 Depth=3
	s_or_b64 exec, exec, s[64:65]
	v_mov_b32_e32 v4, 0
	s_orn2_b64 s[62:63], s[62:63], exec
.LBB4_1800:                             ;   in Loop: Header=BB4_1802 Depth=3
	s_or_b64 exec, exec, s[60:61]
	s_andn2_b64 vcc, s[56:57], exec
	s_and_b64 s[56:57], s[62:63], exec
	s_or_b64 s[56:57], vcc, s[56:57]
	v_mov_b32_e32 v1, v4
.LBB4_1801:                             ;   in Loop: Header=BB4_1802 Depth=3
	s_or_b64 exec, exec, s[58:59]
	s_waitcnt vmcnt(0) lgkmcnt(0)
	v_add_co_u32_e32 v4, vcc, v60, v0
	v_addc_co_u32_e32 v5, vcc, 0, v61, vcc
	v_cmp_ge_u64_e32 vcc, v[4:5], v[2:3]
	s_xor_b64 s[58:59], s[56:57], -1
	s_or_b64 vcc, s[58:59], vcc
	s_and_b64 vcc, exec, vcc
	s_or_b64 s[54:55], vcc, s[54:55]
	s_andn2_b64 exec, exec, s[54:55]
	s_cbranch_execz .LBB4_1806
.LBB4_1802:                             ;   Parent Loop BB4_47 Depth=1
                                        ;     Parent Loop BB4_1796 Depth=2
                                        ; =>    This Inner Loop Header: Depth=3
	s_sleep 1
	flat_load_dwordx2 v[60:61], v[46:47] glc
	v_and_b32_e32 v4, 64, v62
	v_cmp_eq_u32_e32 vcc, 0, v4
	s_andn2_b64 s[56:57], s[56:57], exec
	s_and_saveexec_b64 s[58:59], vcc
	s_cbranch_execz .LBB4_1801
; %bb.1803:                             ;   in Loop: Header=BB4_1802 Depth=3
	v_add_u32_e32 v4, 1, v1
	v_cmp_lt_i32_e32 vcc, s89, v1
	s_mov_b64 s[62:63], -1
	s_and_saveexec_b64 s[60:61], vcc
	s_cbranch_execz .LBB4_1800
; %bb.1804:                             ;   in Loop: Header=BB4_1802 Depth=3
	s_trap 2
	ds_read_b64 v[4:5], v0
	s_waitcnt vmcnt(0) lgkmcnt(0)
	flat_load_dword v1, v[4:5] glc
	s_waitcnt vmcnt(0) lgkmcnt(0)
	buffer_invl2
	buffer_wbinvl1_vol
	v_cmp_ne_u32_e32 vcc, 0, v1
	s_and_saveexec_b64 s[64:65], vcc
	s_cbranch_execz .LBB4_1799
; %bb.1805:                             ;   in Loop: Header=BB4_1802 Depth=3
	v_or_b32_e32 v62, 64, v62
	s_xor_b64 s[62:63], exec, -1
	ds_write_b32 v0, v1
	s_trap 2
	s_branch .LBB4_1799
.LBB4_1806:                             ;   in Loop: Header=BB4_1796 Depth=2
	s_or_b64 exec, exec, s[54:55]
	v_and_b32_e32 v1, 12, v62
.LBB4_1807:                             ;   in Loop: Header=BB4_1796 Depth=2
	s_or_b64 exec, exec, s[52:53]
	v_cmp_eq_u32_e32 vcc, 0, v1
	s_orn2_b64 s[52:53], vcc, exec
	;;#ASMSTART
	s_wakeup
	;;#ASMEND
.LBB4_1808:                             ;   in Loop: Header=BB4_1796 Depth=2
	s_or_b64 exec, exec, s[36:37]
	buffer_load_dword v0, off, s[0:3], s33 offset:256 ; 4-byte Folded Reload
	buffer_load_dword v1, off, s[0:3], s33 offset:260 ; 4-byte Folded Reload
	s_xor_b64 s[28:29], s[28:29], -1
	s_and_b64 s[28:29], exec, s[28:29]
	s_or_b64 s[34:35], s[28:29], s[34:35]
	s_xor_b64 s[28:29], s[52:53], -1
	s_waitcnt vmcnt(0)
	v_sub_u32_e32 v0, v29, v0
	v_min_i32_e32 v30, v30, v0
	s_and_saveexec_b64 s[36:37], s[28:29]
	s_cbranch_execz .LBB4_1822
; %bb.1809:                             ;   in Loop: Header=BB4_1796 Depth=2
	v_and_b32_e32 v0, 0x108, v62
	v_cmp_ne_u32_e32 vcc, s90, v0
	v_and_b32_e32 v0, 7, v44
	s_and_saveexec_b64 s[28:29], vcc
	s_xor_b64 s[28:29], exec, s[28:29]
                                        ; implicit-def: $vgpr2_vgpr3
; %bb.1810:                             ;   in Loop: Header=BB4_1796 Depth=2
	v_mov_b32_e32 v3, v42
; %bb.1811:                             ;   in Loop: Header=BB4_1796 Depth=2
	s_andn2_saveexec_b64 s[28:29], s[28:29]
	s_cbranch_execz .LBB4_1813
; %bb.1812:                             ;   in Loop: Header=BB4_1796 Depth=2
	v_ashrrev_i32_e32 v31, 31, v30
	v_mov_b32_e32 v3, v42
	v_mad_u64_u32 v[4:5], vcc, v0, 24, v[48:49]
	v_lshlrev_b64 v[8:9], 1, v[30:31]
	flat_store_dwordx2 v[4:5], v[8:9] offset:8
.LBB4_1813:                             ;   in Loop: Header=BB4_1796 Depth=2
	s_or_b64 exec, exec, s[28:29]
	v_and_b32_e32 v1, 0x100, v62
	v_cmp_ne_u32_e32 vcc, 0, v1
	s_mov_b64 s[28:29], -1
                                        ; implicit-def: $vgpr4_vgpr5
	s_and_saveexec_b64 s[52:53], vcc
	s_cbranch_execz .LBB4_1817
; %bb.1814:                             ;   in Loop: Header=BB4_1796 Depth=2
	v_mad_u64_u32 v[8:9], s[28:29], v0, 24, v[48:49]
	v_mov_b32_e32 v2, v9
	v_mad_u64_u32 v[4:5], s[28:29], v3, 24, v[2:3]
	v_mov_b32_e32 v9, v4
	flat_load_dword v1, v[8:9]
                                        ; implicit-def: $vgpr4_vgpr5
	s_waitcnt vmcnt(0) lgkmcnt(0)
	v_cmp_ne_u32_e32 vcc, 1, v1
	v_cmp_eq_u32_e64 s[28:29], 1, v1
	s_and_saveexec_b64 s[54:55], s[28:29]
	s_cbranch_execz .LBB4_1816
; %bb.1815:                             ;   in Loop: Header=BB4_1796 Depth=2
	flat_load_dword v4, v[8:9] offset:4 glc
	s_waitcnt vmcnt(0) lgkmcnt(0)
	v_ashrrev_i32_e32 v5, 31, v4
	v_lshrrev_b64 v[4:5], 1, v[4:5]
.LBB4_1816:                             ;   in Loop: Header=BB4_1796 Depth=2
	s_or_b64 exec, exec, s[54:55]
	s_orn2_b64 s[28:29], vcc, exec
.LBB4_1817:                             ;   in Loop: Header=BB4_1796 Depth=2
	s_or_b64 exec, exec, s[52:53]
	s_and_saveexec_b64 vcc, s[28:29]
; %bb.1818:                             ;   in Loop: Header=BB4_1796 Depth=2
	v_mul_lo_u32 v1, v3, v38
	v_accvgpr_read_b32 v3, a53
	v_mul_lo_u32 v2, v0, v3
	v_mad_u64_u32 v[4:5], s[28:29], v0, v38, 0
	v_add3_u32 v5, v5, v2, v1
; %bb.1819:                             ;   in Loop: Header=BB4_1796 Depth=2
	s_or_b64 exec, exec, vcc
	v_lshlrev_b64 v[0:1], 1, v[4:5]
	v_add_co_u32_e32 v0, vcc, v52, v0
	v_addc_co_u32_e32 v1, vcc, v53, v1, vcc
	s_trap 2
	ds_write_b64 v0, v[0:1]
	v_and_b32_e32 v0, 0x2000, v62
	v_cmp_ne_u32_e32 vcc, 0, v0
	s_and_saveexec_b64 s[28:29], vcc
	s_cbranch_execz .LBB4_1821
; %bb.1820:                             ;   in Loop: Header=BB4_1796 Depth=2
	ds_read_b64 v[0:1], v0 offset:584
	s_waitcnt lgkmcnt(0)
	v_add_co_u32_e32 v0, vcc, 1, v0
	v_addc_co_u32_e32 v1, vcc, 0, v1, vcc
	ds_write_b64 v0, v[0:1] offset:584
.LBB4_1821:                             ;   in Loop: Header=BB4_1796 Depth=2
	s_or_b64 exec, exec, s[28:29]
	v_add_co_u32_e32 v44, vcc, 2, v44
	v_addc_co_u32_e32 v45, vcc, 0, v45, vcc
.LBB4_1822:                             ;   in Loop: Header=BB4_1796 Depth=2
	s_or_b64 exec, exec, s[36:37]
	s_and_saveexec_b64 s[28:29], s[10:11]
	s_cbranch_execz .LBB4_1841
; %bb.1823:                             ;   in Loop: Header=BB4_1796 Depth=2
	s_and_saveexec_b64 vcc, s[44:45]
	s_xor_b64 s[36:37], exec, vcc
	s_cbranch_execz .LBB4_1838
; %bb.1824:                             ;   in Loop: Header=BB4_1796 Depth=2
	s_and_saveexec_b64 s[52:53], s[16:17]
	s_cbranch_execz .LBB4_1837
; %bb.1825:                             ;   in Loop: Header=BB4_1796 Depth=2
	s_mov_b64 s[56:57], exec
	v_mbcnt_lo_u32_b32 v0, s56, 0
	v_mbcnt_hi_u32_b32 v0, s57, v0
	v_cmp_eq_u32_e32 vcc, 0, v0
	s_waitcnt vmcnt(0) lgkmcnt(0)
	buffer_wbinvl1_vol
	s_and_saveexec_b64 s[54:55], vcc
	s_cbranch_execz .LBB4_1827
; %bb.1826:                             ;   in Loop: Header=BB4_1796 Depth=2
	s_bcnt1_i32_b64 vcc_lo, s[56:57]
	v_mov_b32_e32 v0, vcc_lo
	v_mov_b32_e32 v1, v42
	ds_add_u64 v0, v[0:1]
	s_trap 2
.LBB4_1827:                             ;   in Loop: Header=BB4_1796 Depth=2
	s_or_b64 exec, exec, s[54:55]
	s_trap 2
	ds_read_b64 v[0:1], v0
	v_add_co_u32_e32 v40, vcc, v40, v28
	v_addc_co_u32_e32 v41, vcc, 0, v41, vcc
	s_waitcnt lgkmcnt(0)
	v_cmp_lt_u64_e32 vcc, v[0:1], v[40:41]
	s_and_saveexec_b64 s[54:55], vcc
	s_cbranch_execz .LBB4_1836
; %bb.1828:                             ;   in Loop: Header=BB4_1796 Depth=2
	s_mov_b32 s66, 0
	s_mov_b64 s[56:57], 0
                                        ; implicit-def: $sgpr58_sgpr59
                                        ; implicit-def: $sgpr60_sgpr61
	s_branch .LBB4_1830
.LBB4_1829:                             ;   in Loop: Header=BB4_1830 Depth=3
	s_or_b64 exec, exec, s[64:65]
	s_and_b64 vcc, exec, vcc
	s_or_b64 s[56:57], vcc, s[56:57]
	s_andn2_b64 vcc, s[58:59], exec
	s_and_b64 s[58:59], s[60:61], exec
	s_or_b64 s[58:59], vcc, s[58:59]
	s_andn2_b64 exec, exec, s[56:57]
	s_cbranch_execz .LBB4_1834
.LBB4_1830:                             ;   Parent Loop BB4_47 Depth=1
                                        ;     Parent Loop BB4_1796 Depth=2
                                        ; =>    This Inner Loop Header: Depth=3
	s_add_i32 s66, s66, 1
	s_cmpk_lg_i32 s66, 0x2710
	s_cselect_b64 s[62:63], -1, 0
	s_and_b64 vcc, exec, s[62:63]
                                        ; implicit-def: $sgpr64_sgpr65
	s_cbranch_vccnz .LBB4_1832
; %bb.1831:                             ;   in Loop: Header=BB4_1830 Depth=3
	s_trap 2
	ds_read_b64 v[0:1], v0
	s_andn2_b64 s[62:63], s[62:63], exec
	s_mov_b32 s66, 0
	s_mov_b64 s[64:65], -1
	s_waitcnt lgkmcnt(0)
	flat_load_dword v0, v[0:1] glc
	s_waitcnt vmcnt(0) lgkmcnt(0)
	buffer_invl2
	buffer_wbinvl1_vol
	v_cmp_eq_u32_e32 vcc, 0, v0
	s_and_b64 vcc, vcc, exec
	s_or_b64 s[62:63], s[62:63], vcc
.LBB4_1832:                             ;   in Loop: Header=BB4_1830 Depth=3
	s_andn2_b64 s[60:61], s[60:61], exec
	s_and_b64 s[64:65], s[64:65], exec
	s_mov_b64 vcc, -1
	s_or_b64 s[60:61], s[60:61], s[64:65]
	s_and_saveexec_b64 s[64:65], s[62:63]
	s_cbranch_execz .LBB4_1829
; %bb.1833:                             ;   in Loop: Header=BB4_1830 Depth=3
	s_sleep 1
	s_trap 2
	ds_read_b64 v[0:1], v0
	s_andn2_b64 s[60:61], s[60:61], exec
	s_waitcnt lgkmcnt(0)
	v_cmp_ge_u64_e32 vcc, v[0:1], v[40:41]
	s_orn2_b64 vcc, vcc, exec
	s_branch .LBB4_1829
.LBB4_1834:                             ;   in Loop: Header=BB4_1796 Depth=2
	s_or_b64 exec, exec, s[56:57]
	s_and_saveexec_b64 vcc, s[58:59]
	s_xor_b64 vcc, exec, vcc
	s_cbranch_execz .LBB4_1836
; %bb.1835:                             ;   in Loop: Header=BB4_1796 Depth=2
	v_mov_b32_e32 v0, 1
	ds_write_b32 v0, v0
	s_trap 2
.LBB4_1836:                             ;   in Loop: Header=BB4_1796 Depth=2
	s_or_b64 exec, exec, s[54:55]
	;;#ASMSTART
	s_wakeup
	;;#ASMEND
.LBB4_1837:                             ;   in Loop: Header=BB4_1796 Depth=2
	s_or_b64 exec, exec, s[52:53]
.LBB4_1838:                             ;   in Loop: Header=BB4_1796 Depth=2
	s_andn2_saveexec_b64 vcc, s[36:37]
	s_cbranch_execz .LBB4_1840
; %bb.1839:                             ;   in Loop: Header=BB4_1796 Depth=2
	s_waitcnt vmcnt(0) lgkmcnt(0)
	buffer_wbinvl1_vol
	s_barrier
.LBB4_1840:                             ;   in Loop: Header=BB4_1796 Depth=2
	s_or_b64 exec, exec, vcc
.LBB4_1841:                             ;   in Loop: Header=BB4_1796 Depth=2
	s_or_b64 exec, exec, s[28:29]
	v_and_b32_e32 v0, 16, v62
	s_and_saveexec_b64 s[28:29], s[24:25]
	s_xor_b64 s[28:29], exec, s[28:29]
	s_cbranch_execz .LBB4_1845
; %bb.1842:                             ;   in Loop: Header=BB4_1796 Depth=2
	s_trap 2
	ds_read_b32 v1, v0
	v_cmp_lt_i32_e32 vcc, 0, v30
	v_and_b32_e32 v2, 16, v62
	v_and_b32_e32 v0, 16, v62
	s_waitcnt lgkmcnt(0)
	v_readfirstlane_b32 s36, v1
	s_cmp_eq_u32 s36, 0
	s_cselect_b64 s[36:37], -1, 0
	s_and_b64 s[36:37], vcc, s[36:37]
	v_cmp_ne_u32_e32 vcc, 0, v2
	s_and_b64 s[36:37], vcc, s[36:37]
	s_and_saveexec_b64 vcc, s[36:37]
	s_cbranch_execz .LBB4_1844
; %bb.1843:                             ;   in Loop: Header=BB4_1796 Depth=2
	v_mov_b32_e32 v0, 1
	s_waitcnt vmcnt(0)
	buffer_wbinvl1_vol
.LBB4_1844:                             ;   in Loop: Header=BB4_1796 Depth=2
	s_or_b64 exec, exec, vcc
.LBB4_1845:                             ;   in Loop: Header=BB4_1796 Depth=2
	s_andn2_saveexec_b64 s[28:29], s[28:29]
	s_cbranch_execz .LBB4_1864
; %bb.1846:                             ;   in Loop: Header=BB4_1796 Depth=2
	s_and_saveexec_b64 vcc, s[44:45]
	s_xor_b64 s[36:37], exec, vcc
	s_cbranch_execz .LBB4_1861
; %bb.1847:                             ;   in Loop: Header=BB4_1796 Depth=2
	s_and_saveexec_b64 s[52:53], s[16:17]
	s_cbranch_execz .LBB4_1860
; %bb.1848:                             ;   in Loop: Header=BB4_1796 Depth=2
	s_mov_b64 s[56:57], exec
	v_mbcnt_lo_u32_b32 v1, s56, 0
	v_mbcnt_hi_u32_b32 v1, s57, v1
	v_cmp_eq_u32_e32 vcc, 0, v1
	;;#ASMSTART
	s_waitcnt lgkmcnt(0) vmcnt(0)
	;;#ASMEND
	s_and_saveexec_b64 s[54:55], vcc
	s_cbranch_execz .LBB4_1850
; %bb.1849:                             ;   in Loop: Header=BB4_1796 Depth=2
	s_bcnt1_i32_b64 vcc_lo, s[56:57]
	v_mov_b32_e32 v2, vcc_lo
	v_mov_b32_e32 v3, v42
	ds_add_u64 v0, v[2:3]
	s_trap 2
.LBB4_1850:                             ;   in Loop: Header=BB4_1796 Depth=2
	s_or_b64 exec, exec, s[54:55]
	s_trap 2
	ds_read_b64 v[2:3], v0
	v_add_co_u32_e32 v40, vcc, v40, v28
	v_addc_co_u32_e32 v41, vcc, 0, v41, vcc
	s_waitcnt lgkmcnt(0)
	v_cmp_lt_u64_e32 vcc, v[2:3], v[40:41]
	s_and_saveexec_b64 s[54:55], vcc
	s_cbranch_execz .LBB4_1859
; %bb.1851:                             ;   in Loop: Header=BB4_1796 Depth=2
	s_mov_b32 s66, 0
	s_mov_b64 s[56:57], 0
                                        ; implicit-def: $sgpr58_sgpr59
                                        ; implicit-def: $sgpr60_sgpr61
	s_branch .LBB4_1853
.LBB4_1852:                             ;   in Loop: Header=BB4_1853 Depth=3
	s_or_b64 exec, exec, s[64:65]
	s_and_b64 vcc, exec, vcc
	s_or_b64 s[56:57], vcc, s[56:57]
	s_andn2_b64 vcc, s[58:59], exec
	s_and_b64 s[58:59], s[60:61], exec
	s_or_b64 s[58:59], vcc, s[58:59]
	s_andn2_b64 exec, exec, s[56:57]
	s_cbranch_execz .LBB4_1857
.LBB4_1853:                             ;   Parent Loop BB4_47 Depth=1
                                        ;     Parent Loop BB4_1796 Depth=2
                                        ; =>    This Inner Loop Header: Depth=3
	s_add_i32 s66, s66, 1
	s_cmpk_lg_i32 s66, 0x2710
	s_cselect_b64 s[62:63], -1, 0
	s_and_b64 vcc, exec, s[62:63]
                                        ; implicit-def: $sgpr64_sgpr65
	s_cbranch_vccnz .LBB4_1855
; %bb.1854:                             ;   in Loop: Header=BB4_1853 Depth=3
	s_trap 2
	ds_read_b64 v[2:3], v0
	s_andn2_b64 s[62:63], s[62:63], exec
	s_mov_b32 s66, 0
	s_mov_b64 s[64:65], -1
	s_waitcnt vmcnt(0) lgkmcnt(0)
	flat_load_dword v1, v[2:3] glc
	s_waitcnt vmcnt(0) lgkmcnt(0)
	buffer_invl2
	buffer_wbinvl1_vol
	v_cmp_eq_u32_e32 vcc, 0, v1
	s_and_b64 vcc, vcc, exec
	s_or_b64 s[62:63], s[62:63], vcc
.LBB4_1855:                             ;   in Loop: Header=BB4_1853 Depth=3
	s_andn2_b64 s[60:61], s[60:61], exec
	s_and_b64 s[64:65], s[64:65], exec
	s_mov_b64 vcc, -1
	s_or_b64 s[60:61], s[60:61], s[64:65]
	s_and_saveexec_b64 s[64:65], s[62:63]
	s_cbranch_execz .LBB4_1852
; %bb.1856:                             ;   in Loop: Header=BB4_1853 Depth=3
	s_sleep 1
	s_trap 2
	ds_read_b64 v[2:3], v0
	s_andn2_b64 s[60:61], s[60:61], exec
	s_waitcnt lgkmcnt(0)
	v_cmp_ge_u64_e32 vcc, v[2:3], v[40:41]
	s_orn2_b64 vcc, vcc, exec
	s_branch .LBB4_1852
.LBB4_1857:                             ;   in Loop: Header=BB4_1796 Depth=2
	s_or_b64 exec, exec, s[56:57]
	s_and_saveexec_b64 vcc, s[58:59]
	s_xor_b64 vcc, exec, vcc
	s_cbranch_execz .LBB4_1859
; %bb.1858:                             ;   in Loop: Header=BB4_1796 Depth=2
	v_mov_b32_e32 v1, 1
	ds_write_b32 v0, v1
	s_trap 2
.LBB4_1859:                             ;   in Loop: Header=BB4_1796 Depth=2
	s_or_b64 exec, exec, s[54:55]
	;;#ASMSTART
	s_wakeup
	;;#ASMEND
.LBB4_1860:                             ;   in Loop: Header=BB4_1796 Depth=2
	s_or_b64 exec, exec, s[52:53]
.LBB4_1861:                             ;   in Loop: Header=BB4_1796 Depth=2
	s_andn2_saveexec_b64 vcc, s[36:37]
	s_cbranch_execz .LBB4_1863
; %bb.1862:                             ;   in Loop: Header=BB4_1796 Depth=2
	;;#ASMSTART
	s_waitcnt lgkmcnt(0) vmcnt(0)
	;;#ASMEND
	s_barrier
.LBB4_1863:                             ;   in Loop: Header=BB4_1796 Depth=2
	s_or_b64 exec, exec, vcc
.LBB4_1864:                             ;   in Loop: Header=BB4_1796 Depth=2
	s_or_b64 exec, exec, s[28:29]
	v_cmp_ne_u32_e32 vcc, 0, v0
	s_xor_b64 s[28:29], s[12:13], -1
	s_and_b64 vcc, vcc, s[28:29]
	s_and_saveexec_b64 s[28:29], vcc
	s_cbranch_execz .LBB4_1866
; %bb.1865:                             ;   in Loop: Header=BB4_1796 Depth=2
	v_accvgpr_read_b32 v0, a18
	v_accvgpr_read_b32 v1, a19
	v_mov_b32_e32 v2, 1
	flat_store_dword v[0:1], v2
.LBB4_1866:                             ;   in Loop: Header=BB4_1796 Depth=2
	s_or_b64 exec, exec, s[28:29]
	v_and_b32_e32 v0, 48, v62
	v_cmp_ne_u32_e32 vcc, 0, v0
	s_and_saveexec_b64 s[28:29], vcc
	s_cbranch_execz .LBB4_1795
; %bb.1867:                             ;   in Loop: Header=BB4_1796 Depth=2
	v_add_co_u32_e32 v44, vcc, 2, v44
	v_addc_co_u32_e32 v45, vcc, 0, v45, vcc
	flat_store_dwordx2 v[46:47], v[44:45]
	s_branch .LBB4_1795
.LBB4_1868:                             ;   in Loop: Header=BB4_47 Depth=1
	s_or_b64 exec, exec, s[54:55]
	s_or_b64 exec, exec, s[52:53]
	v_cmp_gt_i32_e32 vcc, 2, v0
	s_and_saveexec_b64 s[30:31], vcc
	s_cbranch_execnz .LBB4_1794
.LBB4_1869:                             ;   in Loop: Header=BB4_47 Depth=1
	s_or_b64 exec, exec, s[30:31]
	s_and_b64 vcc, exec, s[26:27]
	s_cbranch_vccz .LBB4_1871
	s_branch .LBB4_2204
.LBB4_1870:                             ;   in Loop: Header=BB4_47 Depth=1
	s_or_b64 exec, exec, s[34:35]
	s_or_b64 exec, exec, s[30:31]
	s_and_b64 vcc, exec, s[26:27]
	s_cbranch_vccnz .LBB4_2204
.LBB4_1871:                             ;   in Loop: Header=BB4_47 Depth=1
	s_mov_b32 s70, 1
.LBB4_1872:                             ;   Parent Loop BB4_47 Depth=1
                                        ; =>  This Loop Header: Depth=2
                                        ;       Child Loop BB4_1875 Depth 3
                                        ;         Child Loop BB4_1883 Depth 4
                                        ;         Child Loop BB4_1911 Depth 4
	;; [unrolled: 1-line block ×4, first 2 shown]
                                        ;           Child Loop BB4_1954 Depth 5
                                        ;           Child Loop BB4_1959 Depth 5
                                        ;         Child Loop BB4_1967 Depth 4
                                        ;         Child Loop BB4_1972 Depth 4
                                        ;           Child Loop BB4_1974 Depth 5
                                        ;           Child Loop BB4_1979 Depth 5
                                        ;         Child Loop BB4_1985 Depth 4
                                        ;         Child Loop BB4_1993 Depth 4
	;; [unrolled: 1-line block ×3, first 2 shown]
                                        ;           Child Loop BB4_2005 Depth 5
                                        ;           Child Loop BB4_2010 Depth 5
                                        ;         Child Loop BB4_2015 Depth 4
                                        ;         Child Loop BB4_2028 Depth 4
	;; [unrolled: 1-line block ×7, first 2 shown]
                                        ;       Child Loop BB4_2128 Depth 3
                                        ;         Child Loop BB4_2134 Depth 4
                                        ;         Child Loop BB4_2162 Depth 4
	;; [unrolled: 1-line block ×3, first 2 shown]
	s_sub_i32 s26, s82, s70
	s_cmp_le_i32 s76, s26
	s_cselect_b32 s27, s76, 0
	s_sub_i32 s26, s26, s27
	v_accvgpr_read_b32 v4, a60
	s_ashr_i32 s27, s26, 31
	v_accvgpr_read_b32 v5, a61
	v_mul_lo_u32 v0, v4, s27
	v_mul_lo_u32 v1, v5, s26
	s_waitcnt lgkmcnt(0)
	v_mad_u64_u32 v[2:3], s[26:27], v4, s26, 0
	v_add3_u32 v3, v3, v0, v1
	v_accvgpr_read_b32 v0, a62
	v_accvgpr_read_b32 v1, a63
	v_sub_co_u32_e32 v0, vcc, v0, v2
	v_subb_co_u32_e32 v1, vcc, v1, v3, vcc
	v_cmp_lt_i64_e32 vcc, v[4:5], v[0:1]
	v_cndmask_b32_e32 v0, v0, v4, vcc
	v_max_i32_e32 v30, 0, v0
	v_add_u32_e32 v1, 31, v30
	v_lshrrev_b32_e32 v1, 1, v1
	v_and_b32_e32 v1, 0x3ffffff0, v1
	v_cmp_lt_i32_e32 vcc, 0, v0
	v_max_i32_e32 v18, s85, v1
	s_and_b64 s[26:27], s[50:51], vcc
	v_mov_b32_e32 v0, 0
	s_waitcnt lgkmcnt(0)
	v_mov_b32_e32 v20, 0
	s_and_saveexec_b64 s[34:35], s[26:27]
	s_cbranch_execz .LBB4_2125
; %bb.1873:                             ;   in Loop: Header=BB4_1872 Depth=2
	v_accvgpr_read_b32 v0, a8
	v_accvgpr_read_b32 v1, a9
	v_add_co_u32_e32 v0, vcc, v2, v0
	v_addc_co_u32_e32 v1, vcc, v3, v1, vcc
	s_mov_b32 s71, 1
	s_mov_b64 s[52:53], -1
	s_mov_b64 s[36:37], 0
	v_mov_b32_e32 v20, 0
	v_lshlrev_b64 v[22:23], 1, v[0:1]
	s_branch .LBB4_1875
.LBB4_1874:                             ;   in Loop: Header=BB4_1875 Depth=3
	s_or_b64 exec, exec, s[26:27]
	v_add_u32_e32 v20, v18, v20
	v_cmp_ge_i32_e32 vcc, v20, v30
	s_xor_b64 s[26:27], s[52:53], -1
	s_or_b64 s[26:27], s[26:27], vcc
	s_and_b64 s[26:27], exec, s[26:27]
	s_or_b64 s[36:37], s[26:27], s[36:37]
	s_mov_b64 s[52:53], 0
	v_mov_b32_e32 v0, s71
	s_mov_b32 s71, 2
	s_andn2_b64 exec, exec, s[36:37]
	s_cbranch_execz .LBB4_2200
.LBB4_1875:                             ;   Parent Loop BB4_47 Depth=1
                                        ;     Parent Loop BB4_1872 Depth=2
                                        ; =>    This Loop Header: Depth=3
                                        ;         Child Loop BB4_1883 Depth 4
                                        ;         Child Loop BB4_1911 Depth 4
                                        ;         Child Loop BB4_1930 Depth 4
                                        ;         Child Loop BB4_1952 Depth 4
                                        ;           Child Loop BB4_1954 Depth 5
                                        ;           Child Loop BB4_1959 Depth 5
                                        ;         Child Loop BB4_1967 Depth 4
                                        ;         Child Loop BB4_1972 Depth 4
                                        ;           Child Loop BB4_1974 Depth 5
                                        ;           Child Loop BB4_1979 Depth 5
                                        ;         Child Loop BB4_1985 Depth 4
                                        ;         Child Loop BB4_1993 Depth 4
	;; [unrolled: 1-line block ×3, first 2 shown]
                                        ;           Child Loop BB4_2005 Depth 5
                                        ;           Child Loop BB4_2010 Depth 5
                                        ;         Child Loop BB4_2015 Depth 4
                                        ;         Child Loop BB4_2028 Depth 4
	;; [unrolled: 1-line block ×7, first 2 shown]
	s_and_saveexec_b64 s[26:27], s[4:5]
	s_cbranch_execz .LBB4_1877
; %bb.1876:                             ;   in Loop: Header=BB4_1875 Depth=3
	s_trap 2
	s_waitcnt lgkmcnt(0)
	ds_read_b128 v[0:3], v0
	v_ashrrev_i32_e32 v21, 31, v20
	s_waitcnt lgkmcnt(0)
	v_add_co_u32_e32 v4, vcc, v0, v22
	v_addc_co_u32_e32 v5, vcc, v1, v23, vcc
	v_lshlrev_b64 v[0:1], 1, v[20:21]
	v_add_co_u32_e32 v4, vcc, v4, v0
	v_addc_co_u32_e32 v5, vcc, v5, v1, vcc
	ds_write_b64 v0, v[4:5]
	v_add_co_u32_e32 v4, vcc, v2, v22
	v_addc_co_u32_e32 v5, vcc, v3, v23, vcc
	v_add_co_u32_e32 v0, vcc, v4, v0
	v_addc_co_u32_e32 v1, vcc, v5, v1, vcc
	v_cmp_ne_u64_e32 vcc, 0, v[2:3]
	v_cndmask_b32_e32 v1, 0, v1, vcc
	v_cndmask_b32_e32 v0, 0, v0, vcc
	ds_write_b64 v0, v[0:1]
.LBB4_1877:                             ;   in Loop: Header=BB4_1875 Depth=3
	s_or_b64 exec, exec, s[26:27]
	v_and_b32_e32 v0, 12, v62
	v_cmp_ne_u32_e32 vcc, 0, v0
	s_mov_b64 s[28:29], -1
	s_and_saveexec_b64 s[26:27], vcc
	s_cbranch_execz .LBB4_1889
; %bb.1878:                             ;   in Loop: Header=BB4_1875 Depth=3
	v_and_b32_e32 v0, 8, v62
	v_add_co_u32_e32 v4, vcc, v60, v0
	v_addc_co_u32_e32 v5, vcc, 0, v61, vcc
	s_waitcnt lgkmcnt(0)
	v_add_co_u32_e32 v2, vcc, 2, v44
	v_addc_co_u32_e32 v3, vcc, 0, v45, vcc
	v_cmp_lt_u64_e32 vcc, v[4:5], v[2:3]
	v_mov_b32_e32 v1, 1
	s_and_saveexec_b64 s[28:29], vcc
	s_cbranch_execz .LBB4_1888
; %bb.1879:                             ;   in Loop: Header=BB4_1875 Depth=3
	s_mov_b64 s[30:31], 0
	v_mov_b32_e32 v1, 0
                                        ; implicit-def: $sgpr54_sgpr55
	s_branch .LBB4_1883
.LBB4_1880:                             ;   in Loop: Header=BB4_1883 Depth=4
	s_or_b64 exec, exec, s[62:63]
	v_mov_b32_e32 v4, 0
	s_orn2_b64 s[60:61], s[60:61], exec
.LBB4_1881:                             ;   in Loop: Header=BB4_1883 Depth=4
	s_or_b64 exec, exec, s[58:59]
	s_andn2_b64 vcc, s[54:55], exec
	s_and_b64 s[54:55], s[60:61], exec
	s_or_b64 s[54:55], vcc, s[54:55]
	v_mov_b32_e32 v1, v4
.LBB4_1882:                             ;   in Loop: Header=BB4_1883 Depth=4
	s_or_b64 exec, exec, s[56:57]
	s_waitcnt vmcnt(0) lgkmcnt(0)
	v_add_co_u32_e32 v4, vcc, v60, v0
	v_addc_co_u32_e32 v5, vcc, 0, v61, vcc
	v_cmp_ge_u64_e32 vcc, v[4:5], v[2:3]
	s_xor_b64 s[56:57], s[54:55], -1
	s_or_b64 vcc, s[56:57], vcc
	s_and_b64 vcc, exec, vcc
	s_or_b64 s[30:31], vcc, s[30:31]
	s_andn2_b64 exec, exec, s[30:31]
	s_cbranch_execz .LBB4_1887
.LBB4_1883:                             ;   Parent Loop BB4_47 Depth=1
                                        ;     Parent Loop BB4_1872 Depth=2
                                        ;       Parent Loop BB4_1875 Depth=3
                                        ; =>      This Inner Loop Header: Depth=4
	s_sleep 1
	flat_load_dwordx2 v[60:61], v[46:47] glc
	v_and_b32_e32 v4, 64, v62
	v_cmp_eq_u32_e32 vcc, 0, v4
	s_andn2_b64 s[54:55], s[54:55], exec
	s_and_saveexec_b64 s[56:57], vcc
	s_cbranch_execz .LBB4_1882
; %bb.1884:                             ;   in Loop: Header=BB4_1883 Depth=4
	v_add_u32_e32 v4, 1, v1
	v_cmp_lt_i32_e32 vcc, s89, v1
	s_mov_b64 s[60:61], -1
	s_and_saveexec_b64 s[58:59], vcc
	s_cbranch_execz .LBB4_1881
; %bb.1885:                             ;   in Loop: Header=BB4_1883 Depth=4
	s_trap 2
	ds_read_b64 v[4:5], v0
	s_waitcnt vmcnt(0) lgkmcnt(0)
	flat_load_dword v1, v[4:5] glc
	s_waitcnt vmcnt(0) lgkmcnt(0)
	buffer_invl2
	buffer_wbinvl1_vol
	v_cmp_ne_u32_e32 vcc, 0, v1
	s_and_saveexec_b64 s[62:63], vcc
	s_cbranch_execz .LBB4_1880
; %bb.1886:                             ;   in Loop: Header=BB4_1883 Depth=4
	v_or_b32_e32 v62, 64, v62
	s_xor_b64 s[60:61], exec, -1
	ds_write_b32 v0, v1
	s_trap 2
	s_branch .LBB4_1880
.LBB4_1887:                             ;   in Loop: Header=BB4_1875 Depth=3
	s_or_b64 exec, exec, s[30:31]
	v_and_b32_e32 v1, 12, v62
.LBB4_1888:                             ;   in Loop: Header=BB4_1875 Depth=3
	s_or_b64 exec, exec, s[28:29]
	v_cmp_eq_u32_e32 vcc, 0, v1
	s_orn2_b64 s[28:29], vcc, exec
	;;#ASMSTART
	s_wakeup
	;;#ASMEND
.LBB4_1889:                             ;   in Loop: Header=BB4_1875 Depth=3
	s_or_b64 exec, exec, s[26:27]
	v_sub_u32_e32 v0, v30, v20
	s_xor_b64 s[26:27], s[28:29], -1
	v_min_i32_e32 v18, v18, v0
	s_and_saveexec_b64 s[28:29], s[26:27]
	s_cbranch_execz .LBB4_1903
; %bb.1890:                             ;   in Loop: Header=BB4_1875 Depth=3
	v_and_b32_e32 v0, 0x108, v62
	v_cmp_ne_u32_e32 vcc, s90, v0
	v_and_b32_e32 v0, 7, v44
	s_and_saveexec_b64 s[26:27], vcc
	s_xor_b64 s[26:27], exec, s[26:27]
                                        ; implicit-def: $vgpr2_vgpr3
	s_cbranch_execz .LBB4_1892
; %bb.1891:                             ;   in Loop: Header=BB4_1875 Depth=3
	s_waitcnt lgkmcnt(0)
	v_mov_b32_e32 v3, v42
.LBB4_1892:                             ;   in Loop: Header=BB4_1875 Depth=3
	s_andn2_saveexec_b64 s[26:27], s[26:27]
	s_cbranch_execz .LBB4_1894
; %bb.1893:                             ;   in Loop: Header=BB4_1875 Depth=3
	v_ashrrev_i32_e32 v19, 31, v18
	s_waitcnt lgkmcnt(0)
	v_mov_b32_e32 v3, v42
	v_mad_u64_u32 v[4:5], vcc, v0, 24, v[48:49]
	v_lshlrev_b64 v[8:9], 1, v[18:19]
	flat_store_dwordx2 v[4:5], v[8:9] offset:8
.LBB4_1894:                             ;   in Loop: Header=BB4_1875 Depth=3
	s_or_b64 exec, exec, s[26:27]
	v_and_b32_e32 v1, 0x100, v62
	v_cmp_ne_u32_e32 vcc, 0, v1
	s_mov_b64 s[26:27], -1
                                        ; implicit-def: $vgpr4_vgpr5
	s_and_saveexec_b64 s[30:31], vcc
	s_cbranch_execz .LBB4_1898
; %bb.1895:                             ;   in Loop: Header=BB4_1875 Depth=3
	v_mad_u64_u32 v[8:9], s[26:27], v0, 24, v[48:49]
	s_waitcnt lgkmcnt(0)
	v_mov_b32_e32 v2, v9
	v_mad_u64_u32 v[4:5], s[26:27], v3, 24, v[2:3]
	v_mov_b32_e32 v9, v4
	flat_load_dword v1, v[8:9]
                                        ; implicit-def: $vgpr4_vgpr5
	s_waitcnt vmcnt(0) lgkmcnt(0)
	v_cmp_ne_u32_e32 vcc, 1, v1
	v_cmp_eq_u32_e64 s[26:27], 1, v1
	s_and_saveexec_b64 s[54:55], s[26:27]
	s_cbranch_execz .LBB4_1897
; %bb.1896:                             ;   in Loop: Header=BB4_1875 Depth=3
	flat_load_dword v4, v[8:9] offset:4 glc
	s_waitcnt vmcnt(0) lgkmcnt(0)
	v_ashrrev_i32_e32 v5, 31, v4
	v_lshrrev_b64 v[4:5], 1, v[4:5]
.LBB4_1897:                             ;   in Loop: Header=BB4_1875 Depth=3
	s_or_b64 exec, exec, s[54:55]
	s_orn2_b64 s[26:27], vcc, exec
.LBB4_1898:                             ;   in Loop: Header=BB4_1875 Depth=3
	s_or_b64 exec, exec, s[30:31]
	s_and_saveexec_b64 vcc, s[26:27]
	s_cbranch_execz .LBB4_1900
; %bb.1899:                             ;   in Loop: Header=BB4_1875 Depth=3
	s_waitcnt lgkmcnt(0)
	v_mul_lo_u32 v1, v3, v38
	v_accvgpr_read_b32 v3, a53
	v_mul_lo_u32 v2, v0, v3
	v_mad_u64_u32 v[4:5], s[26:27], v0, v38, 0
	v_add3_u32 v5, v5, v2, v1
.LBB4_1900:                             ;   in Loop: Header=BB4_1875 Depth=3
	s_or_b64 exec, exec, vcc
	v_lshlrev_b64 v[0:1], 1, v[4:5]
	v_add_co_u32_e32 v0, vcc, v52, v0
	v_addc_co_u32_e32 v1, vcc, v53, v1, vcc
	s_trap 2
	ds_write_b64 v0, v[0:1]
	v_and_b32_e32 v0, 0x2000, v62
	v_cmp_ne_u32_e32 vcc, 0, v0
	s_and_saveexec_b64 s[26:27], vcc
	s_cbranch_execz .LBB4_1902
; %bb.1901:                             ;   in Loop: Header=BB4_1875 Depth=3
	ds_read_b64 v[0:1], v0 offset:584
	s_waitcnt lgkmcnt(0)
	v_add_co_u32_e32 v0, vcc, 1, v0
	v_addc_co_u32_e32 v1, vcc, 0, v1, vcc
	ds_write_b64 v0, v[0:1] offset:584
.LBB4_1902:                             ;   in Loop: Header=BB4_1875 Depth=3
	s_or_b64 exec, exec, s[26:27]
	v_add_co_u32_e32 v44, vcc, 2, v44
	v_addc_co_u32_e32 v45, vcc, 0, v45, vcc
.LBB4_1903:                             ;   in Loop: Header=BB4_1875 Depth=3
	s_or_b64 exec, exec, s[28:29]
	s_and_saveexec_b64 s[26:27], s[10:11]
	s_cbranch_execz .LBB4_1922
; %bb.1904:                             ;   in Loop: Header=BB4_1875 Depth=3
	s_and_saveexec_b64 s[28:29], s[44:45]
	s_xor_b64 s[28:29], exec, s[28:29]
	s_cbranch_execz .LBB4_1919
; %bb.1905:                             ;   in Loop: Header=BB4_1875 Depth=3
	s_and_saveexec_b64 s[30:31], s[16:17]
	s_cbranch_execz .LBB4_1918
; %bb.1906:                             ;   in Loop: Header=BB4_1875 Depth=3
	s_mov_b64 s[56:57], exec
	v_mbcnt_lo_u32_b32 v0, s56, 0
	v_mbcnt_hi_u32_b32 v0, s57, v0
	v_cmp_eq_u32_e32 vcc, 0, v0
	s_waitcnt vmcnt(0) lgkmcnt(0)
	buffer_wbinvl1_vol
	s_and_saveexec_b64 s[54:55], vcc
	s_cbranch_execz .LBB4_1908
; %bb.1907:                             ;   in Loop: Header=BB4_1875 Depth=3
	s_bcnt1_i32_b64 vcc_lo, s[56:57]
	v_mov_b32_e32 v0, vcc_lo
	v_mov_b32_e32 v1, v42
	ds_add_u64 v0, v[0:1]
	s_trap 2
.LBB4_1908:                             ;   in Loop: Header=BB4_1875 Depth=3
	s_or_b64 exec, exec, s[54:55]
	s_trap 2
	ds_read_b64 v[0:1], v0
	v_add_co_u32_e32 v40, vcc, v40, v28
	v_addc_co_u32_e32 v41, vcc, 0, v41, vcc
	s_waitcnt lgkmcnt(0)
	v_cmp_lt_u64_e32 vcc, v[0:1], v[40:41]
	s_and_saveexec_b64 s[54:55], vcc
	s_cbranch_execz .LBB4_1917
; %bb.1909:                             ;   in Loop: Header=BB4_1875 Depth=3
	s_mov_b32 s66, 0
	s_mov_b64 s[56:57], 0
                                        ; implicit-def: $sgpr58_sgpr59
                                        ; implicit-def: $sgpr60_sgpr61
	s_branch .LBB4_1911
.LBB4_1910:                             ;   in Loop: Header=BB4_1911 Depth=4
	s_or_b64 exec, exec, s[64:65]
	s_and_b64 vcc, exec, vcc
	s_or_b64 s[56:57], vcc, s[56:57]
	s_andn2_b64 vcc, s[58:59], exec
	s_and_b64 s[58:59], s[60:61], exec
	s_or_b64 s[58:59], vcc, s[58:59]
	s_andn2_b64 exec, exec, s[56:57]
	s_cbranch_execz .LBB4_1915
.LBB4_1911:                             ;   Parent Loop BB4_47 Depth=1
                                        ;     Parent Loop BB4_1872 Depth=2
                                        ;       Parent Loop BB4_1875 Depth=3
                                        ; =>      This Inner Loop Header: Depth=4
	s_add_i32 s66, s66, 1
	s_cmpk_lg_i32 s66, 0x2710
	s_cselect_b64 s[62:63], -1, 0
	s_and_b64 vcc, exec, s[62:63]
                                        ; implicit-def: $sgpr64_sgpr65
	s_cbranch_vccnz .LBB4_1913
; %bb.1912:                             ;   in Loop: Header=BB4_1911 Depth=4
	s_trap 2
	ds_read_b64 v[0:1], v0
	s_andn2_b64 s[62:63], s[62:63], exec
	s_mov_b32 s66, 0
	s_mov_b64 s[64:65], -1
	s_waitcnt lgkmcnt(0)
	flat_load_dword v0, v[0:1] glc
	s_waitcnt vmcnt(0) lgkmcnt(0)
	buffer_invl2
	buffer_wbinvl1_vol
	v_cmp_eq_u32_e32 vcc, 0, v0
	s_and_b64 vcc, vcc, exec
	s_or_b64 s[62:63], s[62:63], vcc
.LBB4_1913:                             ;   in Loop: Header=BB4_1911 Depth=4
	s_andn2_b64 s[60:61], s[60:61], exec
	s_and_b64 s[64:65], s[64:65], exec
	s_mov_b64 vcc, -1
	s_or_b64 s[60:61], s[60:61], s[64:65]
	s_and_saveexec_b64 s[64:65], s[62:63]
	s_cbranch_execz .LBB4_1910
; %bb.1914:                             ;   in Loop: Header=BB4_1911 Depth=4
	s_sleep 1
	s_trap 2
	ds_read_b64 v[0:1], v0
	s_andn2_b64 s[60:61], s[60:61], exec
	s_waitcnt lgkmcnt(0)
	v_cmp_ge_u64_e32 vcc, v[0:1], v[40:41]
	s_orn2_b64 vcc, vcc, exec
	s_branch .LBB4_1910
.LBB4_1915:                             ;   in Loop: Header=BB4_1875 Depth=3
	s_or_b64 exec, exec, s[56:57]
	s_and_saveexec_b64 vcc, s[58:59]
	s_xor_b64 vcc, exec, vcc
	s_cbranch_execz .LBB4_1917
; %bb.1916:                             ;   in Loop: Header=BB4_1875 Depth=3
	v_mov_b32_e32 v0, 1
	ds_write_b32 v0, v0
	s_trap 2
.LBB4_1917:                             ;   in Loop: Header=BB4_1875 Depth=3
	s_or_b64 exec, exec, s[54:55]
	;;#ASMSTART
	s_wakeup
	;;#ASMEND
.LBB4_1918:                             ;   in Loop: Header=BB4_1875 Depth=3
	s_or_b64 exec, exec, s[30:31]
.LBB4_1919:                             ;   in Loop: Header=BB4_1875 Depth=3
	s_andn2_saveexec_b64 s[28:29], s[28:29]
	s_cbranch_execz .LBB4_1921
; %bb.1920:                             ;   in Loop: Header=BB4_1875 Depth=3
	s_waitcnt vmcnt(0) lgkmcnt(0)
	buffer_wbinvl1_vol
	s_barrier
.LBB4_1921:                             ;   in Loop: Header=BB4_1875 Depth=3
	s_or_b64 exec, exec, s[28:29]
.LBB4_1922:                             ;   in Loop: Header=BB4_1875 Depth=3
	s_or_b64 exec, exec, s[26:27]
	s_trap 2
	ds_read_b32 v0, v0
	v_and_b32_e32 v1, 0x4000, v62
	v_cmp_ne_u32_e32 vcc, 0, v1
	s_xor_b64 s[26:27], s[6:7], -1
	s_and_b64 s[28:29], s[26:27], vcc
	s_and_saveexec_b64 s[26:27], s[28:29]
	s_cbranch_execz .LBB4_1941
; %bb.1923:                             ;   in Loop: Header=BB4_1875 Depth=3
	s_and_saveexec_b64 s[28:29], s[44:45]
	s_xor_b64 s[28:29], exec, s[28:29]
	s_cbranch_execz .LBB4_1938
; %bb.1924:                             ;   in Loop: Header=BB4_1875 Depth=3
	s_and_saveexec_b64 s[30:31], s[16:17]
	s_cbranch_execz .LBB4_1937
; %bb.1925:                             ;   in Loop: Header=BB4_1875 Depth=3
	s_mov_b64 s[56:57], exec
	v_mbcnt_lo_u32_b32 v1, s56, 0
	v_mbcnt_hi_u32_b32 v1, s57, v1
	v_cmp_eq_u32_e32 vcc, 0, v1
	s_waitcnt vmcnt(0) lgkmcnt(0)
	buffer_wbinvl1_vol
	s_and_saveexec_b64 s[54:55], vcc
	s_cbranch_execz .LBB4_1927
; %bb.1926:                             ;   in Loop: Header=BB4_1875 Depth=3
	s_bcnt1_i32_b64 vcc_lo, s[56:57]
	v_mov_b32_e32 v2, vcc_lo
	v_mov_b32_e32 v3, v42
	ds_add_u64 v0, v[2:3]
	s_trap 2
.LBB4_1927:                             ;   in Loop: Header=BB4_1875 Depth=3
	s_or_b64 exec, exec, s[54:55]
	s_trap 2
	ds_read_b64 v[2:3], v0
	v_add_co_u32_e32 v40, vcc, v40, v28
	v_addc_co_u32_e32 v41, vcc, 0, v41, vcc
	s_waitcnt lgkmcnt(0)
	v_cmp_lt_u64_e32 vcc, v[2:3], v[40:41]
	s_and_saveexec_b64 s[54:55], vcc
	s_cbranch_execz .LBB4_1936
; %bb.1928:                             ;   in Loop: Header=BB4_1875 Depth=3
	s_mov_b32 s66, 0
	s_mov_b64 s[56:57], 0
                                        ; implicit-def: $sgpr58_sgpr59
                                        ; implicit-def: $sgpr60_sgpr61
	s_branch .LBB4_1930
.LBB4_1929:                             ;   in Loop: Header=BB4_1930 Depth=4
	s_or_b64 exec, exec, s[64:65]
	s_and_b64 vcc, exec, vcc
	s_or_b64 s[56:57], vcc, s[56:57]
	s_andn2_b64 vcc, s[58:59], exec
	s_and_b64 s[58:59], s[60:61], exec
	s_or_b64 s[58:59], vcc, s[58:59]
	s_andn2_b64 exec, exec, s[56:57]
	s_cbranch_execz .LBB4_1934
.LBB4_1930:                             ;   Parent Loop BB4_47 Depth=1
                                        ;     Parent Loop BB4_1872 Depth=2
                                        ;       Parent Loop BB4_1875 Depth=3
                                        ; =>      This Inner Loop Header: Depth=4
	s_add_i32 s66, s66, 1
	s_cmpk_lg_i32 s66, 0x2710
	s_cselect_b64 s[62:63], -1, 0
	s_and_b64 vcc, exec, s[62:63]
                                        ; implicit-def: $sgpr64_sgpr65
	s_cbranch_vccnz .LBB4_1932
; %bb.1931:                             ;   in Loop: Header=BB4_1930 Depth=4
	s_trap 2
	ds_read_b64 v[2:3], v0
	s_andn2_b64 s[62:63], s[62:63], exec
	s_mov_b32 s66, 0
	s_mov_b64 s[64:65], -1
	s_waitcnt lgkmcnt(0)
	flat_load_dword v1, v[2:3] glc
	s_waitcnt vmcnt(0) lgkmcnt(0)
	buffer_invl2
	buffer_wbinvl1_vol
	v_cmp_eq_u32_e32 vcc, 0, v1
	s_and_b64 vcc, vcc, exec
	s_or_b64 s[62:63], s[62:63], vcc
.LBB4_1932:                             ;   in Loop: Header=BB4_1930 Depth=4
	s_andn2_b64 s[60:61], s[60:61], exec
	s_and_b64 s[64:65], s[64:65], exec
	s_mov_b64 vcc, -1
	s_or_b64 s[60:61], s[60:61], s[64:65]
	s_and_saveexec_b64 s[64:65], s[62:63]
	s_cbranch_execz .LBB4_1929
; %bb.1933:                             ;   in Loop: Header=BB4_1930 Depth=4
	s_sleep 1
	s_trap 2
	ds_read_b64 v[2:3], v0
	s_andn2_b64 s[60:61], s[60:61], exec
	s_waitcnt lgkmcnt(0)
	v_cmp_ge_u64_e32 vcc, v[2:3], v[40:41]
	s_orn2_b64 vcc, vcc, exec
	s_branch .LBB4_1929
.LBB4_1934:                             ;   in Loop: Header=BB4_1875 Depth=3
	s_or_b64 exec, exec, s[56:57]
	s_and_saveexec_b64 vcc, s[58:59]
	s_xor_b64 vcc, exec, vcc
	s_cbranch_execz .LBB4_1936
; %bb.1935:                             ;   in Loop: Header=BB4_1875 Depth=3
	v_mov_b32_e32 v1, 1
	ds_write_b32 v0, v1
	s_trap 2
.LBB4_1936:                             ;   in Loop: Header=BB4_1875 Depth=3
	s_or_b64 exec, exec, s[54:55]
	;;#ASMSTART
	s_wakeup
	;;#ASMEND
.LBB4_1937:                             ;   in Loop: Header=BB4_1875 Depth=3
	s_or_b64 exec, exec, s[30:31]
.LBB4_1938:                             ;   in Loop: Header=BB4_1875 Depth=3
	s_andn2_saveexec_b64 s[28:29], s[28:29]
	s_cbranch_execz .LBB4_1940
; %bb.1939:                             ;   in Loop: Header=BB4_1875 Depth=3
	s_waitcnt vmcnt(0) lgkmcnt(0)
	buffer_wbinvl1_vol
	s_barrier
.LBB4_1940:                             ;   in Loop: Header=BB4_1875 Depth=3
	s_or_b64 exec, exec, s[28:29]
.LBB4_1941:                             ;   in Loop: Header=BB4_1875 Depth=3
	s_or_b64 exec, exec, s[26:27]
	s_trap 2
	s_waitcnt lgkmcnt(0)
	ds_read_b64 v[2:3], v0
	v_mov_b32_e32 v19, 0
	s_waitcnt lgkmcnt(0)
	v_readfirstlane_b32 s26, v2
	v_readfirstlane_b32 s27, v3
	s_cmp_eq_u64 s[26:27], 0
	s_cselect_b64 s[26:27], -1, 0
	s_or_b64 s[26:27], s[26:27], s[26:27]
	s_and_b64 vcc, exec, s[26:27]
	s_cbranch_vccnz .LBB4_2079
; %bb.1942:                             ;   in Loop: Header=BB4_1875 Depth=3
	s_trap 2
	ds_read_b64 v[2:3], v0
	v_cmp_eq_u32_e32 vcc, 0, v0
	v_cndmask_b32_e32 v19, 0, v18, vcc
	v_lshlrev_b32_e32 v21, 1, v19
	s_mov_b64 s[26:27], -1
	s_waitcnt lgkmcnt(0)
	v_cmp_ne_u64_e32 vcc, 0, v[2:3]
	s_cbranch_vccz .LBB4_2018
; %bb.1943:                             ;   in Loop: Header=BB4_1875 Depth=3
	s_and_saveexec_b64 s[28:29], s[20:21]
	s_cbranch_execz .LBB4_1945
; %bb.1944:                             ;   in Loop: Header=BB4_1875 Depth=3
	ds_read_b32 v0, v0 offset:720
	s_waitcnt lgkmcnt(0)
	v_and_b32_e32 v0, 15, v0
	v_cmp_eq_u32_e32 vcc, 0, v0
	s_orn2_b64 s[26:27], vcc, exec
.LBB4_1945:                             ;   in Loop: Header=BB4_1875 Depth=3
	s_or_b64 exec, exec, s[28:29]
	s_and_saveexec_b64 s[28:29], s[22:23]
	s_cbranch_execz .LBB4_1947
; %bb.1946:                             ;   in Loop: Header=BB4_1875 Depth=3
	ds_read_b32 v0, v0 offset:784
	s_waitcnt lgkmcnt(0)
	v_and_b32_e32 v0, 15, v0
	v_cmp_eq_u32_e32 vcc, 0, v0
	s_and_b64 vcc, s[26:27], vcc
	s_andn2_b64 s[26:27], s[26:27], exec
	s_and_b64 vcc, vcc, exec
	s_or_b64 s[26:27], s[26:27], vcc
.LBB4_1947:                             ;   in Loop: Header=BB4_1875 Depth=3
	s_or_b64 exec, exec, s[28:29]
	s_xor_b64 s[26:27], s[26:27], -1
	v_cndmask_b32_e64 v0, 0, 1, s[26:27]
	;;#ASMSTART
	;;#ASMEND
	s_trap 2
	ds_read_b64 v[24:25], v0
	s_mov_b64 s[26:27], -1
	v_cmp_ne_u32_e32 vcc, 0, v0
	s_cbranch_vccz .LBB4_1962
; %bb.1948:                             ;   in Loop: Header=BB4_1875 Depth=3
	s_trap 2
	ds_read_b64 v[26:27], v0
	s_mov_b64 s[54:55], -1
	s_mov_b32 s28, 0
	s_cbranch_execnz .LBB4_1963
.LBB4_1949:                             ;   in Loop: Header=BB4_1875 Depth=3
	v_ashrrev_i32_e32 v0, 31, v21
	v_lshrrev_b32_e32 v0, 22, v0
	v_add_u32_e32 v0, v21, v0
	s_trap 2
	s_waitcnt lgkmcnt(0)
	ds_read_b64 v[26:27], v0
	v_ashrrev_i32_e32 v1, 10, v0
	v_and_b32_e32 v6, 0xfffffc00, v0
	v_add_co_u32_e32 v0, vcc, v24, v50
	v_accvgpr_read_b32 v5, a55
	v_sub_u32_e32 v31, v21, v6
	v_addc_co_u32_e32 v3, vcc, v25, v5, vcc
	s_waitcnt lgkmcnt(0)
	v_add_co_u32_e32 v2, vcc, v26, v50
	v_cmp_lt_i32_e64 s[26:27], 15, v31
	v_accvgpr_read_b32 v4, a36
	v_sub_u32_e32 v8, v21, v50
	v_addc_co_u32_e32 v9, vcc, v27, v5, vcc
	v_addc_co_u32_e64 v32, vcc, v1, v4, s[26:27]
	v_cmp_lt_i32_e32 vcc, 15, v8
	s_mov_b64 s[28:29], 0
                                        ; implicit-def: $vgpr10_vgpr11
	s_and_saveexec_b64 s[56:57], vcc
	s_cbranch_execz .LBB4_1965
; %bb.1950:                             ;   in Loop: Header=BB4_1875 Depth=3
	s_trap 2
	ds_read_b64 v[4:5], v0
	v_accvgpr_read_b32 v1, a55
	s_mov_b64 s[62:63], 0
	s_mov_b64 s[58:59], 0
                                        ; implicit-def: $sgpr60_sgpr61
                                        ; implicit-def: $vgpr10_vgpr11
	s_waitcnt lgkmcnt(0)
	v_add_co_u32_e32 v4, vcc, v4, v50
	v_addc_co_u32_e32 v5, vcc, v5, v1, vcc
	s_branch .LBB4_1952
.LBB4_1951:                             ;   in Loop: Header=BB4_1952 Depth=4
	s_or_b64 exec, exec, s[28:29]
	v_cmp_gt_i32_e32 vcc, 16, v8
	s_or_b64 s[58:59], vcc, s[58:59]
	s_andn2_b64 s[28:29], s[60:61], exec
	s_and_b64 vcc, s[62:63], exec
	s_or_b64 s[60:61], s[28:29], vcc
	s_andn2_b64 exec, exec, s[58:59]
	s_cbranch_execz .LBB4_1964
.LBB4_1952:                             ;   Parent Loop BB4_47 Depth=1
                                        ;     Parent Loop BB4_1872 Depth=2
                                        ;       Parent Loop BB4_1875 Depth=3
                                        ; =>      This Loop Header: Depth=4
                                        ;           Child Loop BB4_1954 Depth 5
                                        ;           Child Loop BB4_1959 Depth 5
	global_load_dwordx4 v[14:17], v[4:5], off glc slc
	s_and_saveexec_b64 s[64:65], s[62:63]
	s_cbranch_execz .LBB4_1956
; %bb.1953:                             ;   in Loop: Header=BB4_1952 Depth=4
	s_mov_b64 s[66:67], 0
	s_mov_b64 s[62:63], -1
.LBB4_1954:                             ;   Parent Loop BB4_47 Depth=1
                                        ;     Parent Loop BB4_1872 Depth=2
                                        ;       Parent Loop BB4_1875 Depth=3
                                        ;         Parent Loop BB4_1952 Depth=4
                                        ; =>        This Inner Loop Header: Depth=5
	s_cmp_eq_u32 s66, 1
	s_cselect_b64 s[28:29], -1, 0
	v_cndmask_b32_e64 v34, v0, v2, s[28:29]
	v_cndmask_b32_e64 v35, v3, v9, s[28:29]
	v_add_co_u32_e32 v1, vcc, 0x400, v34
	s_cmp_eq_u32 s66, 0
	v_addc_co_u32_e32 v29, vcc, 0, v35, vcc
	s_cselect_b64 vcc, -1, 0
	s_and_b64 s[30:31], exec, s[62:63]
	s_mov_b64 s[66:67], 1
	v_cndmask_b32_e64 v2, v2, v1, s[28:29]
	s_mov_b64 s[62:63], 0
	v_cndmask_b32_e64 v9, v9, v29, s[28:29]
	v_cndmask_b32_e32 v3, v3, v29, vcc
	v_cndmask_b32_e32 v0, v0, v1, vcc
	s_mov_b64 vcc, s[30:31]
	global_store_dwordx4 v[34:35], v[10:13], off glc slc
	s_cbranch_vccnz .LBB4_1954
; %bb.1955:                             ;   in Loop: Header=BB4_1952 Depth=4
	v_accvgpr_read_b32 v34, a28
	v_add_co_u32_e32 v0, vcc, v0, v34
	v_accvgpr_read_b32 v1, a33
	v_addc_co_u32_e32 v3, vcc, v3, v1, vcc
	v_add_co_u32_e32 v2, vcc, v2, v34
	v_addc_co_u32_e32 v9, vcc, v9, v1, vcc
.LBB4_1956:                             ;   in Loop: Header=BB4_1952 Depth=4
	s_or_b64 exec, exec, s[64:65]
	v_accvgpr_read_b32 v1, a37
	v_add_co_u32_e32 v4, vcc, v1, v4
	v_accvgpr_read_b32 v1, a38
	v_sub_u32_e32 v8, v8, v39
	v_addc_co_u32_e32 v5, vcc, v1, v5, vcc
	v_cmp_lt_i32_e64 s[62:63], 15, v8
	s_and_saveexec_b64 s[28:29], s[62:63]
	s_cbranch_execz .LBB4_1958
; %bb.1957:                             ;   in Loop: Header=BB4_1952 Depth=4
	global_load_dwordx4 v[10:13], v[4:5], off glc slc
	v_add_co_u32_e32 v4, vcc, 0x400, v4
	v_addc_co_u32_e32 v5, vcc, 0, v5, vcc
.LBB4_1958:                             ;   in Loop: Header=BB4_1952 Depth=4
	s_or_b64 exec, exec, s[28:29]
	s_mov_b64 s[66:67], 0
	s_mov_b64 s[64:65], -1
	s_waitcnt vmcnt(0)
.LBB4_1959:                             ;   Parent Loop BB4_47 Depth=1
                                        ;     Parent Loop BB4_1872 Depth=2
                                        ;       Parent Loop BB4_1875 Depth=3
                                        ;         Parent Loop BB4_1952 Depth=4
                                        ; =>        This Inner Loop Header: Depth=5
	s_cmp_eq_u32 s66, 1
	s_cselect_b64 s[28:29], -1, 0
	v_cndmask_b32_e64 v34, v0, v2, s[28:29]
	v_cndmask_b32_e64 v35, v3, v9, s[28:29]
	v_add_co_u32_e32 v1, vcc, 0x400, v34
	s_cmp_eq_u32 s66, 0
	v_addc_co_u32_e32 v29, vcc, 0, v35, vcc
	s_cselect_b64 vcc, -1, 0
	s_and_b64 s[30:31], exec, s[64:65]
	s_mov_b64 s[66:67], 1
	v_cndmask_b32_e64 v2, v2, v1, s[28:29]
	s_mov_b64 s[64:65], 0
	v_cndmask_b32_e64 v9, v9, v29, s[28:29]
	v_cndmask_b32_e32 v3, v3, v29, vcc
	v_cndmask_b32_e32 v0, v0, v1, vcc
	s_mov_b64 vcc, s[30:31]
	global_store_dwordx4 v[34:35], v[14:17], off glc slc
	s_cbranch_vccnz .LBB4_1959
; %bb.1960:                             ;   in Loop: Header=BB4_1952 Depth=4
	v_sub_u32_e32 v32, v32, v28
	s_and_saveexec_b64 s[28:29], s[62:63]
	s_cbranch_execz .LBB4_1951
; %bb.1961:                             ;   in Loop: Header=BB4_1952 Depth=4
	v_accvgpr_read_b32 v14, a28
	v_add_co_u32_e32 v0, vcc, v0, v14
	v_accvgpr_read_b32 v1, a33
	v_addc_co_u32_e32 v3, vcc, v3, v1, vcc
	v_add_co_u32_e32 v2, vcc, v2, v14
	v_addc_co_u32_e32 v9, vcc, v9, v1, vcc
	v_add_co_u32_e32 v4, vcc, v4, v14
	v_addc_co_u32_e32 v5, vcc, v5, v1, vcc
	v_sub_u32_e32 v8, v8, v39
	v_sub_u32_e32 v32, v32, v28
	s_branch .LBB4_1951
.LBB4_1962:                             ;   in Loop: Header=BB4_1875 Depth=3
	s_mov_b64 s[54:55], 0
                                        ; implicit-def: $sgpr28
                                        ; implicit-def: $vgpr26_vgpr27
	s_andn2_b64 vcc, exec, s[26:27]
	s_cbranch_vccz .LBB4_1949
.LBB4_1963:                             ;   in Loop: Header=BB4_1875 Depth=3
	v_mov_b32_e32 v13, s28
	v_mov_b32_e32 v12, v21
	v_accvgpr_read_b32 v14, a35
	v_accvgpr_read_b32 v2, a29
	s_and_saveexec_b64 s[30:31], s[54:55]
	s_cbranch_execnz .LBB4_1990
	s_branch .LBB4_2017
.LBB4_1964:                             ;   in Loop: Header=BB4_1875 Depth=3
	s_or_b64 exec, exec, s[58:59]
	v_accvgpr_read_b32 v16, a30
	s_and_b64 s[28:29], s[60:61], exec
	v_accvgpr_read_b32 v17, a31
.LBB4_1965:                             ;   in Loop: Header=BB4_1875 Depth=3
	s_or_b64 exec, exec, s[56:57]
	s_and_saveexec_b64 s[56:57], s[28:29]
	s_cbranch_execz .LBB4_1968
; %bb.1966:                             ;   in Loop: Header=BB4_1875 Depth=3
	s_mov_b64 s[60:61], 0
	s_mov_b64 s[58:59], -1
.LBB4_1967:                             ;   Parent Loop BB4_47 Depth=1
                                        ;     Parent Loop BB4_1872 Depth=2
                                        ;       Parent Loop BB4_1875 Depth=3
                                        ; =>      This Inner Loop Header: Depth=4
	s_cmp_eq_u32 s60, 1
	s_cselect_b64 s[28:29], -1, 0
	v_cndmask_b32_e64 v4, v0, v2, s[28:29]
	v_cndmask_b32_e64 v5, v3, v9, s[28:29]
	v_add_co_u32_e32 v1, vcc, 0x400, v4
	s_cmp_eq_u32 s60, 0
	global_store_dwordx4 v[4:5], v[10:13], off glc slc
	v_addc_co_u32_e32 v4, vcc, 0, v5, vcc
	s_cselect_b64 vcc, -1, 0
	s_and_b64 s[30:31], exec, s[58:59]
	s_mov_b64 s[60:61], 1
	v_cndmask_b32_e64 v2, v2, v1, s[28:29]
	s_mov_b64 s[58:59], 0
	v_cndmask_b32_e64 v9, v9, v4, s[28:29]
	v_cndmask_b32_e32 v3, v3, v4, vcc
	v_cndmask_b32_e32 v0, v0, v1, vcc
	s_mov_b64 vcc, s[30:31]
	s_cbranch_vccnz .LBB4_1967
.LBB4_1968:                             ;   in Loop: Header=BB4_1875 Depth=3
	s_or_b64 exec, exec, s[56:57]
	v_and_b32_e32 v0, 14, v21
	v_cndmask_b32_e64 v8, v31, v0, s[26:27]
	v_cmp_ne_u32_e32 vcc, 0, v8
                                        ; implicit-def: $vgpr12
                                        ; implicit-def: $vgpr13
                                        ; implicit-def: $vgpr14
                                        ; implicit-def: $vgpr2
	s_and_saveexec_b64 s[56:57], vcc
	s_cbranch_execz .LBB4_1989
; %bb.1969:                             ;   in Loop: Header=BB4_1875 Depth=3
	v_sub_u32_e32 v0, v31, v0
	v_cndmask_b32_e64 v0, 0, v0, s[26:27]
	v_cmp_lt_i32_e32 vcc, 0, v32
	v_add_u32_e32 v6, v0, v6
	v_cndmask_b32_e32 v0, 0, v28, vcc
	v_sub_u32_e32 v0, v0, v32
	v_accvgpr_read_b32 v1, a35
	v_lshl_add_u32 v0, v0, 6, v1
	v_ashrrev_i32_e32 v1, 31, v0
	v_lshrrev_b32_e32 v1, 26, v1
	v_add_u32_e32 v1, v0, v1
	v_ashrrev_i32_e32 v10, 6, v1
	v_and_b32_e32 v1, 0xffffffc0, v1
	v_sub_u32_e32 v31, v0, v1
	v_lshlrev_b32_e32 v0, 4, v31
	v_lshl_add_u32 v0, v10, 10, v0
	v_add_u32_e32 v4, v0, v6
	v_sub_u32_e32 v29, v8, v0
	v_ashrrev_i32_e32 v0, 31, v8
	v_lshrrev_b32_e32 v0, 22, v0
	v_add_u32_e32 v0, v8, v0
	v_and_b32_e32 v32, 0xfffffc00, v0
	v_sub_u32_e32 v33, v8, v32
	v_ashrrev_i32_e32 v1, 10, v0
	v_cmp_lt_i32_e64 s[26:27], 15, v33
	v_addc_co_u32_e64 v1, vcc, 0, v1, s[26:27]
	v_ashrrev_i32_e32 v5, 31, v4
	v_add_co_u32_e32 v0, vcc, v4, v24
	v_addc_co_u32_e32 v3, vcc, v5, v25, vcc
	v_add_co_u32_e32 v2, vcc, v4, v26
	v_addc_co_u32_e32 v9, vcc, v5, v27, vcc
	v_sub_u32_e32 v34, v1, v10
	v_cmp_lt_i32_e32 vcc, 15, v29
	s_mov_b64 s[28:29], 0
                                        ; implicit-def: $vgpr10_vgpr11
	s_and_saveexec_b64 s[58:59], vcc
	s_cbranch_execz .LBB4_1983
; %bb.1970:                             ;   in Loop: Header=BB4_1875 Depth=3
	s_trap 2
	ds_read_b64 v[10:11], v0
	s_mov_b64 s[64:65], 0
	s_mov_b64 s[60:61], 0
                                        ; implicit-def: $sgpr62_sgpr63
	s_waitcnt lgkmcnt(0)
	v_add_co_u32_e32 v4, vcc, v10, v4
	v_addc_co_u32_e32 v5, vcc, v11, v5, vcc
                                        ; implicit-def: $vgpr10_vgpr11
	s_branch .LBB4_1972
.LBB4_1971:                             ;   in Loop: Header=BB4_1972 Depth=4
	s_or_b64 exec, exec, s[28:29]
	v_cmp_gt_i32_e32 vcc, 16, v29
	s_or_b64 s[60:61], vcc, s[60:61]
	s_andn2_b64 s[28:29], s[62:63], exec
	s_and_b64 vcc, s[64:65], exec
	s_or_b64 s[62:63], s[28:29], vcc
	s_andn2_b64 exec, exec, s[60:61]
	s_cbranch_execz .LBB4_1982
.LBB4_1972:                             ;   Parent Loop BB4_47 Depth=1
                                        ;     Parent Loop BB4_1872 Depth=2
                                        ;       Parent Loop BB4_1875 Depth=3
                                        ; =>      This Loop Header: Depth=4
                                        ;           Child Loop BB4_1974 Depth 5
                                        ;           Child Loop BB4_1979 Depth 5
	global_load_dwordx4 v[14:17], v[4:5], off glc slc
	s_and_saveexec_b64 s[66:67], s[64:65]
	s_cbranch_execz .LBB4_1976
; %bb.1973:                             ;   in Loop: Header=BB4_1972 Depth=4
	s_mov_b64 s[68:69], 0
	s_mov_b64 s[64:65], -1
.LBB4_1974:                             ;   Parent Loop BB4_47 Depth=1
                                        ;     Parent Loop BB4_1872 Depth=2
                                        ;       Parent Loop BB4_1875 Depth=3
                                        ;         Parent Loop BB4_1972 Depth=4
                                        ; =>        This Inner Loop Header: Depth=5
	s_cmp_eq_u32 s68, 1
	s_cselect_b64 s[28:29], -1, 0
	v_cndmask_b32_e64 v36, v0, v2, s[28:29]
	v_cndmask_b32_e64 v37, v3, v9, s[28:29]
	v_add_co_u32_e32 v1, vcc, 0x400, v36
	s_cmp_eq_u32 s68, 0
	v_addc_co_u32_e32 v35, vcc, 0, v37, vcc
	s_cselect_b64 vcc, -1, 0
	s_and_b64 s[30:31], exec, s[64:65]
	s_mov_b64 s[68:69], 1
	v_cndmask_b32_e64 v2, v2, v1, s[28:29]
	s_mov_b64 s[64:65], 0
	v_cndmask_b32_e64 v9, v9, v35, s[28:29]
	v_cndmask_b32_e32 v3, v3, v35, vcc
	v_cndmask_b32_e32 v0, v0, v1, vcc
	s_mov_b64 vcc, s[30:31]
	global_store_dwordx4 v[36:37], v[10:13], off glc slc
	s_cbranch_vccnz .LBB4_1974
; %bb.1975:                             ;   in Loop: Header=BB4_1972 Depth=4
	v_accvgpr_read_b32 v36, a28
	v_add_co_u32_e32 v0, vcc, v0, v36
	v_accvgpr_read_b32 v1, a33
	v_addc_co_u32_e32 v3, vcc, v3, v1, vcc
	v_add_co_u32_e32 v2, vcc, v2, v36
	v_addc_co_u32_e32 v9, vcc, v9, v1, vcc
.LBB4_1976:                             ;   in Loop: Header=BB4_1972 Depth=4
	s_or_b64 exec, exec, s[66:67]
	v_accvgpr_read_b32 v1, a37
	v_add_co_u32_e32 v4, vcc, v1, v4
	v_accvgpr_read_b32 v1, a38
	v_sub_u32_e32 v29, v29, v39
	v_addc_co_u32_e32 v5, vcc, v1, v5, vcc
	v_cmp_lt_i32_e64 s[64:65], 15, v29
	s_and_saveexec_b64 s[28:29], s[64:65]
	s_cbranch_execz .LBB4_1978
; %bb.1977:                             ;   in Loop: Header=BB4_1972 Depth=4
	global_load_dwordx4 v[10:13], v[4:5], off glc slc
	v_add_co_u32_e32 v4, vcc, 0x400, v4
	v_addc_co_u32_e32 v5, vcc, 0, v5, vcc
.LBB4_1978:                             ;   in Loop: Header=BB4_1972 Depth=4
	s_or_b64 exec, exec, s[28:29]
	s_mov_b64 s[68:69], 0
	s_mov_b64 s[66:67], -1
	s_waitcnt vmcnt(0)
.LBB4_1979:                             ;   Parent Loop BB4_47 Depth=1
                                        ;     Parent Loop BB4_1872 Depth=2
                                        ;       Parent Loop BB4_1875 Depth=3
                                        ;         Parent Loop BB4_1972 Depth=4
                                        ; =>        This Inner Loop Header: Depth=5
	s_cmp_eq_u32 s68, 1
	s_cselect_b64 s[28:29], -1, 0
	v_cndmask_b32_e64 v36, v0, v2, s[28:29]
	v_cndmask_b32_e64 v37, v3, v9, s[28:29]
	v_add_co_u32_e32 v1, vcc, 0x400, v36
	s_cmp_eq_u32 s68, 0
	v_addc_co_u32_e32 v35, vcc, 0, v37, vcc
	s_cselect_b64 vcc, -1, 0
	s_and_b64 s[30:31], exec, s[66:67]
	s_mov_b64 s[68:69], 1
	v_cndmask_b32_e64 v2, v2, v1, s[28:29]
	s_mov_b64 s[66:67], 0
	v_cndmask_b32_e64 v9, v9, v35, s[28:29]
	v_cndmask_b32_e32 v3, v3, v35, vcc
	v_cndmask_b32_e32 v0, v0, v1, vcc
	s_mov_b64 vcc, s[30:31]
	global_store_dwordx4 v[36:37], v[14:17], off glc slc
	s_cbranch_vccnz .LBB4_1979
; %bb.1980:                             ;   in Loop: Header=BB4_1972 Depth=4
	v_sub_u32_e32 v34, v34, v28
	s_and_saveexec_b64 s[28:29], s[64:65]
	s_cbranch_execz .LBB4_1971
; %bb.1981:                             ;   in Loop: Header=BB4_1972 Depth=4
	v_accvgpr_read_b32 v14, a28
	v_add_co_u32_e32 v0, vcc, v0, v14
	v_accvgpr_read_b32 v1, a33
	v_addc_co_u32_e32 v3, vcc, v3, v1, vcc
	v_add_co_u32_e32 v2, vcc, v2, v14
	v_addc_co_u32_e32 v9, vcc, v9, v1, vcc
	v_add_co_u32_e32 v4, vcc, v4, v14
	v_addc_co_u32_e32 v5, vcc, v5, v1, vcc
	v_sub_u32_e32 v29, v29, v39
	v_sub_u32_e32 v34, v34, v28
	s_branch .LBB4_1971
.LBB4_1982:                             ;   in Loop: Header=BB4_1875 Depth=3
	s_or_b64 exec, exec, s[60:61]
	v_accvgpr_read_b32 v16, a30
	s_and_b64 s[28:29], s[62:63], exec
	v_accvgpr_read_b32 v17, a31
.LBB4_1983:                             ;   in Loop: Header=BB4_1875 Depth=3
	s_or_b64 exec, exec, s[58:59]
	s_and_saveexec_b64 s[58:59], s[28:29]
	s_cbranch_execz .LBB4_1986
; %bb.1984:                             ;   in Loop: Header=BB4_1875 Depth=3
	s_mov_b64 s[62:63], 0
	s_mov_b64 s[60:61], -1
.LBB4_1985:                             ;   Parent Loop BB4_47 Depth=1
                                        ;     Parent Loop BB4_1872 Depth=2
                                        ;       Parent Loop BB4_1875 Depth=3
                                        ; =>      This Inner Loop Header: Depth=4
	s_cmp_eq_u32 s62, 1
	s_cselect_b64 s[28:29], -1, 0
	v_cndmask_b32_e64 v4, v0, v2, s[28:29]
	v_cndmask_b32_e64 v5, v3, v9, s[28:29]
	v_add_co_u32_e32 v1, vcc, 0x400, v4
	s_cmp_eq_u32 s62, 0
	global_store_dwordx4 v[4:5], v[10:13], off glc slc
	v_addc_co_u32_e32 v4, vcc, 0, v5, vcc
	s_cselect_b64 vcc, -1, 0
	s_and_b64 s[30:31], exec, s[60:61]
	s_mov_b64 s[62:63], 1
	v_cndmask_b32_e64 v2, v2, v1, s[28:29]
	s_mov_b64 s[60:61], 0
	v_cndmask_b32_e64 v9, v9, v4, s[28:29]
	v_cndmask_b32_e32 v3, v3, v4, vcc
	v_cndmask_b32_e32 v0, v0, v1, vcc
	s_mov_b64 vcc, s[30:31]
	s_cbranch_vccnz .LBB4_1985
.LBB4_1986:                             ;   in Loop: Header=BB4_1875 Depth=3
	s_or_b64 exec, exec, s[58:59]
	v_and_b32_e32 v0, 14, v8
	v_cndmask_b32_e64 v12, v33, v0, s[26:27]
	v_cmp_ne_u32_e32 vcc, 0, v12
	s_mov_b64 s[28:29], s[54:55]
                                        ; implicit-def: $vgpr13
                                        ; implicit-def: $vgpr14
                                        ; implicit-def: $vgpr2
	s_and_saveexec_b64 s[30:31], vcc
	s_cbranch_execz .LBB4_1988
; %bb.1987:                             ;   in Loop: Header=BB4_1875 Depth=3
	v_sub_u32_e32 v0, v33, v0
	v_cndmask_b32_e64 v0, 0, v0, s[26:27]
	v_cmp_lt_i32_e32 vcc, 0, v34
	v_add3_u32 v13, v32, v6, v0
	v_cndmask_b32_e32 v0, 0, v28, vcc
	v_sub_u32_e32 v0, v0, v34
	v_lshl_add_u32 v0, v0, 6, v31
	v_ashrrev_i32_e32 v1, 31, v0
	v_lshrrev_b32_e32 v1, 26, v1
	v_add_u32_e32 v1, v0, v1
	v_ashrrev_i32_e32 v2, 6, v1
	v_and_b32_e32 v1, 0xffffffc0, v1
	v_sub_u32_e32 v14, v0, v1
	s_or_b64 s[28:29], s[54:55], exec
.LBB4_1988:                             ;   in Loop: Header=BB4_1875 Depth=3
	s_or_b64 exec, exec, s[30:31]
	s_andn2_b64 s[26:27], s[54:55], exec
	s_and_b64 s[28:29], s[28:29], exec
	s_or_b64 s[54:55], s[26:27], s[28:29]
.LBB4_1989:                             ;   in Loop: Header=BB4_1875 Depth=3
	s_or_b64 exec, exec, s[56:57]
	s_and_saveexec_b64 s[30:31], s[54:55]
	s_cbranch_execz .LBB4_2017
.LBB4_1990:                             ;   in Loop: Header=BB4_1875 Depth=3
	v_lshlrev_b32_e32 v0, 9, v2
	v_lshlrev_b32_e32 v1, 1, v14
	v_add3_u32 v0, v13, v1, v0
	v_ashrrev_i32_e32 v1, 31, v12
	v_lshrrev_b32_e32 v1, 23, v1
	v_add_u32_e32 v1, v12, v1
	v_ashrrev_i32_e32 v9, 31, v0
	s_waitcnt lgkmcnt(0)
	v_add_co_u32_e32 v4, vcc, v24, v0
	v_ashrrev_i32_e32 v6, 9, v1
	v_addc_co_u32_e32 v5, vcc, v25, v9, vcc
	v_sub_u32_e32 v10, v6, v2
	v_add_co_u32_e32 v2, vcc, v26, v0
	v_addc_co_u32_e32 v3, vcc, v27, v9, vcc
	v_cmp_lt_i32_e32 vcc, 0, v10
	s_mov_b64 s[28:29], 0
                                        ; implicit-def: $vgpr15
                                        ; implicit-def: $vgpr16
                                        ; implicit-def: $vgpr17
                                        ; implicit-def: $vgpr29
	s_and_saveexec_b64 s[26:27], vcc
	s_cbranch_execz .LBB4_1998
; %bb.1991:                             ;   in Loop: Header=BB4_1875 Depth=3
	s_trap 2
	ds_read_b64 v[16:17], v0
	s_mov_b64 s[56:57], 0
                                        ; implicit-def: $sgpr54_sgpr55
                                        ; implicit-def: $vgpr15
                                        ; implicit-def: $vgpr29
	s_waitcnt lgkmcnt(0)
	v_add_co_u32_e32 v8, vcc, v16, v0
	v_addc_co_u32_e32 v9, vcc, v17, v9, vcc
                                        ; implicit-def: $vgpr16
                                        ; implicit-def: $vgpr17
	s_branch .LBB4_1993
.LBB4_1992:                             ;   in Loop: Header=BB4_1993 Depth=4
	s_or_b64 exec, exec, s[58:59]
	s_waitcnt vmcnt(0) lgkmcnt(0)
	flat_store_short v[4:5], v0 glc slc
	flat_store_short v[4:5], v31 offset:128 glc slc
	flat_store_short v[4:5], v32 offset:256 glc slc
	;; [unrolled: 1-line block ×3, first 2 shown]
	v_add_co_u32_e32 v4, vcc, 0x200, v4
	v_addc_co_u32_e32 v5, vcc, 0, v5, vcc
	flat_store_short v[2:3], v0 glc slc
	flat_store_short v[2:3], v31 offset:128 glc slc
	flat_store_short v[2:3], v32 offset:256 glc slc
	;; [unrolled: 1-line block ×3, first 2 shown]
	v_add_co_u32_e32 v0, vcc, 0x200, v2
	v_accvgpr_read_b32 v33, a25
	v_addc_co_u32_e32 v2, vcc, 0, v3, vcc
	v_accvgpr_read_b32 v32, a24
	v_add_co_u32_e32 v3, vcc, v4, v32
	v_addc_co_u32_e32 v31, vcc, v5, v33, vcc
	v_add_co_u32_e32 v32, vcc, v0, v32
	v_addc_co_u32_e32 v33, vcc, v2, v33, vcc
	;; [unrolled: 2-line block ×3, first 2 shown]
	v_sub_u32_e32 v10, v1, v34
	v_cmp_gt_i32_e32 vcc, 1, v10
	s_or_b64 s[28:29], vcc, s[28:29]
	s_andn2_b64 vcc, s[54:55], exec
	s_and_b64 s[54:55], s[56:57], exec
	v_cndmask_b32_e64 v5, v5, v31, s[56:57]
	v_cndmask_b32_e64 v4, v4, v3, s[56:57]
	;; [unrolled: 1-line block ×4, first 2 shown]
	s_or_b64 s[54:55], vcc, s[54:55]
	s_andn2_b64 exec, exec, s[28:29]
	s_cbranch_execz .LBB4_1997
.LBB4_1993:                             ;   Parent Loop BB4_47 Depth=1
                                        ;     Parent Loop BB4_1872 Depth=2
                                        ;       Parent Loop BB4_1875 Depth=3
                                        ; =>      This Inner Loop Header: Depth=4
	flat_load_ushort v0, v[8:9] glc slc
	flat_load_ushort v31, v[8:9] offset:128 glc slc
	flat_load_ushort v32, v[8:9] offset:256 glc slc
	;; [unrolled: 1-line block ×3, first 2 shown]
	s_and_saveexec_b64 s[58:59], s[56:57]
	s_cbranch_execz .LBB4_1995
; %bb.1994:                             ;   in Loop: Header=BB4_1993 Depth=4
	v_accvgpr_read_b32 v1, a32
	flat_store_short v[4:5], v15 glc slc
	flat_store_short v[4:5], v16 offset:128 glc slc
	flat_store_short v[4:5], v17 offset:256 glc slc
	;; [unrolled: 1-line block ×3, first 2 shown]
	flat_store_short v[2:3], v15 glc slc
	flat_store_short v[2:3], v16 offset:128 glc slc
	flat_store_short v[2:3], v17 offset:256 glc slc
	;; [unrolled: 1-line block ×3, first 2 shown]
	v_add_co_u32_e32 v4, vcc, v4, v1
	v_accvgpr_read_b32 v11, a34
	v_addc_co_u32_e32 v5, vcc, v5, v11, vcc
	v_add_co_u32_e32 v2, vcc, v2, v1
	v_addc_co_u32_e32 v3, vcc, v3, v11, vcc
.LBB4_1995:                             ;   in Loop: Header=BB4_1993 Depth=4
	s_or_b64 exec, exec, s[58:59]
	v_accvgpr_read_b32 v1, a32
	v_add_co_u32_e32 v8, vcc, v8, v1
	v_accvgpr_read_b32 v1, a34
	v_addc_co_u32_e32 v9, vcc, v9, v1, vcc
	v_sub_u32_e32 v1, v10, v28
	v_cmp_lt_i32_e64 s[56:57], 0, v1
	v_mov_b32_e32 v34, 0
	v_pk_mov_b32 v[10:11], 0, 0
	s_and_saveexec_b64 s[58:59], s[56:57]
	s_cbranch_execz .LBB4_1992
; %bb.1996:                             ;   in Loop: Header=BB4_1993 Depth=4
	flat_load_ushort v15, v[8:9] glc slc
	flat_load_ushort v16, v[8:9] offset:128 glc slc
	flat_load_ushort v17, v[8:9] offset:256 glc slc
	;; [unrolled: 1-line block ×3, first 2 shown]
	v_add_co_u32_e32 v8, vcc, 0x200, v8
	v_accvgpr_read_b32 v10, a24
	v_addc_co_u32_e32 v9, vcc, 0, v9, vcc
	v_mov_b32_e32 v34, v28
	v_accvgpr_read_b32 v11, a25
	s_branch .LBB4_1992
.LBB4_1997:                             ;   in Loop: Header=BB4_1875 Depth=3
	s_or_b64 exec, exec, s[28:29]
	s_and_b64 s[28:29], s[54:55], exec
.LBB4_1998:                             ;   in Loop: Header=BB4_1875 Depth=3
	s_or_b64 exec, exec, s[26:27]
	s_and_saveexec_b64 s[26:27], s[28:29]
	s_cbranch_execz .LBB4_2000
; %bb.1999:                             ;   in Loop: Header=BB4_1875 Depth=3
	flat_store_short v[4:5], v15 glc slc
	flat_store_short v[4:5], v16 offset:128 glc slc
	flat_store_short v[4:5], v17 offset:256 glc slc
	;; [unrolled: 1-line block ×3, first 2 shown]
	flat_store_short v[2:3], v15 glc slc
	flat_store_short v[2:3], v16 offset:128 glc slc
	flat_store_short v[2:3], v17 offset:256 glc slc
	;; [unrolled: 1-line block ×3, first 2 shown]
.LBB4_2000:                             ;   in Loop: Header=BB4_1875 Depth=3
	s_or_b64 exec, exec, s[26:27]
	v_lshlrev_b32_e32 v0, 9, v6
	v_cmp_ne_u32_e32 vcc, v12, v0
	s_mov_b64 s[54:55], exec
	v_accvgpr_read_b32 v16, a30
	s_and_b64 s[26:27], s[54:55], vcc
	v_accvgpr_read_b32 v17, a31
	s_mov_b64 exec, s[26:27]
	s_cbranch_execz .LBB4_2016
; %bb.2001:                             ;   in Loop: Header=BB4_1875 Depth=3
	v_lshlrev_b32_e32 v1, 6, v10
	v_sub_u32_e32 v1, v14, v1
	v_ashrrev_i32_e32 v2, 31, v1
	v_lshrrev_b32_e32 v2, 26, v2
	v_add_u32_e32 v2, v1, v2
	v_and_b32_e32 v3, 0x7fffffc0, v2
	v_sub_u32_e32 v1, v1, v3
	v_lshlrev_b32_e32 v2, 1, v2
	v_and_b32_e32 v2, 0xffffff80, v2
	v_lshlrev_b32_e32 v1, 1, v1
	v_add3_u32 v0, v2, v1, v0
	v_add_u32_e32 v4, v0, v13
	v_sub_u32_e32 v10, v12, v0
	v_ashrrev_i32_e32 v5, 31, v4
	v_add_co_u32_e32 v0, vcc, v24, v4
	v_addc_co_u32_e32 v3, vcc, v25, v5, vcc
	v_add_co_u32_e32 v2, vcc, v26, v4
	v_addc_co_u32_e32 v9, vcc, v27, v5, vcc
	v_cmp_lt_i32_e32 vcc, 1, v10
	s_mov_b64 s[26:27], 0
                                        ; implicit-def: $vgpr6
	s_and_saveexec_b64 s[56:57], vcc
	s_cbranch_execz .LBB4_2013
; %bb.2002:                             ;   in Loop: Header=BB4_1875 Depth=3
	s_trap 2
	ds_read_b64 v[12:13], v0
	s_mov_b64 s[62:63], 0
	s_mov_b64 s[58:59], 0
                                        ; implicit-def: $sgpr60_sgpr61
                                        ; implicit-def: $vgpr6
	s_waitcnt lgkmcnt(0)
	v_add_co_u32_e32 v4, vcc, v12, v4
	v_addc_co_u32_e32 v5, vcc, v13, v5, vcc
.LBB4_2003:                             ;   Parent Loop BB4_47 Depth=1
                                        ;     Parent Loop BB4_1872 Depth=2
                                        ;       Parent Loop BB4_1875 Depth=3
                                        ; =>      This Loop Header: Depth=4
                                        ;           Child Loop BB4_2005 Depth 5
                                        ;           Child Loop BB4_2010 Depth 5
	flat_load_ushort v8, v[4:5] glc slc
	s_and_saveexec_b64 s[64:65], s[62:63]
	s_cbranch_execz .LBB4_2007
; %bb.2004:                             ;   in Loop: Header=BB4_2003 Depth=4
	s_mov_b64 s[66:67], 0
	s_mov_b64 s[62:63], -1
.LBB4_2005:                             ;   Parent Loop BB4_47 Depth=1
                                        ;     Parent Loop BB4_1872 Depth=2
                                        ;       Parent Loop BB4_1875 Depth=3
                                        ;         Parent Loop BB4_2003 Depth=4
                                        ; =>        This Inner Loop Header: Depth=5
	s_cmp_eq_u32 s66, 1
	s_cselect_b64 s[26:27], -1, 0
	v_cndmask_b32_e64 v12, v0, v2, s[26:27]
	v_cndmask_b32_e64 v13, v3, v9, s[26:27]
	v_add_co_u32_e32 v1, vcc, 0x80, v12
	s_cmp_eq_u32 s66, 0
	v_addc_co_u32_e32 v11, vcc, 0, v13, vcc
	s_cselect_b64 vcc, -1, 0
	s_and_b64 s[28:29], exec, s[62:63]
	s_mov_b64 s[66:67], 1
	v_cndmask_b32_e64 v2, v2, v1, s[26:27]
	s_mov_b64 s[62:63], 0
	v_cndmask_b32_e64 v9, v9, v11, s[26:27]
	v_cndmask_b32_e32 v3, v3, v11, vcc
	v_cndmask_b32_e32 v0, v0, v1, vcc
	s_mov_b64 vcc, s[28:29]
	flat_store_short v[12:13], v6 glc slc
	s_cbranch_vccnz .LBB4_2005
; %bb.2006:                             ;   in Loop: Header=BB4_2003 Depth=4
	v_add_co_u32_e32 v0, vcc, v0, v16
	v_addc_co_u32_e32 v3, vcc, v3, v17, vcc
	v_add_co_u32_e32 v2, vcc, v2, v16
	v_addc_co_u32_e32 v9, vcc, v9, v17, vcc
.LBB4_2007:                             ;   in Loop: Header=BB4_2003 Depth=4
	s_or_b64 exec, exec, s[64:65]
	v_accvgpr_read_b32 v1, a39
	v_add_co_u32_e32 v4, vcc, v1, v4
	v_accvgpr_read_b32 v1, a40
	v_sub_u32_e32 v10, v10, v51
	v_addc_co_u32_e32 v5, vcc, v1, v5, vcc
	v_cmp_lt_i32_e64 s[62:63], 1, v10
	s_and_saveexec_b64 s[26:27], s[62:63]
	s_cbranch_execz .LBB4_2009
; %bb.2008:                             ;   in Loop: Header=BB4_2003 Depth=4
	flat_load_ushort v6, v[4:5] glc slc
	v_add_co_u32_e32 v4, vcc, 0x80, v4
	v_addc_co_u32_e32 v5, vcc, 0, v5, vcc
.LBB4_2009:                             ;   in Loop: Header=BB4_2003 Depth=4
	s_or_b64 exec, exec, s[26:27]
	s_mov_b64 s[66:67], 0
	s_mov_b64 s[64:65], -1
	s_waitcnt vmcnt(0)
.LBB4_2010:                             ;   Parent Loop BB4_47 Depth=1
                                        ;     Parent Loop BB4_1872 Depth=2
                                        ;       Parent Loop BB4_1875 Depth=3
                                        ;         Parent Loop BB4_2003 Depth=4
                                        ; =>        This Inner Loop Header: Depth=5
	s_cmp_eq_u32 s66, 1
	s_cselect_b64 s[26:27], -1, 0
	v_cndmask_b32_e64 v12, v0, v2, s[26:27]
	v_cndmask_b32_e64 v13, v3, v9, s[26:27]
	v_add_co_u32_e32 v1, vcc, 0x80, v12
	s_cmp_eq_u32 s66, 0
	v_addc_co_u32_e32 v11, vcc, 0, v13, vcc
	s_cselect_b64 vcc, -1, 0
	s_and_b64 s[28:29], exec, s[64:65]
	s_mov_b64 s[66:67], 1
	v_cndmask_b32_e64 v2, v2, v1, s[26:27]
	s_mov_b64 s[64:65], 0
	v_cndmask_b32_e64 v9, v9, v11, s[26:27]
	v_cndmask_b32_e32 v3, v3, v11, vcc
	v_cndmask_b32_e32 v0, v0, v1, vcc
	s_mov_b64 vcc, s[28:29]
	s_waitcnt lgkmcnt(0)
	flat_store_short v[12:13], v8 glc slc
	s_cbranch_vccnz .LBB4_2010
; %bb.2011:                             ;   in Loop: Header=BB4_2003 Depth=4
	v_add_co_u32_e32 v1, vcc, v0, v16
	v_addc_co_u32_e32 v8, vcc, v3, v17, vcc
	v_add_co_u32_e32 v11, vcc, v2, v16
	v_addc_co_u32_e32 v12, vcc, v9, v17, vcc
	v_cndmask_b32_e64 v14, 0, v16, s[62:63]
	v_cndmask_b32_e64 v13, 0, v17, s[62:63]
	v_add_co_u32_e32 v4, vcc, v4, v14
	v_cndmask_b32_e64 v0, v0, v1, s[62:63]
	v_cndmask_b32_e64 v1, 0, v51, s[62:63]
	v_addc_co_u32_e32 v5, vcc, v5, v13, vcc
	v_sub_u32_e32 v10, v10, v1
	v_cmp_gt_i32_e32 vcc, 2, v10
	s_or_b64 s[58:59], vcc, s[58:59]
	s_andn2_b64 s[26:27], s[60:61], exec
	s_and_b64 s[28:29], s[62:63], exec
	v_cndmask_b32_e64 v9, v9, v12, s[62:63]
	v_cndmask_b32_e64 v2, v2, v11, s[62:63]
	;; [unrolled: 1-line block ×3, first 2 shown]
	s_or_b64 s[60:61], s[26:27], s[28:29]
	s_andn2_b64 exec, exec, s[58:59]
	s_cbranch_execnz .LBB4_2003
; %bb.2012:                             ;   in Loop: Header=BB4_1875 Depth=3
	s_or_b64 exec, exec, s[58:59]
	s_and_b64 s[26:27], s[60:61], exec
.LBB4_2013:                             ;   in Loop: Header=BB4_1875 Depth=3
	s_or_b64 exec, exec, s[56:57]
	s_and_b64 exec, exec, s[26:27]
	s_cbranch_execz .LBB4_2016
; %bb.2014:                             ;   in Loop: Header=BB4_1875 Depth=3
	s_mov_b64 s[58:59], 0
	s_mov_b64 s[56:57], -1
.LBB4_2015:                             ;   Parent Loop BB4_47 Depth=1
                                        ;     Parent Loop BB4_1872 Depth=2
                                        ;       Parent Loop BB4_1875 Depth=3
                                        ; =>      This Inner Loop Header: Depth=4
	s_cmp_eq_u32 s58, 1
	s_cselect_b64 s[26:27], -1, 0
	v_cndmask_b32_e64 v4, v0, v2, s[26:27]
	v_cndmask_b32_e64 v5, v3, v9, s[26:27]
	v_add_co_u32_e32 v1, vcc, 0x80, v4
	s_cmp_eq_u32 s58, 0
	flat_store_short v[4:5], v6 glc slc
	v_addc_co_u32_e32 v4, vcc, 0, v5, vcc
	s_cselect_b64 vcc, -1, 0
	s_and_b64 s[28:29], exec, s[56:57]
	s_mov_b64 s[58:59], 1
	v_cndmask_b32_e64 v2, v2, v1, s[26:27]
	s_mov_b64 s[56:57], 0
	v_cndmask_b32_e64 v9, v9, v4, s[26:27]
	v_cndmask_b32_e32 v3, v3, v4, vcc
	v_cndmask_b32_e32 v0, v0, v1, vcc
	s_mov_b64 vcc, s[28:29]
	s_cbranch_vccnz .LBB4_2015
.LBB4_2016:                             ;   in Loop: Header=BB4_1875 Depth=3
	s_or_b64 exec, exec, s[54:55]
.LBB4_2017:                             ;   in Loop: Header=BB4_1875 Depth=3
	s_or_b64 exec, exec, s[30:31]
	s_mov_b64 s[26:27], 0
.LBB4_2018:                             ;   in Loop: Header=BB4_1875 Depth=3
	s_and_b64 vcc, exec, s[26:27]
	s_cbranch_vccz .LBB4_2079
; %bb.2019:                             ;   in Loop: Header=BB4_1875 Depth=3
	s_mov_b64 s[26:27], -1
	s_and_saveexec_b64 s[28:29], s[20:21]
	s_cbranch_execz .LBB4_2021
; %bb.2020:                             ;   in Loop: Header=BB4_1875 Depth=3
	ds_read_b32 v0, v0 offset:720
	s_waitcnt lgkmcnt(0)
	v_and_b32_e32 v0, 15, v0
	v_cmp_eq_u32_e32 vcc, 0, v0
	s_orn2_b64 s[26:27], vcc, exec
.LBB4_2021:                             ;   in Loop: Header=BB4_1875 Depth=3
	s_or_b64 exec, exec, s[28:29]
	s_and_saveexec_b64 s[28:29], s[18:19]
	s_cbranch_execz .LBB4_2023
; %bb.2022:                             ;   in Loop: Header=BB4_1875 Depth=3
	ds_read_b32 v0, v0 offset:784
	s_waitcnt lgkmcnt(0)
	v_and_b32_e32 v0, 15, v0
	v_cmp_eq_u32_e32 vcc, 0, v0
	s_and_b64 vcc, s[26:27], vcc
	s_andn2_b64 s[26:27], s[26:27], exec
	s_and_b64 vcc, vcc, exec
	s_or_b64 s[26:27], s[26:27], vcc
.LBB4_2023:                             ;   in Loop: Header=BB4_1875 Depth=3
	s_or_b64 exec, exec, s[28:29]
	s_xor_b64 s[26:27], s[26:27], -1
	v_cndmask_b32_e64 v0, 0, 1, s[26:27]
	;;#ASMSTART
	;;#ASMEND
	s_trap 2
	ds_read_b64 v[2:3], v0
	s_mov_b64 s[26:27], -1
	v_cmp_ne_u32_e32 vcc, 0, v0
	s_cbranch_vccz .LBB4_2034
; %bb.2024:                             ;   in Loop: Header=BB4_1875 Depth=3
	s_mov_b64 s[28:29], -1
	s_mov_b32 s30, 0
	s_cbranch_execnz .LBB4_2035
.LBB4_2025:                             ;   in Loop: Header=BB4_1875 Depth=3
	v_ashrrev_i32_e32 v0, 31, v21
	v_lshrrev_b32_e32 v0, 22, v0
	v_add_u32_e32 v0, v21, v0
	v_ashrrev_i32_e32 v1, 10, v0
	v_and_b32_e32 v0, 0xfffffc00, v0
	s_waitcnt lgkmcnt(0)
	v_sub_u32_e32 v24, v21, v0
	v_cmp_lt_i32_e64 s[26:27], 15, v24
	v_accvgpr_read_b32 v4, a36
	v_addc_co_u32_e64 v26, vcc, v1, v4, s[26:27]
	v_add_co_u32_e32 v4, vcc, v2, v50
	v_accvgpr_read_b32 v1, a55
	v_sub_u32_e32 v6, v21, v50
	v_addc_co_u32_e32 v5, vcc, v3, v1, vcc
	v_cmp_lt_i32_e32 vcc, 15, v6
	s_mov_b64 s[54:55], 0
                                        ; implicit-def: $vgpr8_vgpr9
	s_and_saveexec_b64 s[30:31], vcc
	s_cbranch_execz .LBB4_2037
; %bb.2026:                             ;   in Loop: Header=BB4_1875 Depth=3
	s_trap 2
	ds_read_b64 v[8:9], v0
	v_accvgpr_read_b32 v1, a55
	s_mov_b64 s[58:59], 0
                                        ; implicit-def: $sgpr56_sgpr57
	s_waitcnt lgkmcnt(0)
	v_add_co_u32_e32 v16, vcc, v8, v50
	v_addc_co_u32_e32 v17, vcc, v9, v1, vcc
                                        ; implicit-def: $vgpr8_vgpr9
	s_branch .LBB4_2028
.LBB4_2027:                             ;   in Loop: Header=BB4_2028 Depth=4
	s_or_b64 exec, exec, s[60:61]
	v_cmp_gt_i32_e32 vcc, 16, v6
	s_or_b64 s[54:55], vcc, s[54:55]
	s_andn2_b64 vcc, s[56:57], exec
	s_and_b64 s[56:57], s[58:59], exec
	s_or_b64 s[56:57], vcc, s[56:57]
	s_andn2_b64 exec, exec, s[54:55]
	s_cbranch_execz .LBB4_2036
.LBB4_2028:                             ;   Parent Loop BB4_47 Depth=1
                                        ;     Parent Loop BB4_1872 Depth=2
                                        ;       Parent Loop BB4_1875 Depth=3
                                        ; =>      This Inner Loop Header: Depth=4
	global_load_dwordx4 v[12:15], v[16:17], off glc slc
	s_and_saveexec_b64 s[60:61], s[58:59]
	s_cbranch_execz .LBB4_2030
; %bb.2029:                             ;   in Loop: Header=BB4_2028 Depth=4
	v_accvgpr_read_b32 v1, a37
	v_add_co_u32_e32 v32, vcc, v4, v1
	v_accvgpr_read_b32 v1, a38
	v_addc_co_u32_e32 v33, vcc, v5, v1, vcc
	global_store_dwordx4 v[4:5], v[8:11], off glc slc
	v_pk_mov_b32 v[4:5], v[32:33], v[32:33] op_sel:[0,1]
.LBB4_2030:                             ;   in Loop: Header=BB4_2028 Depth=4
	s_or_b64 exec, exec, s[60:61]
	v_accvgpr_read_b32 v1, a37
	v_add_co_u32_e32 v16, vcc, v16, v1
	v_accvgpr_read_b32 v1, a38
	v_sub_u32_e32 v6, v6, v39
	v_addc_co_u32_e32 v17, vcc, v17, v1, vcc
	v_cmp_lt_i32_e64 s[58:59], 15, v6
	s_and_saveexec_b64 s[60:61], s[58:59]
	s_cbranch_execz .LBB4_2032
; %bb.2031:                             ;   in Loop: Header=BB4_2028 Depth=4
	global_load_dwordx4 v[8:11], v[16:17], off glc slc
	v_add_co_u32_e32 v16, vcc, 0x400, v16
	v_addc_co_u32_e32 v17, vcc, 0, v17, vcc
.LBB4_2032:                             ;   in Loop: Header=BB4_2028 Depth=4
	s_or_b64 exec, exec, s[60:61]
	s_waitcnt vmcnt(0)
	global_store_dwordx4 v[4:5], v[12:15], off glc slc
	v_add_co_u32_e32 v4, vcc, 0x400, v4
	v_sub_u32_e32 v26, v26, v28
	v_addc_co_u32_e32 v5, vcc, 0, v5, vcc
	s_and_saveexec_b64 s[60:61], s[58:59]
	s_cbranch_execz .LBB4_2027
; %bb.2033:                             ;   in Loop: Header=BB4_2028 Depth=4
	v_accvgpr_read_b32 v12, a28
	v_add_co_u32_e32 v4, vcc, v4, v12
	v_accvgpr_read_b32 v1, a33
	v_addc_co_u32_e32 v5, vcc, v5, v1, vcc
	v_add_co_u32_e32 v16, vcc, v16, v12
	v_addc_co_u32_e32 v17, vcc, v17, v1, vcc
	v_sub_u32_e32 v6, v6, v39
	v_sub_u32_e32 v26, v26, v28
	s_branch .LBB4_2027
.LBB4_2034:                             ;   in Loop: Header=BB4_1875 Depth=3
	s_mov_b64 s[28:29], 0
                                        ; implicit-def: $sgpr30
	s_andn2_b64 vcc, exec, s[26:27]
	s_cbranch_vccz .LBB4_2025
.LBB4_2035:                             ;   in Loop: Header=BB4_1875 Depth=3
	v_mov_b32_e32 v6, s30
	v_accvgpr_read_b32 v12, a35
	v_accvgpr_read_b32 v1, a29
	s_and_saveexec_b64 s[26:27], s[28:29]
	s_cbranch_execnz .LBB4_2056
	s_branch .LBB4_2078
.LBB4_2036:                             ;   in Loop: Header=BB4_1875 Depth=3
	s_or_b64 exec, exec, s[54:55]
	v_accvgpr_read_b32 v16, a30
	s_and_b64 s[54:55], s[56:57], exec
	v_accvgpr_read_b32 v17, a31
.LBB4_2037:                             ;   in Loop: Header=BB4_1875 Depth=3
	s_or_b64 exec, exec, s[30:31]
	s_and_saveexec_b64 vcc, s[54:55]
	s_cbranch_execz .LBB4_2039
; %bb.2038:                             ;   in Loop: Header=BB4_1875 Depth=3
	global_store_dwordx4 v[4:5], v[8:11], off glc slc
.LBB4_2039:                             ;   in Loop: Header=BB4_1875 Depth=3
	s_or_b64 exec, exec, vcc
	v_and_b32_e32 v4, 14, v21
	v_cndmask_b32_e64 v25, v24, v4, s[26:27]
	v_cmp_ne_u32_e32 vcc, 0, v25
                                        ; implicit-def: $vgpr21
                                        ; implicit-def: $vgpr6
                                        ; implicit-def: $vgpr12
                                        ; implicit-def: $vgpr1
	s_and_saveexec_b64 s[30:31], vcc
	s_cbranch_execz .LBB4_2055
; %bb.2040:                             ;   in Loop: Header=BB4_1875 Depth=3
	v_sub_u32_e32 v1, v24, v4
	v_cndmask_b32_e64 v1, 0, v1, s[26:27]
	v_cmp_lt_i32_e32 vcc, 0, v26
	v_add_u32_e32 v24, v1, v0
	v_cndmask_b32_e32 v0, 0, v28, vcc
	v_sub_u32_e32 v0, v0, v26
	v_accvgpr_read_b32 v1, a35
	v_lshl_add_u32 v0, v0, 6, v1
	v_ashrrev_i32_e32 v1, 31, v0
	v_lshrrev_b32_e32 v1, 26, v1
	v_add_u32_e32 v1, v0, v1
	v_ashrrev_i32_e32 v4, 6, v1
	v_and_b32_e32 v1, 0xffffffc0, v1
	v_sub_u32_e32 v26, v0, v1
	v_lshlrev_b32_e32 v0, 4, v26
	v_lshl_add_u32 v1, v4, 10, v0
	v_add_u32_e32 v0, v1, v24
	v_sub_u32_e32 v6, v25, v1
	v_ashrrev_i32_e32 v1, 31, v25
	v_lshrrev_b32_e32 v1, 22, v1
	v_add_u32_e32 v1, v25, v1
	v_and_b32_e32 v27, 0xfffffc00, v1
	v_sub_u32_e32 v31, v25, v27
	v_ashrrev_i32_e32 v5, 10, v1
	v_cmp_lt_i32_e64 s[26:27], 15, v31
	v_addc_co_u32_e64 v1, vcc, 0, v5, s[26:27]
	v_sub_u32_e32 v29, v1, v4
	v_ashrrev_i32_e32 v11, 31, v0
	v_add_co_u32_e32 v4, vcc, v0, v2
	v_addc_co_u32_e32 v5, vcc, v11, v3, vcc
	v_cmp_lt_i32_e32 vcc, 15, v6
	s_mov_b64 s[56:57], 0
                                        ; implicit-def: $vgpr8_vgpr9
	s_and_saveexec_b64 s[54:55], vcc
	s_cbranch_execz .LBB4_2050
; %bb.2041:                             ;   in Loop: Header=BB4_1875 Depth=3
	s_trap 2
	ds_read_b64 v[8:9], v0
	s_mov_b64 s[60:61], 0
                                        ; implicit-def: $sgpr58_sgpr59
	s_waitcnt lgkmcnt(0)
	v_add_co_u32_e32 v16, vcc, v8, v0
	v_addc_co_u32_e32 v17, vcc, v9, v11, vcc
                                        ; implicit-def: $vgpr8_vgpr9
	s_branch .LBB4_2043
.LBB4_2042:                             ;   in Loop: Header=BB4_2043 Depth=4
	s_or_b64 exec, exec, s[62:63]
	v_cmp_gt_i32_e32 vcc, 16, v6
	s_or_b64 s[56:57], vcc, s[56:57]
	s_andn2_b64 vcc, s[58:59], exec
	s_and_b64 s[58:59], s[60:61], exec
	s_or_b64 s[58:59], vcc, s[58:59]
	s_andn2_b64 exec, exec, s[56:57]
	s_cbranch_execz .LBB4_2049
.LBB4_2043:                             ;   Parent Loop BB4_47 Depth=1
                                        ;     Parent Loop BB4_1872 Depth=2
                                        ;       Parent Loop BB4_1875 Depth=3
                                        ; =>      This Inner Loop Header: Depth=4
	global_load_dwordx4 v[12:15], v[16:17], off glc slc
	s_and_saveexec_b64 s[62:63], s[60:61]
	s_cbranch_execz .LBB4_2045
; %bb.2044:                             ;   in Loop: Header=BB4_2043 Depth=4
	v_accvgpr_read_b32 v0, a37
	v_add_co_u32_e32 v0, vcc, v4, v0
	v_accvgpr_read_b32 v1, a38
	v_addc_co_u32_e32 v1, vcc, v5, v1, vcc
	global_store_dwordx4 v[4:5], v[8:11], off glc slc
	v_pk_mov_b32 v[4:5], v[0:1], v[0:1] op_sel:[0,1]
.LBB4_2045:                             ;   in Loop: Header=BB4_2043 Depth=4
	s_or_b64 exec, exec, s[62:63]
	v_accvgpr_read_b32 v0, a37
	v_add_co_u32_e32 v16, vcc, v16, v0
	v_accvgpr_read_b32 v0, a38
	v_sub_u32_e32 v6, v6, v39
	v_addc_co_u32_e32 v17, vcc, v17, v0, vcc
	v_cmp_lt_i32_e64 s[60:61], 15, v6
	s_and_saveexec_b64 s[62:63], s[60:61]
	s_cbranch_execz .LBB4_2047
; %bb.2046:                             ;   in Loop: Header=BB4_2043 Depth=4
	global_load_dwordx4 v[8:11], v[16:17], off glc slc
	v_add_co_u32_e32 v16, vcc, 0x400, v16
	v_addc_co_u32_e32 v17, vcc, 0, v17, vcc
.LBB4_2047:                             ;   in Loop: Header=BB4_2043 Depth=4
	s_or_b64 exec, exec, s[62:63]
	s_waitcnt vmcnt(0)
	global_store_dwordx4 v[4:5], v[12:15], off glc slc
	v_add_co_u32_e32 v4, vcc, 0x400, v4
	v_sub_u32_e32 v29, v29, v28
	v_addc_co_u32_e32 v5, vcc, 0, v5, vcc
	s_and_saveexec_b64 s[62:63], s[60:61]
	s_cbranch_execz .LBB4_2042
; %bb.2048:                             ;   in Loop: Header=BB4_2043 Depth=4
	v_accvgpr_read_b32 v0, a28
	v_add_co_u32_e32 v4, vcc, v4, v0
	v_accvgpr_read_b32 v1, a33
	v_addc_co_u32_e32 v5, vcc, v5, v1, vcc
	v_add_co_u32_e32 v16, vcc, v16, v0
	v_addc_co_u32_e32 v17, vcc, v17, v1, vcc
	v_sub_u32_e32 v6, v6, v39
	v_sub_u32_e32 v29, v29, v28
	s_branch .LBB4_2042
.LBB4_2049:                             ;   in Loop: Header=BB4_1875 Depth=3
	s_or_b64 exec, exec, s[56:57]
	v_accvgpr_read_b32 v16, a30
	s_and_b64 s[56:57], s[58:59], exec
	v_accvgpr_read_b32 v17, a31
.LBB4_2050:                             ;   in Loop: Header=BB4_1875 Depth=3
	s_or_b64 exec, exec, s[54:55]
	s_and_saveexec_b64 vcc, s[56:57]
	s_cbranch_execz .LBB4_2052
; %bb.2051:                             ;   in Loop: Header=BB4_1875 Depth=3
	global_store_dwordx4 v[4:5], v[8:11], off glc slc
.LBB4_2052:                             ;   in Loop: Header=BB4_1875 Depth=3
	s_or_b64 exec, exec, vcc
	v_and_b32_e32 v0, 14, v25
	v_cndmask_b32_e64 v21, v31, v0, s[26:27]
	v_cmp_ne_u32_e32 vcc, 0, v21
	s_mov_b64 s[54:55], s[28:29]
                                        ; implicit-def: $vgpr6
                                        ; implicit-def: $vgpr12
                                        ; implicit-def: $vgpr1
	s_and_saveexec_b64 s[56:57], vcc
	s_cbranch_execz .LBB4_2054
; %bb.2053:                             ;   in Loop: Header=BB4_1875 Depth=3
	v_sub_u32_e32 v0, v31, v0
	v_cndmask_b32_e64 v0, 0, v0, s[26:27]
	v_cmp_lt_i32_e32 vcc, 0, v29
	v_add3_u32 v6, v27, v24, v0
	v_cndmask_b32_e32 v0, 0, v28, vcc
	v_sub_u32_e32 v0, v0, v29
	v_lshl_add_u32 v0, v0, 6, v26
	v_ashrrev_i32_e32 v1, 31, v0
	v_lshrrev_b32_e32 v1, 26, v1
	v_add_u32_e32 v4, v0, v1
	v_ashrrev_i32_e32 v1, 6, v4
	v_and_b32_e32 v4, 0xffffffc0, v4
	v_sub_u32_e32 v12, v0, v4
	s_or_b64 s[54:55], s[28:29], exec
.LBB4_2054:                             ;   in Loop: Header=BB4_1875 Depth=3
	s_or_b64 exec, exec, s[56:57]
	s_andn2_b64 s[26:27], s[28:29], exec
	s_and_b64 s[28:29], s[54:55], exec
	s_or_b64 s[28:29], s[26:27], s[28:29]
.LBB4_2055:                             ;   in Loop: Header=BB4_1875 Depth=3
	s_or_b64 exec, exec, s[30:31]
	s_and_saveexec_b64 s[26:27], s[28:29]
	s_cbranch_execz .LBB4_2078
.LBB4_2056:                             ;   in Loop: Header=BB4_1875 Depth=3
	v_lshlrev_b32_e32 v0, 9, v1
	v_lshlrev_b32_e32 v4, 1, v12
	v_add3_u32 v0, v6, v4, v0
	v_ashrrev_i32_e32 v4, 31, v21
	v_lshrrev_b32_e32 v4, 23, v4
	v_add_u32_e32 v4, v21, v4
	v_ashrrev_i32_e32 v13, 9, v4
	v_ashrrev_i32_e32 v9, 31, v0
	s_waitcnt lgkmcnt(0)
	v_add_co_u32_e32 v4, vcc, v2, v0
	v_sub_u32_e32 v10, v13, v1
	v_addc_co_u32_e32 v5, vcc, v3, v9, vcc
	v_cmp_lt_i32_e32 vcc, 0, v10
	s_mov_b64 s[30:31], 0
                                        ; implicit-def: $vgpr14
                                        ; implicit-def: $vgpr15
                                        ; implicit-def: $vgpr16
                                        ; implicit-def: $vgpr17
	s_and_saveexec_b64 s[28:29], vcc
	s_cbranch_execz .LBB4_2064
; %bb.2057:                             ;   in Loop: Header=BB4_1875 Depth=3
	s_trap 2
	ds_read_b64 v[14:15], v0
	s_mov_b64 s[56:57], 0
                                        ; implicit-def: $sgpr54_sgpr55
                                        ; implicit-def: $vgpr16
                                        ; implicit-def: $vgpr17
	s_waitcnt lgkmcnt(0)
	v_add_co_u32_e32 v8, vcc, v14, v0
	v_addc_co_u32_e32 v9, vcc, v15, v9, vcc
                                        ; implicit-def: $vgpr14
                                        ; implicit-def: $vgpr15
	s_branch .LBB4_2059
.LBB4_2058:                             ;   in Loop: Header=BB4_2059 Depth=4
	s_or_b64 exec, exec, s[58:59]
	s_waitcnt vmcnt(0) lgkmcnt(0)
	flat_store_short v[4:5], v0 glc slc
	flat_store_short v[4:5], v1 offset:128 glc slc
	flat_store_short v[4:5], v24 offset:256 glc slc
	;; [unrolled: 1-line block ×3, first 2 shown]
	v_add_co_u32_e32 v0, vcc, v4, v10
	v_addc_co_u32_e32 v1, vcc, v5, v11, vcc
	v_add_co_u32_e32 v4, vcc, 0x200, v0
	v_addc_co_u32_e32 v5, vcc, 0, v1, vcc
	;; [unrolled: 2-line block ×3, first 2 shown]
	v_sub_u32_e32 v10, v26, v27
	v_cmp_gt_i32_e32 vcc, 1, v10
	s_or_b64 s[30:31], vcc, s[30:31]
	s_andn2_b64 vcc, s[54:55], exec
	s_and_b64 s[54:55], s[56:57], exec
	s_or_b64 s[54:55], vcc, s[54:55]
	s_andn2_b64 exec, exec, s[30:31]
	s_cbranch_execz .LBB4_2063
.LBB4_2059:                             ;   Parent Loop BB4_47 Depth=1
                                        ;     Parent Loop BB4_1872 Depth=2
                                        ;       Parent Loop BB4_1875 Depth=3
                                        ; =>      This Inner Loop Header: Depth=4
	flat_load_ushort v0, v[8:9] glc slc
	flat_load_ushort v1, v[8:9] offset:128 glc slc
	flat_load_ushort v24, v[8:9] offset:256 glc slc
	;; [unrolled: 1-line block ×3, first 2 shown]
	s_and_saveexec_b64 s[58:59], s[56:57]
	s_cbranch_execz .LBB4_2061
; %bb.2060:                             ;   in Loop: Header=BB4_2059 Depth=4
	v_accvgpr_read_b32 v11, a32
	flat_store_short v[4:5], v14 glc slc
	flat_store_short v[4:5], v15 offset:128 glc slc
	flat_store_short v[4:5], v16 offset:256 glc slc
	flat_store_short v[4:5], v17 offset:384 glc slc
	v_add_co_u32_e32 v4, vcc, v4, v11
	v_accvgpr_read_b32 v11, a34
	v_addc_co_u32_e32 v5, vcc, v5, v11, vcc
.LBB4_2061:                             ;   in Loop: Header=BB4_2059 Depth=4
	s_or_b64 exec, exec, s[58:59]
	v_accvgpr_read_b32 v11, a32
	v_add_co_u32_e32 v8, vcc, v8, v11
	v_accvgpr_read_b32 v11, a34
	v_sub_u32_e32 v26, v10, v28
	v_addc_co_u32_e32 v9, vcc, v9, v11, vcc
	v_cmp_lt_i32_e64 s[56:57], 0, v26
	v_mov_b32_e32 v27, 0
	v_pk_mov_b32 v[10:11], 0, 0
	s_and_saveexec_b64 s[58:59], s[56:57]
	s_cbranch_execz .LBB4_2058
; %bb.2062:                             ;   in Loop: Header=BB4_2059 Depth=4
	flat_load_ushort v14, v[8:9] glc slc
	flat_load_ushort v15, v[8:9] offset:128 glc slc
	flat_load_ushort v16, v[8:9] offset:256 glc slc
	;; [unrolled: 1-line block ×3, first 2 shown]
	v_add_co_u32_e32 v8, vcc, 0x200, v8
	v_accvgpr_read_b32 v10, a24
	v_addc_co_u32_e32 v9, vcc, 0, v9, vcc
	v_mov_b32_e32 v27, v28
	v_accvgpr_read_b32 v11, a25
	s_branch .LBB4_2058
.LBB4_2063:                             ;   in Loop: Header=BB4_1875 Depth=3
	s_or_b64 exec, exec, s[30:31]
	s_and_b64 s[30:31], s[54:55], exec
.LBB4_2064:                             ;   in Loop: Header=BB4_1875 Depth=3
	s_or_b64 exec, exec, s[28:29]
	s_and_saveexec_b64 s[28:29], s[30:31]
	s_cbranch_execz .LBB4_2066
; %bb.2065:                             ;   in Loop: Header=BB4_1875 Depth=3
	flat_store_short v[4:5], v14 glc slc
	flat_store_short v[4:5], v15 offset:128 glc slc
	flat_store_short v[4:5], v16 offset:256 glc slc
	;; [unrolled: 1-line block ×3, first 2 shown]
.LBB4_2066:                             ;   in Loop: Header=BB4_1875 Depth=3
	s_or_b64 exec, exec, s[28:29]
	v_lshlrev_b32_e32 v0, 9, v13
	v_cmp_ne_u32_e32 vcc, v21, v0
	s_mov_b64 s[28:29], exec
	v_accvgpr_read_b32 v16, a30
	s_and_b64 vcc, s[28:29], vcc
	v_accvgpr_read_b32 v17, a31
	s_mov_b64 exec, vcc
	s_cbranch_execz .LBB4_2077
; %bb.2067:                             ;   in Loop: Header=BB4_1875 Depth=3
	v_lshlrev_b32_e32 v1, 6, v10
	v_sub_u32_e32 v1, v12, v1
	v_ashrrev_i32_e32 v4, 31, v1
	v_lshrrev_b32_e32 v4, 26, v4
	v_add_u32_e32 v4, v1, v4
	v_and_b32_e32 v5, 0x7fffffc0, v4
	v_sub_u32_e32 v1, v1, v5
	v_lshlrev_b32_e32 v4, 1, v4
	v_and_b32_e32 v4, 0xffffff80, v4
	v_lshlrev_b32_e32 v1, 1, v1
	v_add3_u32 v1, v4, v1, v0
	v_add_u32_e32 v0, v1, v6
	v_ashrrev_i32_e32 v5, 31, v0
	v_add_co_u32_e32 v2, vcc, v2, v0
	v_sub_u32_e32 v1, v21, v1
	v_addc_co_u32_e32 v3, vcc, v3, v5, vcc
	v_cmp_lt_i32_e32 vcc, 1, v1
	s_mov_b64 s[54:55], 0
                                        ; implicit-def: $vgpr6
	s_and_saveexec_b64 s[30:31], vcc
	s_cbranch_execz .LBB4_2075
; %bb.2068:                             ;   in Loop: Header=BB4_1875 Depth=3
	s_trap 2
	ds_read_b64 v[8:9], v0
	s_mov_b64 s[58:59], 0
                                        ; implicit-def: $sgpr56_sgpr57
                                        ; implicit-def: $vgpr6
	s_waitcnt lgkmcnt(0)
	v_add_co_u32_e32 v4, vcc, v8, v0
	v_addc_co_u32_e32 v5, vcc, v9, v5, vcc
	s_branch .LBB4_2070
.LBB4_2069:                             ;   in Loop: Header=BB4_2070 Depth=4
	s_or_b64 exec, exec, s[60:61]
	s_waitcnt vmcnt(0) lgkmcnt(0)
	flat_store_short v[2:3], v0 glc slc
	v_add_co_u32_e32 v0, vcc, v2, v8
	v_addc_co_u32_e32 v3, vcc, v3, v9, vcc
	v_add_co_u32_e32 v4, vcc, v4, v8
	v_addc_co_u32_e32 v5, vcc, v5, v9, vcc
	v_add_co_u32_e32 v2, vcc, 0x80, v0
	v_addc_co_u32_e32 v3, vcc, 0, v3, vcc
	v_sub_u32_e32 v1, v1, v10
	v_cmp_gt_i32_e32 vcc, 2, v1
	s_or_b64 s[54:55], vcc, s[54:55]
	s_andn2_b64 vcc, s[56:57], exec
	s_and_b64 s[56:57], s[58:59], exec
	s_or_b64 s[56:57], vcc, s[56:57]
	s_andn2_b64 exec, exec, s[54:55]
	s_cbranch_execz .LBB4_2074
.LBB4_2070:                             ;   Parent Loop BB4_47 Depth=1
                                        ;     Parent Loop BB4_1872 Depth=2
                                        ;       Parent Loop BB4_1875 Depth=3
                                        ; =>      This Inner Loop Header: Depth=4
	flat_load_ushort v0, v[4:5] glc slc
	s_and_saveexec_b64 s[60:61], s[58:59]
	s_cbranch_execz .LBB4_2072
; %bb.2071:                             ;   in Loop: Header=BB4_2070 Depth=4
	v_accvgpr_read_b32 v8, a39
	v_add_co_u32_e32 v8, vcc, v2, v8
	v_accvgpr_read_b32 v9, a40
	v_addc_co_u32_e32 v9, vcc, v3, v9, vcc
	flat_store_short v[2:3], v6 glc slc
	v_pk_mov_b32 v[2:3], v[8:9], v[8:9] op_sel:[0,1]
.LBB4_2072:                             ;   in Loop: Header=BB4_2070 Depth=4
	s_or_b64 exec, exec, s[60:61]
	v_accvgpr_read_b32 v8, a39
	v_add_co_u32_e32 v4, vcc, v4, v8
	v_accvgpr_read_b32 v8, a40
	v_sub_u32_e32 v1, v1, v51
	v_addc_co_u32_e32 v5, vcc, v5, v8, vcc
	v_cmp_lt_i32_e64 s[58:59], 1, v1
	v_mov_b32_e32 v10, 0
	v_pk_mov_b32 v[8:9], 0, 0
	s_and_saveexec_b64 s[60:61], s[58:59]
	s_cbranch_execz .LBB4_2069
; %bb.2073:                             ;   in Loop: Header=BB4_2070 Depth=4
	flat_load_ushort v6, v[4:5] glc slc
	v_add_co_u32_e32 v4, vcc, 0x80, v4
	v_addc_co_u32_e32 v5, vcc, 0, v5, vcc
	v_mov_b32_e32 v10, v51
	v_pk_mov_b32 v[8:9], v[16:17], v[16:17] op_sel:[0,1]
	s_branch .LBB4_2069
.LBB4_2074:                             ;   in Loop: Header=BB4_1875 Depth=3
	s_or_b64 exec, exec, s[54:55]
	s_and_b64 s[54:55], s[56:57], exec
.LBB4_2075:                             ;   in Loop: Header=BB4_1875 Depth=3
	s_or_b64 exec, exec, s[30:31]
	s_and_b64 exec, exec, s[54:55]
	s_cbranch_execz .LBB4_2077
; %bb.2076:                             ;   in Loop: Header=BB4_1875 Depth=3
	flat_store_short v[2:3], v6 glc slc
.LBB4_2077:                             ;   in Loop: Header=BB4_1875 Depth=3
	s_or_b64 exec, exec, s[28:29]
.LBB4_2078:                             ;   in Loop: Header=BB4_1875 Depth=3
	s_or_b64 exec, exec, s[26:27]
.LBB4_2079:                             ;   in Loop: Header=BB4_1875 Depth=3
	s_and_saveexec_b64 s[26:27], s[10:11]
	s_cbranch_execz .LBB4_2098
; %bb.2080:                             ;   in Loop: Header=BB4_1875 Depth=3
	s_and_saveexec_b64 s[28:29], s[44:45]
	s_xor_b64 s[28:29], exec, s[28:29]
	s_cbranch_execz .LBB4_2095
; %bb.2081:                             ;   in Loop: Header=BB4_1875 Depth=3
	s_and_saveexec_b64 s[30:31], s[16:17]
	s_cbranch_execz .LBB4_2094
; %bb.2082:                             ;   in Loop: Header=BB4_1875 Depth=3
	s_mov_b64 s[56:57], exec
	v_mbcnt_lo_u32_b32 v0, s56, 0
	v_mbcnt_hi_u32_b32 v0, s57, v0
	v_cmp_eq_u32_e32 vcc, 0, v0
	s_waitcnt vmcnt(0) lgkmcnt(0)
	buffer_wbinvl1_vol
	s_and_saveexec_b64 s[54:55], vcc
	s_cbranch_execz .LBB4_2084
; %bb.2083:                             ;   in Loop: Header=BB4_1875 Depth=3
	s_bcnt1_i32_b64 vcc_lo, s[56:57]
	v_mov_b32_e32 v0, vcc_lo
	v_mov_b32_e32 v1, v42
	ds_add_u64 v0, v[0:1]
	s_trap 2
.LBB4_2084:                             ;   in Loop: Header=BB4_1875 Depth=3
	s_or_b64 exec, exec, s[54:55]
	s_trap 2
	ds_read_b64 v[0:1], v0
	v_add_co_u32_e32 v40, vcc, v40, v28
	v_addc_co_u32_e32 v41, vcc, 0, v41, vcc
	s_waitcnt lgkmcnt(0)
	v_cmp_lt_u64_e32 vcc, v[0:1], v[40:41]
	s_and_saveexec_b64 s[54:55], vcc
	s_cbranch_execz .LBB4_2093
; %bb.2085:                             ;   in Loop: Header=BB4_1875 Depth=3
	s_mov_b32 s66, 0
	s_mov_b64 s[56:57], 0
                                        ; implicit-def: $sgpr58_sgpr59
                                        ; implicit-def: $sgpr60_sgpr61
	s_branch .LBB4_2087
.LBB4_2086:                             ;   in Loop: Header=BB4_2087 Depth=4
	s_or_b64 exec, exec, s[64:65]
	s_and_b64 vcc, exec, vcc
	s_or_b64 s[56:57], vcc, s[56:57]
	s_andn2_b64 vcc, s[58:59], exec
	s_and_b64 s[58:59], s[60:61], exec
	s_or_b64 s[58:59], vcc, s[58:59]
	s_andn2_b64 exec, exec, s[56:57]
	s_cbranch_execz .LBB4_2091
.LBB4_2087:                             ;   Parent Loop BB4_47 Depth=1
                                        ;     Parent Loop BB4_1872 Depth=2
                                        ;       Parent Loop BB4_1875 Depth=3
                                        ; =>      This Inner Loop Header: Depth=4
	s_add_i32 s66, s66, 1
	s_cmpk_lg_i32 s66, 0x2710
	s_cselect_b64 s[62:63], -1, 0
	s_and_b64 vcc, exec, s[62:63]
                                        ; implicit-def: $sgpr64_sgpr65
	s_cbranch_vccnz .LBB4_2089
; %bb.2088:                             ;   in Loop: Header=BB4_2087 Depth=4
	s_trap 2
	ds_read_b64 v[0:1], v0
	s_andn2_b64 s[62:63], s[62:63], exec
	s_mov_b32 s66, 0
	s_mov_b64 s[64:65], -1
	s_waitcnt lgkmcnt(0)
	flat_load_dword v0, v[0:1] glc
	s_waitcnt vmcnt(0) lgkmcnt(0)
	buffer_invl2
	buffer_wbinvl1_vol
	v_cmp_eq_u32_e32 vcc, 0, v0
	s_and_b64 vcc, vcc, exec
	s_or_b64 s[62:63], s[62:63], vcc
.LBB4_2089:                             ;   in Loop: Header=BB4_2087 Depth=4
	s_andn2_b64 s[60:61], s[60:61], exec
	s_and_b64 s[64:65], s[64:65], exec
	s_mov_b64 vcc, -1
	s_or_b64 s[60:61], s[60:61], s[64:65]
	s_and_saveexec_b64 s[64:65], s[62:63]
	s_cbranch_execz .LBB4_2086
; %bb.2090:                             ;   in Loop: Header=BB4_2087 Depth=4
	s_sleep 1
	s_trap 2
	ds_read_b64 v[0:1], v0
	s_andn2_b64 s[60:61], s[60:61], exec
	s_waitcnt lgkmcnt(0)
	v_cmp_ge_u64_e32 vcc, v[0:1], v[40:41]
	s_orn2_b64 vcc, vcc, exec
	s_branch .LBB4_2086
.LBB4_2091:                             ;   in Loop: Header=BB4_1875 Depth=3
	s_or_b64 exec, exec, s[56:57]
	s_and_saveexec_b64 vcc, s[58:59]
	s_xor_b64 vcc, exec, vcc
	s_cbranch_execz .LBB4_2093
; %bb.2092:                             ;   in Loop: Header=BB4_1875 Depth=3
	v_mov_b32_e32 v0, 1
	ds_write_b32 v0, v0
	s_trap 2
.LBB4_2093:                             ;   in Loop: Header=BB4_1875 Depth=3
	s_or_b64 exec, exec, s[54:55]
	;;#ASMSTART
	s_wakeup
	;;#ASMEND
.LBB4_2094:                             ;   in Loop: Header=BB4_1875 Depth=3
	s_or_b64 exec, exec, s[30:31]
.LBB4_2095:                             ;   in Loop: Header=BB4_1875 Depth=3
	s_andn2_saveexec_b64 s[28:29], s[28:29]
	s_cbranch_execz .LBB4_2097
; %bb.2096:                             ;   in Loop: Header=BB4_1875 Depth=3
	s_waitcnt vmcnt(0) lgkmcnt(0)
	buffer_wbinvl1_vol
	s_barrier
.LBB4_2097:                             ;   in Loop: Header=BB4_1875 Depth=3
	s_or_b64 exec, exec, s[28:29]
.LBB4_2098:                             ;   in Loop: Header=BB4_1875 Depth=3
	s_or_b64 exec, exec, s[26:27]
	v_and_b32_e32 v0, 16, v62
	s_and_saveexec_b64 s[26:27], s[24:25]
	s_xor_b64 s[28:29], exec, s[26:27]
	s_cbranch_execz .LBB4_2102
; %bb.2099:                             ;   in Loop: Header=BB4_1875 Depth=3
	v_and_b32_e32 v1, 16, v62
	v_cmp_lt_i32_e32 vcc, 0, v19
	v_cmp_ne_u32_e64 s[26:27], 0, v1
	v_and_b32_e32 v0, 16, v62
	s_and_b64 vcc, s[26:27], vcc
	s_and_saveexec_b64 s[26:27], vcc
	s_cbranch_execz .LBB4_2101
; %bb.2100:                             ;   in Loop: Header=BB4_1875 Depth=3
	v_mov_b32_e32 v0, 1
	s_waitcnt vmcnt(0) lgkmcnt(0)
	buffer_wbinvl1_vol
.LBB4_2101:                             ;   in Loop: Header=BB4_1875 Depth=3
	s_or_b64 exec, exec, s[26:27]
.LBB4_2102:                             ;   in Loop: Header=BB4_1875 Depth=3
	s_andn2_saveexec_b64 s[26:27], s[28:29]
	s_cbranch_execz .LBB4_2121
; %bb.2103:                             ;   in Loop: Header=BB4_1875 Depth=3
	s_and_saveexec_b64 s[28:29], s[44:45]
	s_xor_b64 s[28:29], exec, s[28:29]
	s_cbranch_execz .LBB4_2118
; %bb.2104:                             ;   in Loop: Header=BB4_1875 Depth=3
	s_and_saveexec_b64 s[30:31], s[16:17]
	s_cbranch_execz .LBB4_2117
; %bb.2105:                             ;   in Loop: Header=BB4_1875 Depth=3
	s_mov_b64 s[56:57], exec
	v_mbcnt_lo_u32_b32 v1, s56, 0
	v_mbcnt_hi_u32_b32 v1, s57, v1
	v_cmp_eq_u32_e32 vcc, 0, v1
	;;#ASMSTART
	s_waitcnt lgkmcnt(0) vmcnt(0)
	;;#ASMEND
	s_and_saveexec_b64 s[54:55], vcc
	s_cbranch_execz .LBB4_2107
; %bb.2106:                             ;   in Loop: Header=BB4_1875 Depth=3
	s_bcnt1_i32_b64 vcc_lo, s[56:57]
	s_waitcnt lgkmcnt(0)
	v_mov_b32_e32 v2, vcc_lo
	v_mov_b32_e32 v3, v42
	ds_add_u64 v0, v[2:3]
	s_trap 2
.LBB4_2107:                             ;   in Loop: Header=BB4_1875 Depth=3
	s_or_b64 exec, exec, s[54:55]
	s_trap 2
	s_waitcnt lgkmcnt(0)
	ds_read_b64 v[2:3], v0
	v_add_co_u32_e32 v40, vcc, v40, v28
	v_addc_co_u32_e32 v41, vcc, 0, v41, vcc
	s_waitcnt lgkmcnt(0)
	v_cmp_lt_u64_e32 vcc, v[2:3], v[40:41]
	s_and_saveexec_b64 s[54:55], vcc
	s_cbranch_execz .LBB4_2116
; %bb.2108:                             ;   in Loop: Header=BB4_1875 Depth=3
	s_mov_b32 s66, 0
	s_mov_b64 s[56:57], 0
                                        ; implicit-def: $sgpr58_sgpr59
                                        ; implicit-def: $sgpr60_sgpr61
	s_branch .LBB4_2110
.LBB4_2109:                             ;   in Loop: Header=BB4_2110 Depth=4
	s_or_b64 exec, exec, s[64:65]
	s_and_b64 vcc, exec, vcc
	s_or_b64 s[56:57], vcc, s[56:57]
	s_andn2_b64 vcc, s[58:59], exec
	s_and_b64 s[58:59], s[60:61], exec
	s_or_b64 s[58:59], vcc, s[58:59]
	s_andn2_b64 exec, exec, s[56:57]
	s_cbranch_execz .LBB4_2114
.LBB4_2110:                             ;   Parent Loop BB4_47 Depth=1
                                        ;     Parent Loop BB4_1872 Depth=2
                                        ;       Parent Loop BB4_1875 Depth=3
                                        ; =>      This Inner Loop Header: Depth=4
	s_add_i32 s66, s66, 1
	s_cmpk_lg_i32 s66, 0x2710
	s_cselect_b64 s[62:63], -1, 0
	s_and_b64 vcc, exec, s[62:63]
                                        ; implicit-def: $sgpr64_sgpr65
	s_cbranch_vccnz .LBB4_2112
; %bb.2111:                             ;   in Loop: Header=BB4_2110 Depth=4
	s_trap 2
	ds_read_b64 v[2:3], v0
	s_andn2_b64 s[62:63], s[62:63], exec
	s_mov_b32 s66, 0
	s_mov_b64 s[64:65], -1
	s_waitcnt vmcnt(0) lgkmcnt(0)
	flat_load_dword v1, v[2:3] glc
	s_waitcnt vmcnt(0) lgkmcnt(0)
	buffer_invl2
	buffer_wbinvl1_vol
	v_cmp_eq_u32_e32 vcc, 0, v1
	s_and_b64 vcc, vcc, exec
	s_or_b64 s[62:63], s[62:63], vcc
.LBB4_2112:                             ;   in Loop: Header=BB4_2110 Depth=4
	s_andn2_b64 s[60:61], s[60:61], exec
	s_and_b64 s[64:65], s[64:65], exec
	s_mov_b64 vcc, -1
	s_or_b64 s[60:61], s[60:61], s[64:65]
	s_and_saveexec_b64 s[64:65], s[62:63]
	s_cbranch_execz .LBB4_2109
; %bb.2113:                             ;   in Loop: Header=BB4_2110 Depth=4
	s_sleep 1
	s_trap 2
	ds_read_b64 v[2:3], v0
	s_andn2_b64 s[60:61], s[60:61], exec
	s_waitcnt lgkmcnt(0)
	v_cmp_ge_u64_e32 vcc, v[2:3], v[40:41]
	s_orn2_b64 vcc, vcc, exec
	s_branch .LBB4_2109
.LBB4_2114:                             ;   in Loop: Header=BB4_1875 Depth=3
	s_or_b64 exec, exec, s[56:57]
	s_and_saveexec_b64 vcc, s[58:59]
	s_xor_b64 vcc, exec, vcc
	s_cbranch_execz .LBB4_2116
; %bb.2115:                             ;   in Loop: Header=BB4_1875 Depth=3
	v_mov_b32_e32 v1, 1
	ds_write_b32 v0, v1
	s_trap 2
.LBB4_2116:                             ;   in Loop: Header=BB4_1875 Depth=3
	s_or_b64 exec, exec, s[54:55]
	;;#ASMSTART
	s_wakeup
	;;#ASMEND
.LBB4_2117:                             ;   in Loop: Header=BB4_1875 Depth=3
	s_or_b64 exec, exec, s[30:31]
.LBB4_2118:                             ;   in Loop: Header=BB4_1875 Depth=3
	s_andn2_saveexec_b64 s[28:29], s[28:29]
	s_cbranch_execz .LBB4_2120
; %bb.2119:                             ;   in Loop: Header=BB4_1875 Depth=3
	;;#ASMSTART
	s_waitcnt lgkmcnt(0) vmcnt(0)
	;;#ASMEND
	s_barrier
.LBB4_2120:                             ;   in Loop: Header=BB4_1875 Depth=3
	s_or_b64 exec, exec, s[28:29]
.LBB4_2121:                             ;   in Loop: Header=BB4_1875 Depth=3
	s_or_b64 exec, exec, s[26:27]
	v_cmp_ne_u32_e32 vcc, 0, v0
	s_xor_b64 s[26:27], s[12:13], -1
	s_and_b64 s[28:29], vcc, s[26:27]
	s_and_saveexec_b64 s[26:27], s[28:29]
	s_cbranch_execz .LBB4_2123
; %bb.2122:                             ;   in Loop: Header=BB4_1875 Depth=3
	v_accvgpr_read_b32 v0, a18
	v_accvgpr_read_b32 v1, a19
	s_waitcnt lgkmcnt(0)
	v_mov_b32_e32 v2, 1
	flat_store_dword v[0:1], v2
.LBB4_2123:                             ;   in Loop: Header=BB4_1875 Depth=3
	s_or_b64 exec, exec, s[26:27]
	v_and_b32_e32 v0, 48, v62
	v_cmp_ne_u32_e32 vcc, 0, v0
	s_and_saveexec_b64 s[26:27], vcc
	s_cbranch_execz .LBB4_1874
; %bb.2124:                             ;   in Loop: Header=BB4_1875 Depth=3
	v_add_co_u32_e32 v44, vcc, 2, v44
	v_addc_co_u32_e32 v45, vcc, 0, v45, vcc
	flat_store_dwordx2 v[46:47], v[44:45]
	s_branch .LBB4_1874
.LBB4_2125:                             ;   in Loop: Header=BB4_1872 Depth=2
	s_or_b64 exec, exec, s[34:35]
	v_cmp_gt_i32_e32 vcc, 2, v0
	s_and_saveexec_b64 s[28:29], vcc
	s_cbranch_execz .LBB4_2201
.LBB4_2126:                             ;   in Loop: Header=BB4_1872 Depth=2
	v_cmp_eq_u32_e64 s[26:27], 0, v0
	s_mov_b64 s[30:31], 0
	s_branch .LBB4_2128
.LBB4_2127:                             ;   in Loop: Header=BB4_2128 Depth=3
	s_or_b64 exec, exec, s[26:27]
	v_add_u32_e32 v20, v18, v20
	s_mov_b64 s[26:27], 0
	s_andn2_b64 exec, exec, s[30:31]
	s_cbranch_execz .LBB4_2202
.LBB4_2128:                             ;   Parent Loop BB4_47 Depth=1
                                        ;     Parent Loop BB4_1872 Depth=2
                                        ; =>    This Loop Header: Depth=3
                                        ;         Child Loop BB4_2134 Depth 4
                                        ;         Child Loop BB4_2162 Depth 4
	;; [unrolled: 1-line block ×3, first 2 shown]
	v_and_b32_e32 v0, 12, v62
	s_mov_b64 s[36:37], -1
	v_cmp_ne_u32_e32 vcc, 0, v0
	s_and_saveexec_b64 s[34:35], vcc
	s_cbranch_execz .LBB4_2140
; %bb.2129:                             ;   in Loop: Header=BB4_2128 Depth=3
	v_and_b32_e32 v0, 8, v62
	v_add_co_u32_e32 v4, vcc, v60, v0
	v_addc_co_u32_e32 v5, vcc, 0, v61, vcc
	s_waitcnt lgkmcnt(0)
	v_add_co_u32_e32 v2, vcc, 2, v44
	v_addc_co_u32_e32 v3, vcc, 0, v45, vcc
	v_cmp_lt_u64_e32 vcc, v[4:5], v[2:3]
	v_mov_b32_e32 v1, 1
	s_and_saveexec_b64 s[36:37], vcc
	s_cbranch_execz .LBB4_2139
; %bb.2130:                             ;   in Loop: Header=BB4_2128 Depth=3
	s_mov_b64 s[52:53], 0
	v_mov_b32_e32 v1, 0
                                        ; implicit-def: $sgpr54_sgpr55
	s_branch .LBB4_2134
.LBB4_2131:                             ;   in Loop: Header=BB4_2134 Depth=4
	s_or_b64 exec, exec, s[62:63]
	v_mov_b32_e32 v4, 0
	s_orn2_b64 s[60:61], s[60:61], exec
.LBB4_2132:                             ;   in Loop: Header=BB4_2134 Depth=4
	s_or_b64 exec, exec, s[58:59]
	s_andn2_b64 vcc, s[54:55], exec
	s_and_b64 s[54:55], s[60:61], exec
	s_or_b64 s[54:55], vcc, s[54:55]
	v_mov_b32_e32 v1, v4
.LBB4_2133:                             ;   in Loop: Header=BB4_2134 Depth=4
	s_or_b64 exec, exec, s[56:57]
	s_waitcnt vmcnt(0) lgkmcnt(0)
	v_add_co_u32_e32 v4, vcc, v60, v0
	v_addc_co_u32_e32 v5, vcc, 0, v61, vcc
	v_cmp_ge_u64_e32 vcc, v[4:5], v[2:3]
	s_xor_b64 s[56:57], s[54:55], -1
	s_or_b64 vcc, s[56:57], vcc
	s_and_b64 vcc, exec, vcc
	s_or_b64 s[52:53], vcc, s[52:53]
	s_andn2_b64 exec, exec, s[52:53]
	s_cbranch_execz .LBB4_2138
.LBB4_2134:                             ;   Parent Loop BB4_47 Depth=1
                                        ;     Parent Loop BB4_1872 Depth=2
                                        ;       Parent Loop BB4_2128 Depth=3
                                        ; =>      This Inner Loop Header: Depth=4
	s_sleep 1
	flat_load_dwordx2 v[60:61], v[46:47] glc
	v_and_b32_e32 v4, 64, v62
	v_cmp_eq_u32_e32 vcc, 0, v4
	s_andn2_b64 s[54:55], s[54:55], exec
	s_and_saveexec_b64 s[56:57], vcc
	s_cbranch_execz .LBB4_2133
; %bb.2135:                             ;   in Loop: Header=BB4_2134 Depth=4
	v_add_u32_e32 v4, 1, v1
	v_cmp_lt_i32_e32 vcc, s89, v1
	s_mov_b64 s[60:61], -1
	s_and_saveexec_b64 s[58:59], vcc
	s_cbranch_execz .LBB4_2132
; %bb.2136:                             ;   in Loop: Header=BB4_2134 Depth=4
	s_trap 2
	ds_read_b64 v[4:5], v0
	s_waitcnt vmcnt(0) lgkmcnt(0)
	flat_load_dword v1, v[4:5] glc
	s_waitcnt vmcnt(0) lgkmcnt(0)
	buffer_invl2
	buffer_wbinvl1_vol
	v_cmp_ne_u32_e32 vcc, 0, v1
	s_and_saveexec_b64 s[62:63], vcc
	s_cbranch_execz .LBB4_2131
; %bb.2137:                             ;   in Loop: Header=BB4_2134 Depth=4
	v_or_b32_e32 v62, 64, v62
	s_xor_b64 s[60:61], exec, -1
	ds_write_b32 v0, v1
	s_trap 2
	s_branch .LBB4_2131
.LBB4_2138:                             ;   in Loop: Header=BB4_2128 Depth=3
	s_or_b64 exec, exec, s[52:53]
	v_and_b32_e32 v1, 12, v62
.LBB4_2139:                             ;   in Loop: Header=BB4_2128 Depth=3
	s_or_b64 exec, exec, s[36:37]
	v_cmp_eq_u32_e32 vcc, 0, v1
	s_orn2_b64 s[36:37], vcc, exec
	;;#ASMSTART
	s_wakeup
	;;#ASMEND
.LBB4_2140:                             ;   in Loop: Header=BB4_2128 Depth=3
	s_or_b64 exec, exec, s[34:35]
	s_xor_b64 s[26:27], s[26:27], -1
	s_and_b64 s[26:27], exec, s[26:27]
	s_or_b64 s[30:31], s[26:27], s[30:31]
	v_sub_u32_e32 v0, v30, v20
	s_xor_b64 s[26:27], s[36:37], -1
	v_min_i32_e32 v18, v18, v0
	s_and_saveexec_b64 s[34:35], s[26:27]
	s_cbranch_execz .LBB4_2154
; %bb.2141:                             ;   in Loop: Header=BB4_2128 Depth=3
	v_and_b32_e32 v0, 0x108, v62
	v_cmp_ne_u32_e32 vcc, s90, v0
	v_and_b32_e32 v0, 7, v44
	s_and_saveexec_b64 s[26:27], vcc
	s_xor_b64 s[26:27], exec, s[26:27]
                                        ; implicit-def: $vgpr2_vgpr3
	s_cbranch_execz .LBB4_2143
; %bb.2142:                             ;   in Loop: Header=BB4_2128 Depth=3
	s_waitcnt lgkmcnt(0)
	v_mov_b32_e32 v3, v42
.LBB4_2143:                             ;   in Loop: Header=BB4_2128 Depth=3
	s_andn2_saveexec_b64 s[26:27], s[26:27]
	s_cbranch_execz .LBB4_2145
; %bb.2144:                             ;   in Loop: Header=BB4_2128 Depth=3
	v_ashrrev_i32_e32 v19, 31, v18
	s_waitcnt lgkmcnt(0)
	v_mov_b32_e32 v3, v42
	v_mad_u64_u32 v[4:5], vcc, v0, 24, v[48:49]
	v_lshlrev_b64 v[8:9], 1, v[18:19]
	flat_store_dwordx2 v[4:5], v[8:9] offset:8
.LBB4_2145:                             ;   in Loop: Header=BB4_2128 Depth=3
	s_or_b64 exec, exec, s[26:27]
	v_and_b32_e32 v1, 0x100, v62
	v_cmp_ne_u32_e32 vcc, 0, v1
	s_mov_b64 s[26:27], -1
                                        ; implicit-def: $vgpr4_vgpr5
	s_and_saveexec_b64 s[36:37], vcc
	s_cbranch_execz .LBB4_2149
; %bb.2146:                             ;   in Loop: Header=BB4_2128 Depth=3
	v_mad_u64_u32 v[8:9], s[26:27], v0, 24, v[48:49]
	s_waitcnt lgkmcnt(0)
	v_mov_b32_e32 v2, v9
	v_mad_u64_u32 v[4:5], s[26:27], v3, 24, v[2:3]
	v_mov_b32_e32 v9, v4
	flat_load_dword v1, v[8:9]
                                        ; implicit-def: $vgpr4_vgpr5
	s_waitcnt vmcnt(0) lgkmcnt(0)
	v_cmp_ne_u32_e32 vcc, 1, v1
	v_cmp_eq_u32_e64 s[26:27], 1, v1
	s_and_saveexec_b64 s[52:53], s[26:27]
	s_cbranch_execz .LBB4_2148
; %bb.2147:                             ;   in Loop: Header=BB4_2128 Depth=3
	flat_load_dword v4, v[8:9] offset:4 glc
	s_waitcnt vmcnt(0) lgkmcnt(0)
	v_ashrrev_i32_e32 v5, 31, v4
	v_lshrrev_b64 v[4:5], 1, v[4:5]
.LBB4_2148:                             ;   in Loop: Header=BB4_2128 Depth=3
	s_or_b64 exec, exec, s[52:53]
	s_orn2_b64 s[26:27], vcc, exec
.LBB4_2149:                             ;   in Loop: Header=BB4_2128 Depth=3
	s_or_b64 exec, exec, s[36:37]
	s_and_saveexec_b64 vcc, s[26:27]
	s_cbranch_execz .LBB4_2151
; %bb.2150:                             ;   in Loop: Header=BB4_2128 Depth=3
	s_waitcnt lgkmcnt(0)
	v_mul_lo_u32 v1, v3, v38
	v_accvgpr_read_b32 v3, a53
	v_mul_lo_u32 v2, v0, v3
	v_mad_u64_u32 v[4:5], s[26:27], v0, v38, 0
	v_add3_u32 v5, v5, v2, v1
.LBB4_2151:                             ;   in Loop: Header=BB4_2128 Depth=3
	s_or_b64 exec, exec, vcc
	v_lshlrev_b64 v[0:1], 1, v[4:5]
	v_add_co_u32_e32 v0, vcc, v52, v0
	v_addc_co_u32_e32 v1, vcc, v53, v1, vcc
	s_trap 2
	ds_write_b64 v0, v[0:1]
	v_and_b32_e32 v0, 0x2000, v62
	v_cmp_ne_u32_e32 vcc, 0, v0
	s_and_saveexec_b64 s[26:27], vcc
	s_cbranch_execz .LBB4_2153
; %bb.2152:                             ;   in Loop: Header=BB4_2128 Depth=3
	ds_read_b64 v[0:1], v0 offset:584
	s_waitcnt lgkmcnt(0)
	v_add_co_u32_e32 v0, vcc, 1, v0
	v_addc_co_u32_e32 v1, vcc, 0, v1, vcc
	ds_write_b64 v0, v[0:1] offset:584
.LBB4_2153:                             ;   in Loop: Header=BB4_2128 Depth=3
	s_or_b64 exec, exec, s[26:27]
	v_add_co_u32_e32 v44, vcc, 2, v44
	v_addc_co_u32_e32 v45, vcc, 0, v45, vcc
.LBB4_2154:                             ;   in Loop: Header=BB4_2128 Depth=3
	s_or_b64 exec, exec, s[34:35]
	s_and_saveexec_b64 s[26:27], s[10:11]
	s_cbranch_execz .LBB4_2173
; %bb.2155:                             ;   in Loop: Header=BB4_2128 Depth=3
	s_and_saveexec_b64 vcc, s[44:45]
	s_xor_b64 s[34:35], exec, vcc
	s_cbranch_execz .LBB4_2170
; %bb.2156:                             ;   in Loop: Header=BB4_2128 Depth=3
	s_and_saveexec_b64 s[36:37], s[16:17]
	s_cbranch_execz .LBB4_2169
; %bb.2157:                             ;   in Loop: Header=BB4_2128 Depth=3
	s_mov_b64 s[54:55], exec
	v_mbcnt_lo_u32_b32 v0, s54, 0
	v_mbcnt_hi_u32_b32 v0, s55, v0
	v_cmp_eq_u32_e32 vcc, 0, v0
	s_waitcnt vmcnt(0) lgkmcnt(0)
	buffer_wbinvl1_vol
	s_and_saveexec_b64 s[52:53], vcc
	s_cbranch_execz .LBB4_2159
; %bb.2158:                             ;   in Loop: Header=BB4_2128 Depth=3
	s_bcnt1_i32_b64 vcc_lo, s[54:55]
	v_mov_b32_e32 v0, vcc_lo
	v_mov_b32_e32 v1, v42
	ds_add_u64 v0, v[0:1]
	s_trap 2
.LBB4_2159:                             ;   in Loop: Header=BB4_2128 Depth=3
	s_or_b64 exec, exec, s[52:53]
	s_trap 2
	ds_read_b64 v[0:1], v0
	v_add_co_u32_e32 v40, vcc, v40, v28
	v_addc_co_u32_e32 v41, vcc, 0, v41, vcc
	s_waitcnt lgkmcnt(0)
	v_cmp_lt_u64_e32 vcc, v[0:1], v[40:41]
	s_and_saveexec_b64 s[52:53], vcc
	s_cbranch_execz .LBB4_2168
; %bb.2160:                             ;   in Loop: Header=BB4_2128 Depth=3
	s_mov_b32 s64, 0
	s_mov_b64 s[54:55], 0
                                        ; implicit-def: $sgpr56_sgpr57
                                        ; implicit-def: $sgpr58_sgpr59
	s_branch .LBB4_2162
.LBB4_2161:                             ;   in Loop: Header=BB4_2162 Depth=4
	s_or_b64 exec, exec, s[62:63]
	s_and_b64 vcc, exec, vcc
	s_or_b64 s[54:55], vcc, s[54:55]
	s_andn2_b64 vcc, s[56:57], exec
	s_and_b64 s[56:57], s[58:59], exec
	s_or_b64 s[56:57], vcc, s[56:57]
	s_andn2_b64 exec, exec, s[54:55]
	s_cbranch_execz .LBB4_2166
.LBB4_2162:                             ;   Parent Loop BB4_47 Depth=1
                                        ;     Parent Loop BB4_1872 Depth=2
                                        ;       Parent Loop BB4_2128 Depth=3
                                        ; =>      This Inner Loop Header: Depth=4
	s_add_i32 s64, s64, 1
	s_cmpk_lg_i32 s64, 0x2710
	s_cselect_b64 s[60:61], -1, 0
	s_and_b64 vcc, exec, s[60:61]
                                        ; implicit-def: $sgpr62_sgpr63
	s_cbranch_vccnz .LBB4_2164
; %bb.2163:                             ;   in Loop: Header=BB4_2162 Depth=4
	s_trap 2
	ds_read_b64 v[0:1], v0
	s_andn2_b64 s[60:61], s[60:61], exec
	s_mov_b32 s64, 0
	s_mov_b64 s[62:63], -1
	s_waitcnt lgkmcnt(0)
	flat_load_dword v0, v[0:1] glc
	s_waitcnt vmcnt(0) lgkmcnt(0)
	buffer_invl2
	buffer_wbinvl1_vol
	v_cmp_eq_u32_e32 vcc, 0, v0
	s_and_b64 vcc, vcc, exec
	s_or_b64 s[60:61], s[60:61], vcc
.LBB4_2164:                             ;   in Loop: Header=BB4_2162 Depth=4
	s_andn2_b64 s[58:59], s[58:59], exec
	s_and_b64 s[62:63], s[62:63], exec
	s_mov_b64 vcc, -1
	s_or_b64 s[58:59], s[58:59], s[62:63]
	s_and_saveexec_b64 s[62:63], s[60:61]
	s_cbranch_execz .LBB4_2161
; %bb.2165:                             ;   in Loop: Header=BB4_2162 Depth=4
	s_sleep 1
	s_trap 2
	ds_read_b64 v[0:1], v0
	s_andn2_b64 s[58:59], s[58:59], exec
	s_waitcnt lgkmcnt(0)
	v_cmp_ge_u64_e32 vcc, v[0:1], v[40:41]
	s_orn2_b64 vcc, vcc, exec
	s_branch .LBB4_2161
.LBB4_2166:                             ;   in Loop: Header=BB4_2128 Depth=3
	s_or_b64 exec, exec, s[54:55]
	s_and_saveexec_b64 vcc, s[56:57]
	s_xor_b64 vcc, exec, vcc
	s_cbranch_execz .LBB4_2168
; %bb.2167:                             ;   in Loop: Header=BB4_2128 Depth=3
	v_mov_b32_e32 v0, 1
	ds_write_b32 v0, v0
	s_trap 2
.LBB4_2168:                             ;   in Loop: Header=BB4_2128 Depth=3
	s_or_b64 exec, exec, s[52:53]
	;;#ASMSTART
	s_wakeup
	;;#ASMEND
.LBB4_2169:                             ;   in Loop: Header=BB4_2128 Depth=3
	s_or_b64 exec, exec, s[36:37]
.LBB4_2170:                             ;   in Loop: Header=BB4_2128 Depth=3
	s_andn2_saveexec_b64 vcc, s[34:35]
	s_cbranch_execz .LBB4_2172
; %bb.2171:                             ;   in Loop: Header=BB4_2128 Depth=3
	s_waitcnt vmcnt(0) lgkmcnt(0)
	buffer_wbinvl1_vol
	s_barrier
.LBB4_2172:                             ;   in Loop: Header=BB4_2128 Depth=3
	s_or_b64 exec, exec, vcc
.LBB4_2173:                             ;   in Loop: Header=BB4_2128 Depth=3
	s_or_b64 exec, exec, s[26:27]
	v_and_b32_e32 v0, 16, v62
	s_and_saveexec_b64 s[26:27], s[24:25]
	s_xor_b64 s[26:27], exec, s[26:27]
	s_cbranch_execz .LBB4_2177
; %bb.2174:                             ;   in Loop: Header=BB4_2128 Depth=3
	s_trap 2
	ds_read_b32 v1, v0
	v_cmp_lt_i32_e32 vcc, 0, v18
	s_waitcnt lgkmcnt(0)
	v_and_b32_e32 v2, 16, v62
	v_and_b32_e32 v0, 16, v62
	v_readfirstlane_b32 s34, v1
	s_cmp_eq_u32 s34, 0
	s_cselect_b64 s[34:35], -1, 0
	s_and_b64 s[34:35], vcc, s[34:35]
	v_cmp_ne_u32_e32 vcc, 0, v2
	s_and_b64 s[34:35], vcc, s[34:35]
	s_and_saveexec_b64 vcc, s[34:35]
	s_cbranch_execz .LBB4_2176
; %bb.2175:                             ;   in Loop: Header=BB4_2128 Depth=3
	v_mov_b32_e32 v0, 1
	s_waitcnt vmcnt(0)
	buffer_wbinvl1_vol
.LBB4_2176:                             ;   in Loop: Header=BB4_2128 Depth=3
	s_or_b64 exec, exec, vcc
.LBB4_2177:                             ;   in Loop: Header=BB4_2128 Depth=3
	s_andn2_saveexec_b64 s[26:27], s[26:27]
	s_cbranch_execz .LBB4_2196
; %bb.2178:                             ;   in Loop: Header=BB4_2128 Depth=3
	s_and_saveexec_b64 vcc, s[44:45]
	s_xor_b64 s[34:35], exec, vcc
	s_cbranch_execz .LBB4_2193
; %bb.2179:                             ;   in Loop: Header=BB4_2128 Depth=3
	s_and_saveexec_b64 s[36:37], s[16:17]
	s_cbranch_execz .LBB4_2192
; %bb.2180:                             ;   in Loop: Header=BB4_2128 Depth=3
	s_mov_b64 s[54:55], exec
	v_mbcnt_lo_u32_b32 v1, s54, 0
	v_mbcnt_hi_u32_b32 v1, s55, v1
	v_cmp_eq_u32_e32 vcc, 0, v1
	;;#ASMSTART
	s_waitcnt lgkmcnt(0) vmcnt(0)
	;;#ASMEND
	s_and_saveexec_b64 s[52:53], vcc
	s_cbranch_execz .LBB4_2182
; %bb.2181:                             ;   in Loop: Header=BB4_2128 Depth=3
	s_bcnt1_i32_b64 vcc_lo, s[54:55]
	s_waitcnt lgkmcnt(0)
	v_mov_b32_e32 v2, vcc_lo
	v_mov_b32_e32 v3, v42
	ds_add_u64 v0, v[2:3]
	s_trap 2
.LBB4_2182:                             ;   in Loop: Header=BB4_2128 Depth=3
	s_or_b64 exec, exec, s[52:53]
	s_trap 2
	s_waitcnt lgkmcnt(0)
	ds_read_b64 v[2:3], v0
	v_add_co_u32_e32 v40, vcc, v40, v28
	v_addc_co_u32_e32 v41, vcc, 0, v41, vcc
	s_waitcnt lgkmcnt(0)
	v_cmp_lt_u64_e32 vcc, v[2:3], v[40:41]
	s_and_saveexec_b64 s[52:53], vcc
	s_cbranch_execz .LBB4_2191
; %bb.2183:                             ;   in Loop: Header=BB4_2128 Depth=3
	s_mov_b32 s64, 0
	s_mov_b64 s[54:55], 0
                                        ; implicit-def: $sgpr56_sgpr57
                                        ; implicit-def: $sgpr58_sgpr59
	s_branch .LBB4_2185
.LBB4_2184:                             ;   in Loop: Header=BB4_2185 Depth=4
	s_or_b64 exec, exec, s[62:63]
	s_and_b64 vcc, exec, vcc
	s_or_b64 s[54:55], vcc, s[54:55]
	s_andn2_b64 vcc, s[56:57], exec
	s_and_b64 s[56:57], s[58:59], exec
	s_or_b64 s[56:57], vcc, s[56:57]
	s_andn2_b64 exec, exec, s[54:55]
	s_cbranch_execz .LBB4_2189
.LBB4_2185:                             ;   Parent Loop BB4_47 Depth=1
                                        ;     Parent Loop BB4_1872 Depth=2
                                        ;       Parent Loop BB4_2128 Depth=3
                                        ; =>      This Inner Loop Header: Depth=4
	s_add_i32 s64, s64, 1
	s_cmpk_lg_i32 s64, 0x2710
	s_cselect_b64 s[60:61], -1, 0
	s_and_b64 vcc, exec, s[60:61]
                                        ; implicit-def: $sgpr62_sgpr63
	s_cbranch_vccnz .LBB4_2187
; %bb.2186:                             ;   in Loop: Header=BB4_2185 Depth=4
	s_trap 2
	ds_read_b64 v[2:3], v0
	s_andn2_b64 s[60:61], s[60:61], exec
	s_mov_b32 s64, 0
	s_mov_b64 s[62:63], -1
	s_waitcnt vmcnt(0) lgkmcnt(0)
	flat_load_dword v1, v[2:3] glc
	s_waitcnt vmcnt(0) lgkmcnt(0)
	buffer_invl2
	buffer_wbinvl1_vol
	v_cmp_eq_u32_e32 vcc, 0, v1
	s_and_b64 vcc, vcc, exec
	s_or_b64 s[60:61], s[60:61], vcc
.LBB4_2187:                             ;   in Loop: Header=BB4_2185 Depth=4
	s_andn2_b64 s[58:59], s[58:59], exec
	s_and_b64 s[62:63], s[62:63], exec
	s_mov_b64 vcc, -1
	s_or_b64 s[58:59], s[58:59], s[62:63]
	s_and_saveexec_b64 s[62:63], s[60:61]
	s_cbranch_execz .LBB4_2184
; %bb.2188:                             ;   in Loop: Header=BB4_2185 Depth=4
	s_sleep 1
	s_trap 2
	ds_read_b64 v[2:3], v0
	s_andn2_b64 s[58:59], s[58:59], exec
	s_waitcnt lgkmcnt(0)
	v_cmp_ge_u64_e32 vcc, v[2:3], v[40:41]
	s_orn2_b64 vcc, vcc, exec
	s_branch .LBB4_2184
.LBB4_2189:                             ;   in Loop: Header=BB4_2128 Depth=3
	s_or_b64 exec, exec, s[54:55]
	s_and_saveexec_b64 vcc, s[56:57]
	s_xor_b64 vcc, exec, vcc
	s_cbranch_execz .LBB4_2191
; %bb.2190:                             ;   in Loop: Header=BB4_2128 Depth=3
	v_mov_b32_e32 v1, 1
	ds_write_b32 v0, v1
	s_trap 2
.LBB4_2191:                             ;   in Loop: Header=BB4_2128 Depth=3
	s_or_b64 exec, exec, s[52:53]
	;;#ASMSTART
	s_wakeup
	;;#ASMEND
.LBB4_2192:                             ;   in Loop: Header=BB4_2128 Depth=3
	s_or_b64 exec, exec, s[36:37]
.LBB4_2193:                             ;   in Loop: Header=BB4_2128 Depth=3
	s_andn2_saveexec_b64 vcc, s[34:35]
	s_cbranch_execz .LBB4_2195
; %bb.2194:                             ;   in Loop: Header=BB4_2128 Depth=3
	;;#ASMSTART
	s_waitcnt lgkmcnt(0) vmcnt(0)
	;;#ASMEND
	s_barrier
.LBB4_2195:                             ;   in Loop: Header=BB4_2128 Depth=3
	s_or_b64 exec, exec, vcc
.LBB4_2196:                             ;   in Loop: Header=BB4_2128 Depth=3
	s_or_b64 exec, exec, s[26:27]
	v_cmp_ne_u32_e32 vcc, 0, v0
	s_xor_b64 s[26:27], s[12:13], -1
	s_and_b64 vcc, vcc, s[26:27]
	s_and_saveexec_b64 s[26:27], vcc
	s_cbranch_execz .LBB4_2198
; %bb.2197:                             ;   in Loop: Header=BB4_2128 Depth=3
	v_accvgpr_read_b32 v0, a18
	v_accvgpr_read_b32 v1, a19
	s_waitcnt lgkmcnt(0)
	v_mov_b32_e32 v2, 1
	flat_store_dword v[0:1], v2
.LBB4_2198:                             ;   in Loop: Header=BB4_2128 Depth=3
	s_or_b64 exec, exec, s[26:27]
	v_and_b32_e32 v0, 48, v62
	v_cmp_ne_u32_e32 vcc, 0, v0
	s_and_saveexec_b64 s[26:27], vcc
	s_cbranch_execz .LBB4_2127
; %bb.2199:                             ;   in Loop: Header=BB4_2128 Depth=3
	v_add_co_u32_e32 v44, vcc, 2, v44
	v_addc_co_u32_e32 v45, vcc, 0, v45, vcc
	flat_store_dwordx2 v[46:47], v[44:45]
	s_branch .LBB4_2127
.LBB4_2200:                             ;   in Loop: Header=BB4_1872 Depth=2
	s_or_b64 exec, exec, s[36:37]
	s_or_b64 exec, exec, s[34:35]
	v_cmp_gt_i32_e32 vcc, 2, v0
	s_and_saveexec_b64 s[28:29], vcc
	s_cbranch_execnz .LBB4_2126
.LBB4_2201:                             ;   in Loop: Header=BB4_1872 Depth=2
	s_or_b64 exec, exec, s[28:29]
	s_add_i32 s26, s70, 1
	s_cmp_eq_u32 s70, s88
	s_cbranch_scc0 .LBB4_2203
	s_branch .LBB4_2204
.LBB4_2202:                             ;   in Loop: Header=BB4_1872 Depth=2
	s_or_b64 exec, exec, s[30:31]
	s_or_b64 exec, exec, s[28:29]
	s_add_i32 s26, s70, 1
	s_cmp_eq_u32 s70, s88
	s_cbranch_scc1 .LBB4_2204
.LBB4_2203:                             ;   in Loop: Header=BB4_1872 Depth=2
	s_mov_b32 s70, s26
	s_branch .LBB4_1872
.LBB4_2204:                             ;   in Loop: Header=BB4_47 Depth=1
	s_waitcnt lgkmcnt(0)
	v_accvgpr_read_b32 v2, a60
	v_accvgpr_read_b32 v3, a61
	v_mul_lo_u32 v0, v3, s86
	v_mul_lo_u32 v1, v2, s87
	v_mad_u64_u32 v[4:5], s[26:27], v2, s86, 0
	v_add3_u32 v5, v5, v1, v0
	v_accvgpr_read_b32 v0, a62
	v_accvgpr_read_b32 v1, a63
	v_sub_co_u32_e32 v0, vcc, v0, v4
	v_subb_co_u32_e32 v1, vcc, v1, v5, vcc
	v_cmp_lt_i64_e32 vcc, v[2:3], v[0:1]
	v_cndmask_b32_e32 v0, v0, v2, vcc
	v_max_i32_e32 v22, 0, v0
	v_add_u32_e32 v1, 31, v22
	v_lshrrev_b32_e32 v1, 1, v1
	v_and_b32_e32 v1, 0x3ffffff0, v1
	v_cmp_lt_i32_e32 vcc, 0, v0
	v_max_i32_e32 v23, s85, v1
	s_and_b64 s[26:27], s[50:51], vcc
	v_mov_b32_e32 v0, 0
	v_mov_b32_e32 v2, 0
	s_and_saveexec_b64 s[28:29], s[26:27]
	s_cbranch_execz .LBB4_2375
; %bb.2205:                             ;   in Loop: Header=BB4_47 Depth=1
	v_accvgpr_read_b32 v0, a8
	v_accvgpr_read_b32 v1, a9
	v_add_co_u32_e32 v0, vcc, v4, v0
	v_addc_co_u32_e32 v1, vcc, v5, v1, vcc
	s_mov_b32 s66, 1
	s_mov_b64 s[34:35], -1
	s_mov_b64 s[30:31], 0
	v_mov_b32_e32 v2, 0
	v_lshlrev_b64 v[16:17], 1, v[0:1]
	s_branch .LBB4_2207
.LBB4_2206:                             ;   in Loop: Header=BB4_2207 Depth=2
	s_or_b64 exec, exec, s[26:27]
	v_add_u32_e32 v2, v23, v2
	v_cmp_ge_i32_e32 vcc, v2, v22
	s_xor_b64 s[26:27], s[34:35], -1
	s_or_b64 s[26:27], s[26:27], vcc
	s_and_b64 s[26:27], exec, s[26:27]
	s_or_b64 s[30:31], s[26:27], s[30:31]
	s_mov_b64 s[34:35], 0
	v_mov_b32_e32 v0, s66
	s_mov_b32 s66, 2
	s_andn2_b64 exec, exec, s[30:31]
	s_cbranch_execz .LBB4_2374
.LBB4_2207:                             ;   Parent Loop BB4_47 Depth=1
                                        ; =>  This Loop Header: Depth=2
                                        ;       Child Loop BB4_2215 Depth 3
                                        ;       Child Loop BB4_2239 Depth 3
	;; [unrolled: 1-line block ×9, first 2 shown]
	s_and_saveexec_b64 s[26:27], s[4:5]
	s_cbranch_execz .LBB4_2209
; %bb.2208:                             ;   in Loop: Header=BB4_2207 Depth=2
	s_trap 2
	ds_read_b128 v[8:11], v0
	v_ashrrev_i32_e32 v3, 31, v2
	v_lshlrev_b64 v[0:1], 1, v[2:3]
	s_waitcnt lgkmcnt(0)
	v_add_co_u32_e32 v4, vcc, v8, v16
	v_addc_co_u32_e32 v5, vcc, v9, v17, vcc
	v_add_co_u32_e32 v4, vcc, v4, v0
	v_addc_co_u32_e32 v5, vcc, v5, v1, vcc
	v_add_co_u32_e32 v3, vcc, v10, v16
	ds_write_b64 v0, v[4:5]
	v_addc_co_u32_e32 v4, vcc, v11, v17, vcc
	v_add_co_u32_e32 v0, vcc, v3, v0
	v_addc_co_u32_e32 v1, vcc, v4, v1, vcc
	v_cmp_ne_u64_e32 vcc, 0, v[10:11]
	v_cndmask_b32_e32 v1, 0, v1, vcc
	v_cndmask_b32_e32 v0, 0, v0, vcc
	ds_write_b64 v0, v[0:1]
.LBB4_2209:                             ;   in Loop: Header=BB4_2207 Depth=2
	s_or_b64 exec, exec, s[26:27]
	v_and_b32_e32 v0, 4, v62
	v_cmp_ne_u32_e32 vcc, 0, v0
	s_mov_b64 s[36:37], -1
	s_and_saveexec_b64 s[26:27], vcc
	s_cbranch_execz .LBB4_2219
; %bb.2210:                             ;   in Loop: Header=BB4_2207 Depth=2
	v_add_co_u32_e32 v4, vcc, 2, v44
	v_addc_co_u32_e32 v5, vcc, 0, v45, vcc
	v_cmp_lt_u64_e32 vcc, v[60:61], v[4:5]
	v_mov_b32_e32 v0, 1
	s_and_saveexec_b64 s[36:37], vcc
	s_cbranch_execz .LBB4_2230
; %bb.2211:                             ;   in Loop: Header=BB4_2207 Depth=2
	s_mov_b64 s[52:53], 0
	v_mov_b32_e32 v0, 0
                                        ; implicit-def: $sgpr54_sgpr55
	s_branch .LBB4_2215
.LBB4_2212:                             ;   in Loop: Header=BB4_2215 Depth=3
	s_or_b64 exec, exec, s[62:63]
	v_mov_b32_e32 v1, 0
	s_orn2_b64 s[60:61], s[60:61], exec
.LBB4_2213:                             ;   in Loop: Header=BB4_2215 Depth=3
	s_or_b64 exec, exec, s[58:59]
	s_andn2_b64 vcc, s[54:55], exec
	s_and_b64 s[54:55], s[60:61], exec
	s_or_b64 s[54:55], vcc, s[54:55]
	v_mov_b32_e32 v0, v1
.LBB4_2214:                             ;   in Loop: Header=BB4_2215 Depth=3
	s_or_b64 exec, exec, s[56:57]
	s_waitcnt vmcnt(0) lgkmcnt(0)
	v_cmp_ge_u64_e32 vcc, v[60:61], v[4:5]
	s_xor_b64 s[56:57], s[54:55], -1
	s_or_b64 vcc, s[56:57], vcc
	s_and_b64 vcc, exec, vcc
	s_or_b64 s[52:53], vcc, s[52:53]
	s_andn2_b64 exec, exec, s[52:53]
	s_cbranch_execz .LBB4_2229
.LBB4_2215:                             ;   Parent Loop BB4_47 Depth=1
                                        ;     Parent Loop BB4_2207 Depth=2
                                        ; =>    This Inner Loop Header: Depth=3
	s_sleep 1
	flat_load_dwordx2 v[60:61], v[46:47] glc
	v_and_b32_e32 v1, 64, v62
	v_cmp_eq_u32_e32 vcc, 0, v1
	s_andn2_b64 s[54:55], s[54:55], exec
	s_and_saveexec_b64 s[56:57], vcc
	s_cbranch_execz .LBB4_2214
; %bb.2216:                             ;   in Loop: Header=BB4_2215 Depth=3
	v_add_u32_e32 v1, 1, v0
	v_cmp_lt_i32_e32 vcc, s89, v0
	s_mov_b64 s[60:61], -1
	s_and_saveexec_b64 s[58:59], vcc
	s_cbranch_execz .LBB4_2213
; %bb.2217:                             ;   in Loop: Header=BB4_2215 Depth=3
	s_trap 2
	ds_read_b64 v[0:1], v0
	s_waitcnt vmcnt(0) lgkmcnt(0)
	flat_load_dword v0, v[0:1] glc
	s_waitcnt vmcnt(0) lgkmcnt(0)
	buffer_invl2
	buffer_wbinvl1_vol
	v_cmp_ne_u32_e32 vcc, 0, v0
	s_and_saveexec_b64 s[62:63], vcc
	s_cbranch_execz .LBB4_2212
; %bb.2218:                             ;   in Loop: Header=BB4_2215 Depth=3
	v_or_b32_e32 v62, 64, v62
	s_xor_b64 s[60:61], exec, -1
	ds_write_b32 v0, v0
	s_trap 2
	s_branch .LBB4_2212
.LBB4_2219:                             ;   in Loop: Header=BB4_2207 Depth=2
	s_or_b64 exec, exec, s[26:27]
	s_xor_b64 s[26:27], s[36:37], -1
	s_and_saveexec_b64 s[36:37], s[26:27]
	s_cbranch_execz .LBB4_2231
.LBB4_2220:                             ;   in Loop: Header=BB4_2207 Depth=2
	v_and_b32_e32 v0, 0x100, v62
	v_cmp_ne_u32_e32 vcc, 0, v0
	v_and_b32_e32 v0, 7, v44
	s_mov_b64 s[26:27], -1
                                        ; implicit-def: $vgpr4_vgpr5
	s_and_saveexec_b64 s[52:53], vcc
	s_cbranch_execz .LBB4_2224
; %bb.2221:                             ;   in Loop: Header=BB4_2207 Depth=2
	v_mad_u64_u32 v[8:9], s[26:27], v0, 24, v[48:49]
	flat_load_dword v1, v[8:9]
                                        ; implicit-def: $vgpr4_vgpr5
	s_waitcnt vmcnt(0) lgkmcnt(0)
	v_cmp_ne_u32_e32 vcc, 1, v1
	v_cmp_eq_u32_e64 s[26:27], 1, v1
	s_and_saveexec_b64 s[54:55], s[26:27]
	s_cbranch_execz .LBB4_2223
; %bb.2222:                             ;   in Loop: Header=BB4_2207 Depth=2
	flat_load_dword v4, v[8:9] offset:4 glc
	s_waitcnt vmcnt(0) lgkmcnt(0)
	v_ashrrev_i32_e32 v5, 31, v4
	v_lshrrev_b64 v[4:5], 1, v[4:5]
.LBB4_2223:                             ;   in Loop: Header=BB4_2207 Depth=2
	s_or_b64 exec, exec, s[54:55]
	s_orn2_b64 s[26:27], vcc, exec
.LBB4_2224:                             ;   in Loop: Header=BB4_2207 Depth=2
	s_or_b64 exec, exec, s[52:53]
	s_and_saveexec_b64 vcc, s[26:27]
; %bb.2225:                             ;   in Loop: Header=BB4_2207 Depth=2
	v_mad_i64_i32 v[4:5], s[26:27], v0, v38, 0
; %bb.2226:                             ;   in Loop: Header=BB4_2207 Depth=2
	s_or_b64 exec, exec, vcc
	v_lshlrev_b64 v[0:1], 1, v[4:5]
	v_add_co_u32_e32 v0, vcc, v52, v0
	v_addc_co_u32_e32 v1, vcc, v53, v1, vcc
	ds_write_b64 v0, v[0:1] offset:720
	v_and_b32_e32 v0, 0x2000, v62
	v_cmp_ne_u32_e32 vcc, 0, v0
	s_and_saveexec_b64 s[26:27], vcc
	s_cbranch_execz .LBB4_2228
; %bb.2227:                             ;   in Loop: Header=BB4_2207 Depth=2
	ds_read_b64 v[0:1], v0 offset:584
	s_waitcnt lgkmcnt(0)
	v_add_co_u32_e32 v0, vcc, 1, v0
	v_addc_co_u32_e32 v1, vcc, 0, v1, vcc
	ds_write_b64 v0, v[0:1] offset:584
.LBB4_2228:                             ;   in Loop: Header=BB4_2207 Depth=2
	s_or_b64 exec, exec, s[26:27]
	v_add_co_u32_e32 v44, vcc, 2, v44
	v_addc_co_u32_e32 v45, vcc, 0, v45, vcc
	s_or_b64 exec, exec, s[36:37]
	s_and_saveexec_b64 s[26:27], s[10:11]
	s_cbranch_execz .LBB4_2250
	s_branch .LBB4_2232
.LBB4_2229:                             ;   in Loop: Header=BB4_2207 Depth=2
	s_or_b64 exec, exec, s[52:53]
	v_and_b32_e32 v0, 4, v62
.LBB4_2230:                             ;   in Loop: Header=BB4_2207 Depth=2
	s_or_b64 exec, exec, s[36:37]
	v_cmp_eq_u32_e32 vcc, 0, v0
	s_orn2_b64 s[36:37], vcc, exec
	;;#ASMSTART
	s_wakeup
	;;#ASMEND
	s_or_b64 exec, exec, s[26:27]
	s_xor_b64 s[26:27], s[36:37], -1
	s_and_saveexec_b64 s[36:37], s[26:27]
	s_cbranch_execnz .LBB4_2220
.LBB4_2231:                             ;   in Loop: Header=BB4_2207 Depth=2
	s_or_b64 exec, exec, s[36:37]
	s_and_saveexec_b64 s[26:27], s[10:11]
	s_cbranch_execz .LBB4_2250
.LBB4_2232:                             ;   in Loop: Header=BB4_2207 Depth=2
	s_and_saveexec_b64 vcc, s[44:45]
	s_xor_b64 s[36:37], exec, vcc
	s_cbranch_execz .LBB4_2247
; %bb.2233:                             ;   in Loop: Header=BB4_2207 Depth=2
	s_and_saveexec_b64 s[52:53], s[16:17]
	s_cbranch_execz .LBB4_2246
; %bb.2234:                             ;   in Loop: Header=BB4_2207 Depth=2
	s_mov_b64 s[56:57], exec
	v_mbcnt_lo_u32_b32 v0, s56, 0
	v_mbcnt_hi_u32_b32 v0, s57, v0
	v_cmp_eq_u32_e32 vcc, 0, v0
	s_waitcnt vmcnt(0) lgkmcnt(0)
	buffer_wbinvl1_vol
	s_and_saveexec_b64 s[54:55], vcc
	s_cbranch_execz .LBB4_2236
; %bb.2235:                             ;   in Loop: Header=BB4_2207 Depth=2
	s_bcnt1_i32_b64 vcc_lo, s[56:57]
	v_mov_b32_e32 v0, vcc_lo
	v_mov_b32_e32 v1, v42
	ds_add_u64 v0, v[0:1]
	s_trap 2
.LBB4_2236:                             ;   in Loop: Header=BB4_2207 Depth=2
	s_or_b64 exec, exec, s[54:55]
	s_trap 2
	ds_read_b64 v[0:1], v0
	v_add_co_u32_e32 v40, vcc, v40, v28
	v_addc_co_u32_e32 v41, vcc, 0, v41, vcc
	s_waitcnt lgkmcnt(0)
	v_cmp_lt_u64_e32 vcc, v[0:1], v[40:41]
	s_and_saveexec_b64 s[54:55], vcc
	s_cbranch_execz .LBB4_2245
; %bb.2237:                             ;   in Loop: Header=BB4_2207 Depth=2
	s_mov_b32 s67, 0
	s_mov_b64 s[56:57], 0
                                        ; implicit-def: $sgpr58_sgpr59
                                        ; implicit-def: $sgpr60_sgpr61
	s_branch .LBB4_2239
.LBB4_2238:                             ;   in Loop: Header=BB4_2239 Depth=3
	s_or_b64 exec, exec, s[64:65]
	s_and_b64 vcc, exec, vcc
	s_or_b64 s[56:57], vcc, s[56:57]
	s_andn2_b64 vcc, s[58:59], exec
	s_and_b64 s[58:59], s[60:61], exec
	s_or_b64 s[58:59], vcc, s[58:59]
	s_andn2_b64 exec, exec, s[56:57]
	s_cbranch_execz .LBB4_2243
.LBB4_2239:                             ;   Parent Loop BB4_47 Depth=1
                                        ;     Parent Loop BB4_2207 Depth=2
                                        ; =>    This Inner Loop Header: Depth=3
	s_add_i32 s67, s67, 1
	s_cmpk_lg_i32 s67, 0x2710
	s_cselect_b64 s[62:63], -1, 0
	s_and_b64 vcc, exec, s[62:63]
                                        ; implicit-def: $sgpr64_sgpr65
	s_cbranch_vccnz .LBB4_2241
; %bb.2240:                             ;   in Loop: Header=BB4_2239 Depth=3
	s_trap 2
	ds_read_b64 v[0:1], v0
	s_andn2_b64 s[62:63], s[62:63], exec
	s_mov_b32 s67, 0
	s_mov_b64 s[64:65], -1
	s_waitcnt lgkmcnt(0)
	flat_load_dword v0, v[0:1] glc
	s_waitcnt vmcnt(0) lgkmcnt(0)
	buffer_invl2
	buffer_wbinvl1_vol
	v_cmp_eq_u32_e32 vcc, 0, v0
	s_and_b64 vcc, vcc, exec
	s_or_b64 s[62:63], s[62:63], vcc
.LBB4_2241:                             ;   in Loop: Header=BB4_2239 Depth=3
	s_andn2_b64 s[60:61], s[60:61], exec
	s_and_b64 s[64:65], s[64:65], exec
	s_mov_b64 vcc, -1
	s_or_b64 s[60:61], s[60:61], s[64:65]
	s_and_saveexec_b64 s[64:65], s[62:63]
	s_cbranch_execz .LBB4_2238
; %bb.2242:                             ;   in Loop: Header=BB4_2239 Depth=3
	s_sleep 1
	s_trap 2
	ds_read_b64 v[0:1], v0
	s_andn2_b64 s[60:61], s[60:61], exec
	s_waitcnt lgkmcnt(0)
	v_cmp_ge_u64_e32 vcc, v[0:1], v[40:41]
	s_orn2_b64 vcc, vcc, exec
	s_branch .LBB4_2238
.LBB4_2243:                             ;   in Loop: Header=BB4_2207 Depth=2
	s_or_b64 exec, exec, s[56:57]
	s_and_saveexec_b64 vcc, s[58:59]
	s_xor_b64 vcc, exec, vcc
	s_cbranch_execz .LBB4_2245
; %bb.2244:                             ;   in Loop: Header=BB4_2207 Depth=2
	v_mov_b32_e32 v0, 1
	ds_write_b32 v0, v0
	s_trap 2
.LBB4_2245:                             ;   in Loop: Header=BB4_2207 Depth=2
	s_or_b64 exec, exec, s[54:55]
	;;#ASMSTART
	s_wakeup
	;;#ASMEND
.LBB4_2246:                             ;   in Loop: Header=BB4_2207 Depth=2
	s_or_b64 exec, exec, s[52:53]
.LBB4_2247:                             ;   in Loop: Header=BB4_2207 Depth=2
	s_andn2_saveexec_b64 vcc, s[36:37]
	s_cbranch_execz .LBB4_2249
; %bb.2248:                             ;   in Loop: Header=BB4_2207 Depth=2
	s_waitcnt vmcnt(0) lgkmcnt(0)
	buffer_wbinvl1_vol
	s_barrier
.LBB4_2249:                             ;   in Loop: Header=BB4_2207 Depth=2
	s_or_b64 exec, exec, vcc
.LBB4_2250:                             ;   in Loop: Header=BB4_2207 Depth=2
	s_or_b64 exec, exec, s[26:27]
	s_trap 2
	ds_read_b32 v0, v0
	v_and_b32_e32 v1, 0x4000, v62
	v_cmp_ne_u32_e32 vcc, 0, v1
	s_xor_b64 s[26:27], s[6:7], -1
	s_and_b64 vcc, s[26:27], vcc
	s_and_saveexec_b64 s[26:27], vcc
	s_cbranch_execz .LBB4_2269
; %bb.2251:                             ;   in Loop: Header=BB4_2207 Depth=2
	s_and_saveexec_b64 vcc, s[44:45]
	s_xor_b64 s[36:37], exec, vcc
	s_cbranch_execz .LBB4_2266
; %bb.2252:                             ;   in Loop: Header=BB4_2207 Depth=2
	s_and_saveexec_b64 s[52:53], s[16:17]
	s_cbranch_execz .LBB4_2265
; %bb.2253:                             ;   in Loop: Header=BB4_2207 Depth=2
	s_mov_b64 s[56:57], exec
	v_mbcnt_lo_u32_b32 v1, s56, 0
	v_mbcnt_hi_u32_b32 v1, s57, v1
	v_cmp_eq_u32_e32 vcc, 0, v1
	s_waitcnt vmcnt(0) lgkmcnt(0)
	buffer_wbinvl1_vol
	s_and_saveexec_b64 s[54:55], vcc
	s_cbranch_execz .LBB4_2255
; %bb.2254:                             ;   in Loop: Header=BB4_2207 Depth=2
	s_bcnt1_i32_b64 vcc_lo, s[56:57]
	v_mov_b32_e32 v4, vcc_lo
	v_mov_b32_e32 v5, v42
	ds_add_u64 v0, v[4:5]
	s_trap 2
.LBB4_2255:                             ;   in Loop: Header=BB4_2207 Depth=2
	s_or_b64 exec, exec, s[54:55]
	s_trap 2
	ds_read_b64 v[4:5], v0
	v_add_co_u32_e32 v40, vcc, v40, v28
	v_addc_co_u32_e32 v41, vcc, 0, v41, vcc
	s_waitcnt lgkmcnt(0)
	v_cmp_lt_u64_e32 vcc, v[4:5], v[40:41]
	s_and_saveexec_b64 s[54:55], vcc
	s_cbranch_execz .LBB4_2264
; %bb.2256:                             ;   in Loop: Header=BB4_2207 Depth=2
	s_mov_b32 s67, 0
	s_mov_b64 s[56:57], 0
                                        ; implicit-def: $sgpr58_sgpr59
                                        ; implicit-def: $sgpr60_sgpr61
	s_branch .LBB4_2258
.LBB4_2257:                             ;   in Loop: Header=BB4_2258 Depth=3
	s_or_b64 exec, exec, s[64:65]
	s_and_b64 vcc, exec, vcc
	s_or_b64 s[56:57], vcc, s[56:57]
	s_andn2_b64 vcc, s[58:59], exec
	s_and_b64 s[58:59], s[60:61], exec
	s_or_b64 s[58:59], vcc, s[58:59]
	s_andn2_b64 exec, exec, s[56:57]
	s_cbranch_execz .LBB4_2262
.LBB4_2258:                             ;   Parent Loop BB4_47 Depth=1
                                        ;     Parent Loop BB4_2207 Depth=2
                                        ; =>    This Inner Loop Header: Depth=3
	s_add_i32 s67, s67, 1
	s_cmpk_lg_i32 s67, 0x2710
	s_cselect_b64 s[62:63], -1, 0
	s_and_b64 vcc, exec, s[62:63]
                                        ; implicit-def: $sgpr64_sgpr65
	s_cbranch_vccnz .LBB4_2260
; %bb.2259:                             ;   in Loop: Header=BB4_2258 Depth=3
	s_trap 2
	ds_read_b64 v[4:5], v0
	s_andn2_b64 s[62:63], s[62:63], exec
	s_mov_b32 s67, 0
	s_mov_b64 s[64:65], -1
	s_waitcnt lgkmcnt(0)
	flat_load_dword v1, v[4:5] glc
	s_waitcnt vmcnt(0) lgkmcnt(0)
	buffer_invl2
	buffer_wbinvl1_vol
	v_cmp_eq_u32_e32 vcc, 0, v1
	s_and_b64 vcc, vcc, exec
	s_or_b64 s[62:63], s[62:63], vcc
.LBB4_2260:                             ;   in Loop: Header=BB4_2258 Depth=3
	s_andn2_b64 s[60:61], s[60:61], exec
	s_and_b64 s[64:65], s[64:65], exec
	s_mov_b64 vcc, -1
	s_or_b64 s[60:61], s[60:61], s[64:65]
	s_and_saveexec_b64 s[64:65], s[62:63]
	s_cbranch_execz .LBB4_2257
; %bb.2261:                             ;   in Loop: Header=BB4_2258 Depth=3
	s_sleep 1
	s_trap 2
	ds_read_b64 v[4:5], v0
	s_andn2_b64 s[60:61], s[60:61], exec
	s_waitcnt lgkmcnt(0)
	v_cmp_ge_u64_e32 vcc, v[4:5], v[40:41]
	s_orn2_b64 vcc, vcc, exec
	s_branch .LBB4_2257
.LBB4_2262:                             ;   in Loop: Header=BB4_2207 Depth=2
	s_or_b64 exec, exec, s[56:57]
	s_and_saveexec_b64 vcc, s[58:59]
	s_xor_b64 vcc, exec, vcc
	s_cbranch_execz .LBB4_2264
; %bb.2263:                             ;   in Loop: Header=BB4_2207 Depth=2
	v_mov_b32_e32 v1, 1
	ds_write_b32 v0, v1
	s_trap 2
.LBB4_2264:                             ;   in Loop: Header=BB4_2207 Depth=2
	s_or_b64 exec, exec, s[54:55]
	;;#ASMSTART
	s_wakeup
	;;#ASMEND
.LBB4_2265:                             ;   in Loop: Header=BB4_2207 Depth=2
	s_or_b64 exec, exec, s[52:53]
.LBB4_2266:                             ;   in Loop: Header=BB4_2207 Depth=2
	s_andn2_saveexec_b64 vcc, s[36:37]
	s_cbranch_execz .LBB4_2268
; %bb.2267:                             ;   in Loop: Header=BB4_2207 Depth=2
	s_waitcnt vmcnt(0) lgkmcnt(0)
	buffer_wbinvl1_vol
	s_barrier
.LBB4_2268:                             ;   in Loop: Header=BB4_2207 Depth=2
	s_or_b64 exec, exec, vcc
.LBB4_2269:                             ;   in Loop: Header=BB4_2207 Depth=2
	s_or_b64 exec, exec, s[26:27]
	s_trap 2
	s_waitcnt lgkmcnt(0)
	ds_read_b64 v[4:5], v0
	v_sub_u32_e32 v1, v22, v2
	v_min_i32_e32 v23, v23, v1
	v_mov_b32_e32 v24, 0
	s_waitcnt lgkmcnt(0)
	v_readfirstlane_b32 s26, v4
	v_readfirstlane_b32 s27, v5
	s_cmp_eq_u64 s[26:27], 0
	s_cselect_b64 s[26:27], -1, 0
	s_or_b64 s[26:27], s[26:27], s[26:27]
	s_and_b64 vcc, exec, s[26:27]
	s_cbranch_vccnz .LBB4_2285
; %bb.2270:                             ;   in Loop: Header=BB4_2207 Depth=2
	s_mov_b64 s[26:27], -1
	s_and_saveexec_b64 s[36:37], s[20:21]
	s_cbranch_execz .LBB4_2272
; %bb.2271:                             ;   in Loop: Header=BB4_2207 Depth=2
	ds_read_b32 v1, v0 offset:720
	s_waitcnt lgkmcnt(0)
	v_and_b32_e32 v1, 15, v1
	v_cmp_eq_u32_e32 vcc, 0, v1
	s_orn2_b64 s[26:27], vcc, exec
.LBB4_2272:                             ;   in Loop: Header=BB4_2207 Depth=2
	s_or_b64 exec, exec, s[36:37]
	s_and_saveexec_b64 s[36:37], s[18:19]
	s_cbranch_execz .LBB4_2274
; %bb.2273:                             ;   in Loop: Header=BB4_2207 Depth=2
	ds_read_b32 v1, v0 offset:784
	s_waitcnt lgkmcnt(0)
	v_and_b32_e32 v1, 15, v1
	v_cmp_eq_u32_e32 vcc, 0, v1
	s_and_b64 vcc, s[26:27], vcc
	s_andn2_b64 s[26:27], s[26:27], exec
	s_and_b64 vcc, vcc, exec
	s_or_b64 s[26:27], s[26:27], vcc
.LBB4_2274:                             ;   in Loop: Header=BB4_2207 Depth=2
	s_or_b64 exec, exec, s[36:37]
	s_xor_b64 s[26:27], s[26:27], -1
	v_cmp_eq_u32_e32 vcc, 0, v0
	v_cndmask_b32_e64 v0, 0, 1, s[26:27]
	;;#ASMSTART
	;;#ASMEND
	s_trap 2
	ds_read_b64 v[18:19], v0
	v_cndmask_b32_e32 v24, 0, v23, vcc
	v_lshlrev_b32_e32 v25, 1, v24
	s_mov_b64 s[26:27], -1
	v_cmp_ne_u32_e32 vcc, 0, v0
	s_cbranch_vccz .LBB4_2297
; %bb.2275:                             ;   in Loop: Header=BB4_2207 Depth=2
	s_mov_b64 s[36:37], -1
	s_mov_b32 s52, 0
	s_cbranch_execnz .LBB4_2298
.LBB4_2276:                             ;   in Loop: Header=BB4_2207 Depth=2
	v_ashrrev_i32_e32 v0, 31, v25
	v_lshrrev_b32_e32 v0, 22, v0
	v_add_u32_e32 v0, v25, v0
	v_ashrrev_i32_e32 v1, 10, v0
	v_and_b32_e32 v0, 0xfffffc00, v0
	v_sub_u32_e32 v26, v25, v0
	v_cmp_lt_i32_e64 s[26:27], 15, v26
	v_accvgpr_read_b32 v3, a36
	v_addc_co_u32_e64 v3, vcc, v1, v3, s[26:27]
	s_waitcnt lgkmcnt(0)
	v_add_co_u32_e32 v4, vcc, v18, v50
	v_accvgpr_read_b32 v1, a55
	v_sub_u32_e32 v6, v25, v50
	v_addc_co_u32_e32 v5, vcc, v19, v1, vcc
	v_cmp_lt_i32_e32 vcc, 15, v6
	s_mov_b64 s[54:55], 0
                                        ; implicit-def: $vgpr8_vgpr9
	s_and_saveexec_b64 s[52:53], vcc
	s_cbranch_execz .LBB4_2300
; %bb.2277:                             ;   in Loop: Header=BB4_2207 Depth=2
	s_trap 2
	ds_read_b64 v[8:9], v0
	v_accvgpr_read_b32 v1, a55
	s_mov_b64 s[58:59], 0
                                        ; implicit-def: $sgpr56_sgpr57
	s_waitcnt lgkmcnt(0)
	v_add_co_u32_e32 v20, vcc, v8, v50
	v_addc_co_u32_e32 v21, vcc, v9, v1, vcc
                                        ; implicit-def: $vgpr8_vgpr9
	s_branch .LBB4_2279
.LBB4_2278:                             ;   in Loop: Header=BB4_2279 Depth=3
	s_or_b64 exec, exec, s[60:61]
	v_cmp_gt_i32_e32 vcc, 16, v6
	s_or_b64 s[54:55], vcc, s[54:55]
	s_andn2_b64 vcc, s[56:57], exec
	s_and_b64 s[56:57], s[58:59], exec
	s_or_b64 s[56:57], vcc, s[56:57]
	s_andn2_b64 exec, exec, s[54:55]
	s_cbranch_execz .LBB4_2299
.LBB4_2279:                             ;   Parent Loop BB4_47 Depth=1
                                        ;     Parent Loop BB4_2207 Depth=2
                                        ; =>    This Inner Loop Header: Depth=3
	global_load_dwordx4 v[12:15], v[20:21], off glc slc
	s_and_saveexec_b64 s[60:61], s[58:59]
	s_cbranch_execz .LBB4_2281
; %bb.2280:                             ;   in Loop: Header=BB4_2279 Depth=3
	v_accvgpr_read_b32 v1, a37
	v_add_co_u32_e32 v30, vcc, v4, v1
	v_accvgpr_read_b32 v1, a38
	v_addc_co_u32_e32 v31, vcc, v5, v1, vcc
	global_store_dwordx4 v[4:5], v[8:11], off glc slc
	v_pk_mov_b32 v[4:5], v[30:31], v[30:31] op_sel:[0,1]
.LBB4_2281:                             ;   in Loop: Header=BB4_2279 Depth=3
	s_or_b64 exec, exec, s[60:61]
	v_accvgpr_read_b32 v1, a37
	v_add_co_u32_e32 v20, vcc, v20, v1
	v_accvgpr_read_b32 v1, a38
	v_sub_u32_e32 v6, v6, v39
	v_addc_co_u32_e32 v21, vcc, v21, v1, vcc
	v_cmp_lt_i32_e64 s[58:59], 15, v6
	s_and_saveexec_b64 s[60:61], s[58:59]
	s_cbranch_execz .LBB4_2283
; %bb.2282:                             ;   in Loop: Header=BB4_2279 Depth=3
	global_load_dwordx4 v[8:11], v[20:21], off glc slc
	v_add_co_u32_e32 v20, vcc, 0x400, v20
	v_addc_co_u32_e32 v21, vcc, 0, v21, vcc
.LBB4_2283:                             ;   in Loop: Header=BB4_2279 Depth=3
	s_or_b64 exec, exec, s[60:61]
	s_waitcnt vmcnt(0)
	global_store_dwordx4 v[4:5], v[12:15], off glc slc
	v_add_co_u32_e32 v4, vcc, 0x400, v4
	v_sub_u32_e32 v3, v3, v28
	v_addc_co_u32_e32 v5, vcc, 0, v5, vcc
	s_and_saveexec_b64 s[60:61], s[58:59]
	s_cbranch_execz .LBB4_2278
; %bb.2284:                             ;   in Loop: Header=BB4_2279 Depth=3
	v_accvgpr_read_b32 v12, a28
	v_add_co_u32_e32 v4, vcc, v4, v12
	v_accvgpr_read_b32 v1, a33
	v_addc_co_u32_e32 v5, vcc, v5, v1, vcc
	v_add_co_u32_e32 v20, vcc, v20, v12
	v_addc_co_u32_e32 v21, vcc, v21, v1, vcc
	v_sub_u32_e32 v6, v6, v39
	v_sub_u32_e32 v3, v3, v28
	s_branch .LBB4_2278
.LBB4_2285:                             ;   in Loop: Header=BB4_2207 Depth=2
	s_and_saveexec_b64 s[26:27], s[10:11]
	s_cbranch_execz .LBB4_2350
.LBB4_2286:                             ;   in Loop: Header=BB4_2207 Depth=2
	s_and_saveexec_b64 vcc, s[44:45]
	s_xor_b64 s[36:37], exec, vcc
	s_cbranch_execz .LBB4_2316
; %bb.2287:                             ;   in Loop: Header=BB4_2207 Depth=2
	s_and_saveexec_b64 s[52:53], s[16:17]
	s_cbranch_execz .LBB4_2315
; %bb.2288:                             ;   in Loop: Header=BB4_2207 Depth=2
	s_mov_b64 s[56:57], exec
	v_mbcnt_lo_u32_b32 v0, s56, 0
	v_mbcnt_hi_u32_b32 v0, s57, v0
	v_cmp_eq_u32_e32 vcc, 0, v0
	s_waitcnt vmcnt(0) lgkmcnt(0)
	buffer_wbinvl1_vol
	s_and_saveexec_b64 s[54:55], vcc
	s_cbranch_execz .LBB4_2290
; %bb.2289:                             ;   in Loop: Header=BB4_2207 Depth=2
	s_bcnt1_i32_b64 vcc_lo, s[56:57]
	v_mov_b32_e32 v0, vcc_lo
	v_mov_b32_e32 v1, v42
	ds_add_u64 v0, v[0:1]
	s_trap 2
.LBB4_2290:                             ;   in Loop: Header=BB4_2207 Depth=2
	s_or_b64 exec, exec, s[54:55]
	s_trap 2
	ds_read_b64 v[0:1], v0
	v_add_co_u32_e32 v40, vcc, v40, v28
	v_addc_co_u32_e32 v41, vcc, 0, v41, vcc
	s_waitcnt lgkmcnt(0)
	v_cmp_lt_u64_e32 vcc, v[0:1], v[40:41]
	s_and_saveexec_b64 s[54:55], vcc
	s_cbranch_execz .LBB4_2314
; %bb.2291:                             ;   in Loop: Header=BB4_2207 Depth=2
	s_mov_b32 s67, 0
	s_mov_b64 s[56:57], 0
                                        ; implicit-def: $sgpr58_sgpr59
                                        ; implicit-def: $sgpr60_sgpr61
	s_branch .LBB4_2293
.LBB4_2292:                             ;   in Loop: Header=BB4_2293 Depth=3
	s_or_b64 exec, exec, s[64:65]
	s_and_b64 vcc, exec, vcc
	s_or_b64 s[56:57], vcc, s[56:57]
	s_andn2_b64 vcc, s[58:59], exec
	s_and_b64 s[58:59], s[60:61], exec
	s_or_b64 s[58:59], vcc, s[58:59]
	s_andn2_b64 exec, exec, s[56:57]
	s_cbranch_execz .LBB4_2312
.LBB4_2293:                             ;   Parent Loop BB4_47 Depth=1
                                        ;     Parent Loop BB4_2207 Depth=2
                                        ; =>    This Inner Loop Header: Depth=3
	s_add_i32 s67, s67, 1
	s_cmpk_lg_i32 s67, 0x2710
	s_cselect_b64 s[62:63], -1, 0
	s_and_b64 vcc, exec, s[62:63]
                                        ; implicit-def: $sgpr64_sgpr65
	s_cbranch_vccnz .LBB4_2295
; %bb.2294:                             ;   in Loop: Header=BB4_2293 Depth=3
	s_trap 2
	ds_read_b64 v[0:1], v0
	s_andn2_b64 s[62:63], s[62:63], exec
	s_mov_b32 s67, 0
	s_mov_b64 s[64:65], -1
	s_waitcnt lgkmcnt(0)
	flat_load_dword v0, v[0:1] glc
	s_waitcnt vmcnt(0) lgkmcnt(0)
	buffer_invl2
	buffer_wbinvl1_vol
	v_cmp_eq_u32_e32 vcc, 0, v0
	s_and_b64 vcc, vcc, exec
	s_or_b64 s[62:63], s[62:63], vcc
.LBB4_2295:                             ;   in Loop: Header=BB4_2293 Depth=3
	s_andn2_b64 s[60:61], s[60:61], exec
	s_and_b64 s[64:65], s[64:65], exec
	s_mov_b64 vcc, -1
	s_or_b64 s[60:61], s[60:61], s[64:65]
	s_and_saveexec_b64 s[64:65], s[62:63]
	s_cbranch_execz .LBB4_2292
; %bb.2296:                             ;   in Loop: Header=BB4_2293 Depth=3
	s_sleep 1
	s_trap 2
	ds_read_b64 v[0:1], v0
	s_andn2_b64 s[60:61], s[60:61], exec
	s_waitcnt lgkmcnt(0)
	v_cmp_ge_u64_e32 vcc, v[0:1], v[40:41]
	s_orn2_b64 vcc, vcc, exec
	s_branch .LBB4_2292
.LBB4_2297:                             ;   in Loop: Header=BB4_2207 Depth=2
	s_mov_b64 s[36:37], 0
                                        ; implicit-def: $sgpr52
	s_andn2_b64 vcc, exec, s[26:27]
	s_cbranch_vccz .LBB4_2276
.LBB4_2298:                             ;   in Loop: Header=BB4_2207 Depth=2
	v_mov_b32_e32 v6, s52
	v_accvgpr_read_b32 v12, a35
	v_accvgpr_read_b32 v1, a29
	s_and_saveexec_b64 s[26:27], s[36:37]
	s_cbranch_execnz .LBB4_2327
	s_branch .LBB4_2349
.LBB4_2299:                             ;   in Loop: Header=BB4_2207 Depth=2
	s_or_b64 exec, exec, s[54:55]
	s_and_b64 s[54:55], s[56:57], exec
.LBB4_2300:                             ;   in Loop: Header=BB4_2207 Depth=2
	s_or_b64 exec, exec, s[52:53]
	s_and_saveexec_b64 vcc, s[54:55]
	s_cbranch_execz .LBB4_2302
; %bb.2301:                             ;   in Loop: Header=BB4_2207 Depth=2
	global_store_dwordx4 v[4:5], v[8:11], off glc slc
.LBB4_2302:                             ;   in Loop: Header=BB4_2207 Depth=2
	s_or_b64 exec, exec, vcc
	v_and_b32_e32 v4, 14, v25
	v_cndmask_b32_e64 v27, v26, v4, s[26:27]
	v_cmp_ne_u32_e32 vcc, 0, v27
                                        ; implicit-def: $vgpr25
                                        ; implicit-def: $vgpr6
                                        ; implicit-def: $vgpr12
                                        ; implicit-def: $vgpr1
	s_and_saveexec_b64 s[52:53], vcc
	s_cbranch_execz .LBB4_2326
; %bb.2303:                             ;   in Loop: Header=BB4_2207 Depth=2
	v_sub_u32_e32 v1, v26, v4
	v_cndmask_b32_e64 v1, 0, v1, s[26:27]
	v_cmp_lt_i32_e32 vcc, 0, v3
	v_add_u32_e32 v26, v1, v0
	v_cndmask_b32_e32 v0, 0, v28, vcc
	v_sub_u32_e32 v0, v0, v3
	v_accvgpr_read_b32 v1, a35
	v_lshl_add_u32 v0, v0, 6, v1
	v_ashrrev_i32_e32 v1, 31, v0
	v_lshrrev_b32_e32 v1, 26, v1
	v_add_u32_e32 v1, v0, v1
	v_ashrrev_i32_e32 v3, 6, v1
	v_and_b32_e32 v1, 0xffffffc0, v1
	v_sub_u32_e32 v29, v0, v1
	v_lshlrev_b32_e32 v0, 4, v29
	v_lshl_add_u32 v1, v3, 10, v0
	v_add_u32_e32 v0, v1, v26
	v_sub_u32_e32 v6, v27, v1
	v_ashrrev_i32_e32 v1, 31, v27
	v_lshrrev_b32_e32 v1, 22, v1
	v_add_u32_e32 v1, v27, v1
	v_and_b32_e32 v30, 0xfffffc00, v1
	v_sub_u32_e32 v32, v27, v30
	v_ashrrev_i32_e32 v4, 10, v1
	v_cmp_lt_i32_e64 s[26:27], 15, v32
	v_addc_co_u32_e64 v1, vcc, 0, v4, s[26:27]
	v_sub_u32_e32 v31, v1, v3
	v_ashrrev_i32_e32 v3, 31, v0
	v_add_co_u32_e32 v4, vcc, v0, v18
	v_addc_co_u32_e32 v5, vcc, v3, v19, vcc
	v_cmp_lt_i32_e32 vcc, 15, v6
	s_mov_b64 s[56:57], 0
                                        ; implicit-def: $vgpr8_vgpr9
	s_and_saveexec_b64 s[54:55], vcc
	s_cbranch_execz .LBB4_2321
; %bb.2304:                             ;   in Loop: Header=BB4_2207 Depth=2
	s_trap 2
	ds_read_b64 v[8:9], v0
	s_mov_b64 s[60:61], 0
                                        ; implicit-def: $sgpr58_sgpr59
	s_waitcnt lgkmcnt(0)
	v_add_co_u32_e32 v20, vcc, v8, v0
	v_addc_co_u32_e32 v21, vcc, v9, v3, vcc
                                        ; implicit-def: $vgpr8_vgpr9
	s_branch .LBB4_2306
.LBB4_2305:                             ;   in Loop: Header=BB4_2306 Depth=3
	s_or_b64 exec, exec, s[62:63]
	v_cmp_gt_i32_e32 vcc, 16, v6
	s_or_b64 s[56:57], vcc, s[56:57]
	s_andn2_b64 vcc, s[58:59], exec
	s_and_b64 s[58:59], s[60:61], exec
	s_or_b64 s[58:59], vcc, s[58:59]
	s_andn2_b64 exec, exec, s[56:57]
	s_cbranch_execz .LBB4_2320
.LBB4_2306:                             ;   Parent Loop BB4_47 Depth=1
                                        ;     Parent Loop BB4_2207 Depth=2
                                        ; =>    This Inner Loop Header: Depth=3
	global_load_dwordx4 v[12:15], v[20:21], off glc slc
	s_and_saveexec_b64 s[62:63], s[60:61]
	s_cbranch_execz .LBB4_2308
; %bb.2307:                             ;   in Loop: Header=BB4_2306 Depth=3
	v_accvgpr_read_b32 v0, a37
	v_add_co_u32_e32 v0, vcc, v4, v0
	v_accvgpr_read_b32 v1, a38
	v_addc_co_u32_e32 v1, vcc, v5, v1, vcc
	global_store_dwordx4 v[4:5], v[8:11], off glc slc
	v_pk_mov_b32 v[4:5], v[0:1], v[0:1] op_sel:[0,1]
.LBB4_2308:                             ;   in Loop: Header=BB4_2306 Depth=3
	s_or_b64 exec, exec, s[62:63]
	v_accvgpr_read_b32 v0, a37
	v_add_co_u32_e32 v20, vcc, v20, v0
	v_accvgpr_read_b32 v0, a38
	v_sub_u32_e32 v6, v6, v39
	v_addc_co_u32_e32 v21, vcc, v21, v0, vcc
	v_cmp_lt_i32_e64 s[60:61], 15, v6
	s_and_saveexec_b64 s[62:63], s[60:61]
	s_cbranch_execz .LBB4_2310
; %bb.2309:                             ;   in Loop: Header=BB4_2306 Depth=3
	global_load_dwordx4 v[8:11], v[20:21], off glc slc
	v_add_co_u32_e32 v20, vcc, 0x400, v20
	v_addc_co_u32_e32 v21, vcc, 0, v21, vcc
.LBB4_2310:                             ;   in Loop: Header=BB4_2306 Depth=3
	s_or_b64 exec, exec, s[62:63]
	s_waitcnt vmcnt(0)
	global_store_dwordx4 v[4:5], v[12:15], off glc slc
	v_add_co_u32_e32 v4, vcc, 0x400, v4
	v_sub_u32_e32 v31, v31, v28
	v_addc_co_u32_e32 v5, vcc, 0, v5, vcc
	s_and_saveexec_b64 s[62:63], s[60:61]
	s_cbranch_execz .LBB4_2305
; %bb.2311:                             ;   in Loop: Header=BB4_2306 Depth=3
	v_accvgpr_read_b32 v0, a28
	v_add_co_u32_e32 v4, vcc, v4, v0
	v_accvgpr_read_b32 v1, a33
	v_addc_co_u32_e32 v5, vcc, v5, v1, vcc
	v_add_co_u32_e32 v20, vcc, v20, v0
	v_addc_co_u32_e32 v21, vcc, v21, v1, vcc
	v_sub_u32_e32 v6, v6, v39
	v_sub_u32_e32 v31, v31, v28
	s_branch .LBB4_2305
.LBB4_2312:                             ;   in Loop: Header=BB4_2207 Depth=2
	s_or_b64 exec, exec, s[56:57]
	s_and_saveexec_b64 vcc, s[58:59]
	s_xor_b64 vcc, exec, vcc
	s_cbranch_execz .LBB4_2314
; %bb.2313:                             ;   in Loop: Header=BB4_2207 Depth=2
	v_mov_b32_e32 v0, 1
	ds_write_b32 v0, v0
	s_trap 2
.LBB4_2314:                             ;   in Loop: Header=BB4_2207 Depth=2
	s_or_b64 exec, exec, s[54:55]
	;;#ASMSTART
	s_wakeup
	;;#ASMEND
.LBB4_2315:                             ;   in Loop: Header=BB4_2207 Depth=2
	s_or_b64 exec, exec, s[52:53]
.LBB4_2316:                             ;   in Loop: Header=BB4_2207 Depth=2
	s_andn2_saveexec_b64 vcc, s[36:37]
	s_cbranch_execz .LBB4_2318
; %bb.2317:                             ;   in Loop: Header=BB4_2207 Depth=2
	s_waitcnt vmcnt(0) lgkmcnt(0)
	buffer_wbinvl1_vol
	s_barrier
.LBB4_2318:                             ;   in Loop: Header=BB4_2207 Depth=2
	s_or_b64 exec, exec, vcc
	s_or_b64 exec, exec, s[26:27]
	s_and_saveexec_b64 s[26:27], s[24:25]
	s_xor_b64 s[36:37], exec, s[26:27]
	s_cbranch_execnz .LBB4_2351
.LBB4_2319:                             ;   in Loop: Header=BB4_2207 Depth=2
	s_andn2_saveexec_b64 s[26:27], s[36:37]
	s_cbranch_execnz .LBB4_2354
	s_branch .LBB4_2372
.LBB4_2320:                             ;   in Loop: Header=BB4_2207 Depth=2
	s_or_b64 exec, exec, s[56:57]
	s_and_b64 s[56:57], s[58:59], exec
.LBB4_2321:                             ;   in Loop: Header=BB4_2207 Depth=2
	s_or_b64 exec, exec, s[54:55]
	s_and_saveexec_b64 vcc, s[56:57]
	s_cbranch_execz .LBB4_2323
; %bb.2322:                             ;   in Loop: Header=BB4_2207 Depth=2
	global_store_dwordx4 v[4:5], v[8:11], off glc slc
.LBB4_2323:                             ;   in Loop: Header=BB4_2207 Depth=2
	s_or_b64 exec, exec, vcc
	v_and_b32_e32 v0, 14, v27
	v_cndmask_b32_e64 v25, v32, v0, s[26:27]
	v_cmp_ne_u32_e32 vcc, 0, v25
	s_mov_b64 s[54:55], s[36:37]
                                        ; implicit-def: $vgpr6
                                        ; implicit-def: $vgpr12
                                        ; implicit-def: $vgpr1
	s_and_saveexec_b64 s[56:57], vcc
	s_cbranch_execz .LBB4_2325
; %bb.2324:                             ;   in Loop: Header=BB4_2207 Depth=2
	v_sub_u32_e32 v0, v32, v0
	v_cndmask_b32_e64 v0, 0, v0, s[26:27]
	v_cmp_lt_i32_e32 vcc, 0, v31
	v_add3_u32 v6, v30, v26, v0
	v_cndmask_b32_e32 v0, 0, v28, vcc
	v_sub_u32_e32 v0, v0, v31
	v_lshl_add_u32 v0, v0, 6, v29
	v_ashrrev_i32_e32 v1, 31, v0
	v_lshrrev_b32_e32 v1, 26, v1
	v_add_u32_e32 v3, v0, v1
	v_ashrrev_i32_e32 v1, 6, v3
	v_and_b32_e32 v3, 0xffffffc0, v3
	v_sub_u32_e32 v12, v0, v3
	s_or_b64 s[54:55], s[36:37], exec
.LBB4_2325:                             ;   in Loop: Header=BB4_2207 Depth=2
	s_or_b64 exec, exec, s[56:57]
	s_andn2_b64 s[26:27], s[36:37], exec
	s_and_b64 vcc, s[54:55], exec
	s_or_b64 s[36:37], s[26:27], vcc
.LBB4_2326:                             ;   in Loop: Header=BB4_2207 Depth=2
	s_or_b64 exec, exec, s[52:53]
	s_and_saveexec_b64 s[26:27], s[36:37]
	s_cbranch_execz .LBB4_2349
.LBB4_2327:                             ;   in Loop: Header=BB4_2207 Depth=2
	v_lshlrev_b32_e32 v0, 9, v1
	v_lshlrev_b32_e32 v3, 1, v12
	v_add3_u32 v0, v6, v3, v0
	v_ashrrev_i32_e32 v3, 31, v25
	v_lshrrev_b32_e32 v3, 23, v3
	v_add_u32_e32 v3, v25, v3
	v_ashrrev_i32_e32 v13, 9, v3
	v_ashrrev_i32_e32 v3, 31, v0
	s_waitcnt lgkmcnt(0)
	v_add_co_u32_e32 v4, vcc, v18, v0
	v_sub_u32_e32 v10, v13, v1
	v_addc_co_u32_e32 v5, vcc, v19, v3, vcc
	v_cmp_lt_i32_e32 vcc, 0, v10
	s_mov_b64 s[52:53], 0
                                        ; implicit-def: $vgpr14
                                        ; implicit-def: $vgpr15
                                        ; implicit-def: $vgpr20
                                        ; implicit-def: $vgpr21
	s_and_saveexec_b64 s[36:37], vcc
	s_cbranch_execz .LBB4_2335
; %bb.2328:                             ;   in Loop: Header=BB4_2207 Depth=2
	s_trap 2
	ds_read_b64 v[8:9], v0
	s_mov_b64 s[56:57], 0
                                        ; implicit-def: $sgpr54_sgpr55
                                        ; implicit-def: $vgpr14
                                        ; implicit-def: $vgpr15
                                        ; implicit-def: $vgpr20
                                        ; implicit-def: $vgpr21
	s_waitcnt lgkmcnt(0)
	v_add_co_u32_e32 v8, vcc, v8, v0
	v_addc_co_u32_e32 v9, vcc, v9, v3, vcc
	s_branch .LBB4_2330
.LBB4_2329:                             ;   in Loop: Header=BB4_2330 Depth=3
	s_or_b64 exec, exec, s[58:59]
	s_waitcnt vmcnt(0) lgkmcnt(0)
	flat_store_short v[4:5], v0 glc slc
	flat_store_short v[4:5], v1 offset:128 glc slc
	flat_store_short v[4:5], v3 offset:256 glc slc
	;; [unrolled: 1-line block ×3, first 2 shown]
	v_add_co_u32_e32 v0, vcc, v4, v10
	v_addc_co_u32_e32 v1, vcc, v5, v11, vcc
	v_add_co_u32_e32 v4, vcc, 0x200, v0
	v_addc_co_u32_e32 v5, vcc, 0, v1, vcc
	;; [unrolled: 2-line block ×3, first 2 shown]
	v_sub_u32_e32 v10, v27, v29
	v_cmp_gt_i32_e32 vcc, 1, v10
	s_or_b64 s[52:53], vcc, s[52:53]
	s_andn2_b64 vcc, s[54:55], exec
	s_and_b64 s[54:55], s[56:57], exec
	s_or_b64 s[54:55], vcc, s[54:55]
	s_andn2_b64 exec, exec, s[52:53]
	s_cbranch_execz .LBB4_2334
.LBB4_2330:                             ;   Parent Loop BB4_47 Depth=1
                                        ;     Parent Loop BB4_2207 Depth=2
                                        ; =>    This Inner Loop Header: Depth=3
	flat_load_ushort v0, v[8:9] glc slc
	flat_load_ushort v1, v[8:9] offset:128 glc slc
	flat_load_ushort v3, v[8:9] offset:256 glc slc
	;; [unrolled: 1-line block ×3, first 2 shown]
	s_and_saveexec_b64 s[58:59], s[56:57]
	s_cbranch_execz .LBB4_2332
; %bb.2331:                             ;   in Loop: Header=BB4_2330 Depth=3
	v_accvgpr_read_b32 v11, a32
	flat_store_short v[4:5], v14 glc slc
	flat_store_short v[4:5], v15 offset:128 glc slc
	flat_store_short v[4:5], v20 offset:256 glc slc
	;; [unrolled: 1-line block ×3, first 2 shown]
	v_add_co_u32_e32 v4, vcc, v4, v11
	v_accvgpr_read_b32 v11, a34
	v_addc_co_u32_e32 v5, vcc, v5, v11, vcc
.LBB4_2332:                             ;   in Loop: Header=BB4_2330 Depth=3
	s_or_b64 exec, exec, s[58:59]
	v_accvgpr_read_b32 v11, a32
	v_add_co_u32_e32 v8, vcc, v8, v11
	v_accvgpr_read_b32 v11, a34
	v_sub_u32_e32 v27, v10, v28
	v_addc_co_u32_e32 v9, vcc, v9, v11, vcc
	v_cmp_lt_i32_e64 s[56:57], 0, v27
	v_mov_b32_e32 v29, 0
	v_pk_mov_b32 v[10:11], 0, 0
	s_and_saveexec_b64 s[58:59], s[56:57]
	s_cbranch_execz .LBB4_2329
; %bb.2333:                             ;   in Loop: Header=BB4_2330 Depth=3
	flat_load_ushort v14, v[8:9] glc slc
	flat_load_ushort v15, v[8:9] offset:128 glc slc
	flat_load_ushort v20, v[8:9] offset:256 glc slc
	;; [unrolled: 1-line block ×3, first 2 shown]
	v_add_co_u32_e32 v8, vcc, 0x200, v8
	v_accvgpr_read_b32 v10, a24
	v_addc_co_u32_e32 v9, vcc, 0, v9, vcc
	v_mov_b32_e32 v29, v28
	v_accvgpr_read_b32 v11, a25
	s_branch .LBB4_2329
.LBB4_2334:                             ;   in Loop: Header=BB4_2207 Depth=2
	s_or_b64 exec, exec, s[52:53]
	s_and_b64 s[52:53], s[54:55], exec
.LBB4_2335:                             ;   in Loop: Header=BB4_2207 Depth=2
	s_or_b64 exec, exec, s[36:37]
	s_and_saveexec_b64 vcc, s[52:53]
	s_cbranch_execz .LBB4_2337
; %bb.2336:                             ;   in Loop: Header=BB4_2207 Depth=2
	flat_store_short v[4:5], v14 glc slc
	flat_store_short v[4:5], v15 offset:128 glc slc
	flat_store_short v[4:5], v20 offset:256 glc slc
	;; [unrolled: 1-line block ×3, first 2 shown]
.LBB4_2337:                             ;   in Loop: Header=BB4_2207 Depth=2
	s_or_b64 exec, exec, vcc
	v_lshlrev_b32_e32 v0, 9, v13
	v_cmp_ne_u32_e32 vcc, v25, v0
	s_and_saveexec_b64 s[36:37], vcc
	s_cbranch_execz .LBB4_2348
; %bb.2338:                             ;   in Loop: Header=BB4_2207 Depth=2
	v_lshlrev_b32_e32 v1, 6, v10
	v_sub_u32_e32 v1, v12, v1
	v_ashrrev_i32_e32 v3, 31, v1
	v_lshrrev_b32_e32 v3, 26, v3
	v_add_u32_e32 v3, v1, v3
	v_and_b32_e32 v4, 0x7fffffc0, v3
	v_sub_u32_e32 v1, v1, v4
	v_lshlrev_b32_e32 v3, 1, v3
	v_and_b32_e32 v3, 0xffffff80, v3
	v_lshlrev_b32_e32 v1, 1, v1
	v_add3_u32 v1, v3, v1, v0
	v_add_u32_e32 v0, v1, v6
	v_ashrrev_i32_e32 v3, 31, v0
	v_add_co_u32_e32 v4, vcc, v18, v0
	v_sub_u32_e32 v1, v25, v1
	v_addc_co_u32_e32 v5, vcc, v19, v3, vcc
	v_cmp_lt_i32_e32 vcc, 1, v1
	s_mov_b64 s[54:55], 0
                                        ; implicit-def: $vgpr6
	s_and_saveexec_b64 s[52:53], vcc
	s_cbranch_execz .LBB4_2346
; %bb.2339:                             ;   in Loop: Header=BB4_2207 Depth=2
	s_trap 2
	ds_read_b64 v[8:9], v0
	s_mov_b64 s[58:59], 0
                                        ; implicit-def: $sgpr56_sgpr57
                                        ; implicit-def: $vgpr6
	s_waitcnt lgkmcnt(0)
	v_add_co_u32_e32 v8, vcc, v8, v0
	v_addc_co_u32_e32 v9, vcc, v9, v3, vcc
	s_branch .LBB4_2341
.LBB4_2340:                             ;   in Loop: Header=BB4_2341 Depth=3
	s_or_b64 exec, exec, s[60:61]
	s_waitcnt vmcnt(0) lgkmcnt(0)
	flat_store_short v[4:5], v0 glc slc
	v_add_co_u32_e32 v0, vcc, v4, v10
	v_addc_co_u32_e32 v5, vcc, v5, v11, vcc
	v_add_co_u32_e32 v8, vcc, v8, v10
	v_addc_co_u32_e32 v9, vcc, v9, v11, vcc
	;; [unrolled: 2-line block ×3, first 2 shown]
	v_sub_u32_e32 v1, v1, v3
	v_cmp_gt_i32_e32 vcc, 2, v1
	s_or_b64 s[54:55], vcc, s[54:55]
	s_andn2_b64 vcc, s[56:57], exec
	s_and_b64 s[56:57], s[58:59], exec
	s_or_b64 s[56:57], vcc, s[56:57]
	s_andn2_b64 exec, exec, s[54:55]
	s_cbranch_execz .LBB4_2345
.LBB4_2341:                             ;   Parent Loop BB4_47 Depth=1
                                        ;     Parent Loop BB4_2207 Depth=2
                                        ; =>    This Inner Loop Header: Depth=3
	flat_load_ushort v0, v[8:9] glc slc
	s_and_saveexec_b64 s[60:61], s[58:59]
	s_cbranch_execz .LBB4_2343
; %bb.2342:                             ;   in Loop: Header=BB4_2341 Depth=3
	v_accvgpr_read_b32 v3, a39
	v_add_co_u32_e32 v10, vcc, v4, v3
	v_accvgpr_read_b32 v3, a40
	v_addc_co_u32_e32 v11, vcc, v5, v3, vcc
	flat_store_short v[4:5], v6 glc slc
	v_pk_mov_b32 v[4:5], v[10:11], v[10:11] op_sel:[0,1]
.LBB4_2343:                             ;   in Loop: Header=BB4_2341 Depth=3
	s_or_b64 exec, exec, s[60:61]
	v_accvgpr_read_b32 v3, a39
	v_add_co_u32_e32 v8, vcc, v8, v3
	v_accvgpr_read_b32 v3, a40
	v_sub_u32_e32 v1, v1, v51
	v_addc_co_u32_e32 v9, vcc, v9, v3, vcc
	v_cmp_lt_i32_e64 s[58:59], 1, v1
	v_mov_b32_e32 v3, 0
	v_pk_mov_b32 v[10:11], 0, 0
	s_and_saveexec_b64 s[60:61], s[58:59]
	s_cbranch_execz .LBB4_2340
; %bb.2344:                             ;   in Loop: Header=BB4_2341 Depth=3
	flat_load_ushort v6, v[8:9] glc slc
	v_add_co_u32_e32 v8, vcc, 0x80, v8
	v_accvgpr_read_b32 v10, a30
	v_addc_co_u32_e32 v9, vcc, 0, v9, vcc
	v_mov_b32_e32 v3, v51
	v_accvgpr_read_b32 v11, a31
	s_branch .LBB4_2340
.LBB4_2345:                             ;   in Loop: Header=BB4_2207 Depth=2
	s_or_b64 exec, exec, s[54:55]
	s_and_b64 s[54:55], s[56:57], exec
.LBB4_2346:                             ;   in Loop: Header=BB4_2207 Depth=2
	s_or_b64 exec, exec, s[52:53]
	s_and_b64 exec, exec, s[54:55]
	s_cbranch_execz .LBB4_2348
; %bb.2347:                             ;   in Loop: Header=BB4_2207 Depth=2
	flat_store_short v[4:5], v6 glc slc
.LBB4_2348:                             ;   in Loop: Header=BB4_2207 Depth=2
	s_or_b64 exec, exec, s[36:37]
.LBB4_2349:                             ;   in Loop: Header=BB4_2207 Depth=2
	s_or_b64 exec, exec, s[26:27]
	s_and_saveexec_b64 s[26:27], s[10:11]
	s_cbranch_execnz .LBB4_2286
.LBB4_2350:                             ;   in Loop: Header=BB4_2207 Depth=2
	s_or_b64 exec, exec, s[26:27]
	s_and_saveexec_b64 s[26:27], s[24:25]
	s_xor_b64 s[36:37], exec, s[26:27]
	s_cbranch_execz .LBB4_2319
.LBB4_2351:                             ;   in Loop: Header=BB4_2207 Depth=2
	v_and_b32_e32 v0, 16, v62
	v_cmp_lt_i32_e32 vcc, 0, v24
	v_cmp_ne_u32_e64 s[26:27], 0, v0
	s_and_b64 vcc, s[26:27], vcc
	s_and_saveexec_b64 s[26:27], vcc
	s_cbranch_execz .LBB4_2353
; %bb.2352:                             ;   in Loop: Header=BB4_2207 Depth=2
	s_waitcnt vmcnt(0) lgkmcnt(0)
	buffer_wbinvl1_vol
.LBB4_2353:                             ;   in Loop: Header=BB4_2207 Depth=2
	s_or_b64 exec, exec, s[26:27]
	s_andn2_saveexec_b64 s[26:27], s[36:37]
	s_cbranch_execz .LBB4_2372
.LBB4_2354:                             ;   in Loop: Header=BB4_2207 Depth=2
	s_and_saveexec_b64 vcc, s[44:45]
	s_xor_b64 s[36:37], exec, vcc
	s_cbranch_execz .LBB4_2369
; %bb.2355:                             ;   in Loop: Header=BB4_2207 Depth=2
	s_and_saveexec_b64 s[52:53], s[16:17]
	s_cbranch_execz .LBB4_2368
; %bb.2356:                             ;   in Loop: Header=BB4_2207 Depth=2
	s_mov_b64 s[56:57], exec
	v_mbcnt_lo_u32_b32 v0, s56, 0
	v_mbcnt_hi_u32_b32 v0, s57, v0
	v_cmp_eq_u32_e32 vcc, 0, v0
	;;#ASMSTART
	s_waitcnt lgkmcnt(0) vmcnt(0)
	;;#ASMEND
	s_and_saveexec_b64 s[54:55], vcc
	s_cbranch_execz .LBB4_2358
; %bb.2357:                             ;   in Loop: Header=BB4_2207 Depth=2
	s_bcnt1_i32_b64 vcc_lo, s[56:57]
	v_mov_b32_e32 v0, vcc_lo
	v_mov_b32_e32 v1, v42
	ds_add_u64 v0, v[0:1]
	s_trap 2
.LBB4_2358:                             ;   in Loop: Header=BB4_2207 Depth=2
	s_or_b64 exec, exec, s[54:55]
	s_trap 2
	ds_read_b64 v[0:1], v0
	v_add_co_u32_e32 v40, vcc, v40, v28
	v_addc_co_u32_e32 v41, vcc, 0, v41, vcc
	s_waitcnt lgkmcnt(0)
	v_cmp_lt_u64_e32 vcc, v[0:1], v[40:41]
	s_and_saveexec_b64 s[54:55], vcc
	s_cbranch_execz .LBB4_2367
; %bb.2359:                             ;   in Loop: Header=BB4_2207 Depth=2
	s_mov_b32 s67, 0
	s_mov_b64 s[56:57], 0
                                        ; implicit-def: $sgpr58_sgpr59
                                        ; implicit-def: $sgpr60_sgpr61
	s_branch .LBB4_2361
.LBB4_2360:                             ;   in Loop: Header=BB4_2361 Depth=3
	s_or_b64 exec, exec, s[64:65]
	s_and_b64 vcc, exec, vcc
	s_or_b64 s[56:57], vcc, s[56:57]
	s_andn2_b64 vcc, s[58:59], exec
	s_and_b64 s[58:59], s[60:61], exec
	s_or_b64 s[58:59], vcc, s[58:59]
	s_andn2_b64 exec, exec, s[56:57]
	s_cbranch_execz .LBB4_2365
.LBB4_2361:                             ;   Parent Loop BB4_47 Depth=1
                                        ;     Parent Loop BB4_2207 Depth=2
                                        ; =>    This Inner Loop Header: Depth=3
	s_add_i32 s67, s67, 1
	s_cmpk_lg_i32 s67, 0x2710
	s_cselect_b64 s[62:63], -1, 0
	s_and_b64 vcc, exec, s[62:63]
                                        ; implicit-def: $sgpr64_sgpr65
	s_cbranch_vccnz .LBB4_2363
; %bb.2362:                             ;   in Loop: Header=BB4_2361 Depth=3
	s_trap 2
	ds_read_b64 v[0:1], v0
	s_andn2_b64 s[62:63], s[62:63], exec
	s_mov_b32 s67, 0
	s_mov_b64 s[64:65], -1
	s_waitcnt vmcnt(0) lgkmcnt(0)
	flat_load_dword v0, v[0:1] glc
	s_waitcnt vmcnt(0) lgkmcnt(0)
	buffer_invl2
	buffer_wbinvl1_vol
	v_cmp_eq_u32_e32 vcc, 0, v0
	s_and_b64 vcc, vcc, exec
	s_or_b64 s[62:63], s[62:63], vcc
.LBB4_2363:                             ;   in Loop: Header=BB4_2361 Depth=3
	s_andn2_b64 s[60:61], s[60:61], exec
	s_and_b64 s[64:65], s[64:65], exec
	s_mov_b64 vcc, -1
	s_or_b64 s[60:61], s[60:61], s[64:65]
	s_and_saveexec_b64 s[64:65], s[62:63]
	s_cbranch_execz .LBB4_2360
; %bb.2364:                             ;   in Loop: Header=BB4_2361 Depth=3
	s_sleep 1
	s_trap 2
	ds_read_b64 v[0:1], v0
	s_andn2_b64 s[60:61], s[60:61], exec
	s_waitcnt lgkmcnt(0)
	v_cmp_ge_u64_e32 vcc, v[0:1], v[40:41]
	s_orn2_b64 vcc, vcc, exec
	s_branch .LBB4_2360
.LBB4_2365:                             ;   in Loop: Header=BB4_2207 Depth=2
	s_or_b64 exec, exec, s[56:57]
	s_and_saveexec_b64 vcc, s[58:59]
	s_xor_b64 vcc, exec, vcc
	s_cbranch_execz .LBB4_2367
; %bb.2366:                             ;   in Loop: Header=BB4_2207 Depth=2
	v_mov_b32_e32 v0, 1
	ds_write_b32 v0, v0
	s_trap 2
.LBB4_2367:                             ;   in Loop: Header=BB4_2207 Depth=2
	s_or_b64 exec, exec, s[54:55]
	;;#ASMSTART
	s_wakeup
	;;#ASMEND
.LBB4_2368:                             ;   in Loop: Header=BB4_2207 Depth=2
	s_or_b64 exec, exec, s[52:53]
.LBB4_2369:                             ;   in Loop: Header=BB4_2207 Depth=2
	s_andn2_saveexec_b64 vcc, s[36:37]
	s_cbranch_execz .LBB4_2371
; %bb.2370:                             ;   in Loop: Header=BB4_2207 Depth=2
	;;#ASMSTART
	s_waitcnt lgkmcnt(0) vmcnt(0)
	;;#ASMEND
	s_barrier
.LBB4_2371:                             ;   in Loop: Header=BB4_2207 Depth=2
	s_or_b64 exec, exec, vcc
.LBB4_2372:                             ;   in Loop: Header=BB4_2207 Depth=2
	s_or_b64 exec, exec, s[26:27]
	v_and_b32_e32 v0, 32, v62
	v_cmp_ne_u32_e32 vcc, 0, v0
	s_and_saveexec_b64 s[26:27], vcc
	s_cbranch_execz .LBB4_2206
; %bb.2373:                             ;   in Loop: Header=BB4_2207 Depth=2
	v_add_co_u32_e32 v44, vcc, 2, v44
	v_addc_co_u32_e32 v45, vcc, 0, v45, vcc
	flat_store_dwordx2 v[46:47], v[44:45]
	s_branch .LBB4_2206
.LBB4_2374:                             ;   in Loop: Header=BB4_47 Depth=1
	s_or_b64 exec, exec, s[30:31]
	v_accvgpr_read_b32 v16, a30
	v_accvgpr_read_b32 v17, a31
.LBB4_2375:                             ;   in Loop: Header=BB4_47 Depth=1
	s_or_b64 exec, exec, s[28:29]
	v_cmp_gt_i32_e32 vcc, 2, v0
	s_and_saveexec_b64 s[28:29], vcc
	s_cbranch_execz .LBB4_46
; %bb.2376:                             ;   in Loop: Header=BB4_47 Depth=1
	v_cmp_eq_u32_e64 s[26:27], 0, v0
	s_mov_b64 s[30:31], 0
	s_branch .LBB4_2378
.LBB4_2377:                             ;   in Loop: Header=BB4_2378 Depth=2
	s_or_b64 exec, exec, s[26:27]
	v_add_u32_e32 v2, v23, v2
	s_mov_b64 s[26:27], 0
	s_andn2_b64 exec, exec, s[30:31]
	s_cbranch_execz .LBB4_45
.LBB4_2378:                             ;   Parent Loop BB4_47 Depth=1
                                        ; =>  This Loop Header: Depth=2
                                        ;       Child Loop BB4_2384 Depth 3
                                        ;       Child Loop BB4_2408 Depth 3
                                        ;       Child Loop BB4_2431 Depth 3
	v_and_b32_e32 v0, 4, v62
	s_mov_b64 s[36:37], -1
	v_cmp_ne_u32_e32 vcc, 0, v0
	s_and_saveexec_b64 s[34:35], vcc
	s_cbranch_execz .LBB4_2390
; %bb.2379:                             ;   in Loop: Header=BB4_2378 Depth=2
	v_add_co_u32_e32 v4, vcc, 2, v44
	v_addc_co_u32_e32 v5, vcc, 0, v45, vcc
	v_cmp_lt_u64_e32 vcc, v[60:61], v[4:5]
	v_mov_b32_e32 v0, 1
	s_and_saveexec_b64 s[36:37], vcc
	s_cbranch_execz .LBB4_2389
; %bb.2380:                             ;   in Loop: Header=BB4_2378 Depth=2
	s_mov_b64 s[52:53], 0
	v_mov_b32_e32 v0, 0
                                        ; implicit-def: $sgpr54_sgpr55
	s_branch .LBB4_2384
.LBB4_2381:                             ;   in Loop: Header=BB4_2384 Depth=3
	s_or_b64 exec, exec, s[62:63]
	v_mov_b32_e32 v1, 0
	s_orn2_b64 s[60:61], s[60:61], exec
.LBB4_2382:                             ;   in Loop: Header=BB4_2384 Depth=3
	s_or_b64 exec, exec, s[58:59]
	s_andn2_b64 vcc, s[54:55], exec
	s_and_b64 s[54:55], s[60:61], exec
	s_or_b64 s[54:55], vcc, s[54:55]
	v_mov_b32_e32 v0, v1
.LBB4_2383:                             ;   in Loop: Header=BB4_2384 Depth=3
	s_or_b64 exec, exec, s[56:57]
	s_waitcnt vmcnt(0) lgkmcnt(0)
	v_cmp_ge_u64_e32 vcc, v[60:61], v[4:5]
	s_xor_b64 s[56:57], s[54:55], -1
	s_or_b64 vcc, s[56:57], vcc
	s_and_b64 vcc, exec, vcc
	s_or_b64 s[52:53], vcc, s[52:53]
	s_andn2_b64 exec, exec, s[52:53]
	s_cbranch_execz .LBB4_2388
.LBB4_2384:                             ;   Parent Loop BB4_47 Depth=1
                                        ;     Parent Loop BB4_2378 Depth=2
                                        ; =>    This Inner Loop Header: Depth=3
	s_sleep 1
	flat_load_dwordx2 v[60:61], v[46:47] glc
	v_and_b32_e32 v1, 64, v62
	v_cmp_eq_u32_e32 vcc, 0, v1
	s_andn2_b64 s[54:55], s[54:55], exec
	s_and_saveexec_b64 s[56:57], vcc
	s_cbranch_execz .LBB4_2383
; %bb.2385:                             ;   in Loop: Header=BB4_2384 Depth=3
	v_add_u32_e32 v1, 1, v0
	v_cmp_lt_i32_e32 vcc, s89, v0
	s_mov_b64 s[60:61], -1
	s_and_saveexec_b64 s[58:59], vcc
	s_cbranch_execz .LBB4_2382
; %bb.2386:                             ;   in Loop: Header=BB4_2384 Depth=3
	s_trap 2
	ds_read_b64 v[0:1], v0
	s_waitcnt vmcnt(0) lgkmcnt(0)
	flat_load_dword v0, v[0:1] glc
	s_waitcnt vmcnt(0) lgkmcnt(0)
	buffer_invl2
	buffer_wbinvl1_vol
	v_cmp_ne_u32_e32 vcc, 0, v0
	s_and_saveexec_b64 s[62:63], vcc
	s_cbranch_execz .LBB4_2381
; %bb.2387:                             ;   in Loop: Header=BB4_2384 Depth=3
	v_or_b32_e32 v62, 64, v62
	s_xor_b64 s[60:61], exec, -1
	ds_write_b32 v0, v0
	s_trap 2
	s_branch .LBB4_2381
.LBB4_2388:                             ;   in Loop: Header=BB4_2378 Depth=2
	s_or_b64 exec, exec, s[52:53]
	v_and_b32_e32 v0, 4, v62
.LBB4_2389:                             ;   in Loop: Header=BB4_2378 Depth=2
	s_or_b64 exec, exec, s[36:37]
	v_cmp_eq_u32_e32 vcc, 0, v0
	s_orn2_b64 s[36:37], vcc, exec
	;;#ASMSTART
	s_wakeup
	;;#ASMEND
.LBB4_2390:                             ;   in Loop: Header=BB4_2378 Depth=2
	s_or_b64 exec, exec, s[34:35]
	s_xor_b64 s[26:27], s[26:27], -1
	s_and_b64 s[26:27], exec, s[26:27]
	s_or_b64 s[30:31], s[26:27], s[30:31]
	s_xor_b64 s[26:27], s[36:37], -1
	s_and_saveexec_b64 s[34:35], s[26:27]
	s_cbranch_execz .LBB4_2400
; %bb.2391:                             ;   in Loop: Header=BB4_2378 Depth=2
	v_and_b32_e32 v0, 0x100, v62
	v_cmp_ne_u32_e32 vcc, 0, v0
	v_and_b32_e32 v0, 7, v44
	s_mov_b64 s[26:27], -1
                                        ; implicit-def: $vgpr4_vgpr5
	s_and_saveexec_b64 s[36:37], vcc
	s_cbranch_execz .LBB4_2395
; %bb.2392:                             ;   in Loop: Header=BB4_2378 Depth=2
	v_mad_u64_u32 v[8:9], s[26:27], v0, 24, v[48:49]
	flat_load_dword v1, v[8:9]
                                        ; implicit-def: $vgpr4_vgpr5
	s_waitcnt vmcnt(0) lgkmcnt(0)
	v_cmp_ne_u32_e32 vcc, 1, v1
	v_cmp_eq_u32_e64 s[26:27], 1, v1
	s_and_saveexec_b64 s[52:53], s[26:27]
	s_cbranch_execz .LBB4_2394
; %bb.2393:                             ;   in Loop: Header=BB4_2378 Depth=2
	flat_load_dword v4, v[8:9] offset:4 glc
	s_waitcnt vmcnt(0) lgkmcnt(0)
	v_ashrrev_i32_e32 v5, 31, v4
	v_lshrrev_b64 v[4:5], 1, v[4:5]
.LBB4_2394:                             ;   in Loop: Header=BB4_2378 Depth=2
	s_or_b64 exec, exec, s[52:53]
	s_orn2_b64 s[26:27], vcc, exec
.LBB4_2395:                             ;   in Loop: Header=BB4_2378 Depth=2
	s_or_b64 exec, exec, s[36:37]
	s_and_saveexec_b64 vcc, s[26:27]
; %bb.2396:                             ;   in Loop: Header=BB4_2378 Depth=2
	v_mad_i64_i32 v[4:5], s[26:27], v0, v38, 0
; %bb.2397:                             ;   in Loop: Header=BB4_2378 Depth=2
	s_or_b64 exec, exec, vcc
	v_lshlrev_b64 v[0:1], 1, v[4:5]
	v_add_co_u32_e32 v0, vcc, v52, v0
	v_addc_co_u32_e32 v1, vcc, v53, v1, vcc
	ds_write_b64 v0, v[0:1] offset:720
	v_and_b32_e32 v0, 0x2000, v62
	v_cmp_ne_u32_e32 vcc, 0, v0
	s_and_saveexec_b64 s[26:27], vcc
	s_cbranch_execz .LBB4_2399
; %bb.2398:                             ;   in Loop: Header=BB4_2378 Depth=2
	ds_read_b64 v[0:1], v0 offset:584
	s_waitcnt lgkmcnt(0)
	v_add_co_u32_e32 v0, vcc, 1, v0
	v_addc_co_u32_e32 v1, vcc, 0, v1, vcc
	ds_write_b64 v0, v[0:1] offset:584
.LBB4_2399:                             ;   in Loop: Header=BB4_2378 Depth=2
	s_or_b64 exec, exec, s[26:27]
	v_add_co_u32_e32 v44, vcc, 2, v44
	v_addc_co_u32_e32 v45, vcc, 0, v45, vcc
.LBB4_2400:                             ;   in Loop: Header=BB4_2378 Depth=2
	s_or_b64 exec, exec, s[34:35]
	s_and_saveexec_b64 s[26:27], s[10:11]
	s_cbranch_execz .LBB4_2419
; %bb.2401:                             ;   in Loop: Header=BB4_2378 Depth=2
	s_and_saveexec_b64 vcc, s[44:45]
	s_xor_b64 s[34:35], exec, vcc
	s_cbranch_execz .LBB4_2416
; %bb.2402:                             ;   in Loop: Header=BB4_2378 Depth=2
	s_and_saveexec_b64 s[36:37], s[16:17]
	s_cbranch_execz .LBB4_2415
; %bb.2403:                             ;   in Loop: Header=BB4_2378 Depth=2
	s_mov_b64 s[54:55], exec
	v_mbcnt_lo_u32_b32 v0, s54, 0
	v_mbcnt_hi_u32_b32 v0, s55, v0
	v_cmp_eq_u32_e32 vcc, 0, v0
	s_waitcnt vmcnt(0) lgkmcnt(0)
	buffer_wbinvl1_vol
	s_and_saveexec_b64 s[52:53], vcc
	s_cbranch_execz .LBB4_2405
; %bb.2404:                             ;   in Loop: Header=BB4_2378 Depth=2
	s_bcnt1_i32_b64 vcc_lo, s[54:55]
	v_mov_b32_e32 v0, vcc_lo
	v_mov_b32_e32 v1, v42
	ds_add_u64 v0, v[0:1]
	s_trap 2
.LBB4_2405:                             ;   in Loop: Header=BB4_2378 Depth=2
	s_or_b64 exec, exec, s[52:53]
	s_trap 2
	ds_read_b64 v[0:1], v0
	v_add_co_u32_e32 v40, vcc, v40, v28
	v_addc_co_u32_e32 v41, vcc, 0, v41, vcc
	s_waitcnt lgkmcnt(0)
	v_cmp_lt_u64_e32 vcc, v[0:1], v[40:41]
	s_and_saveexec_b64 s[52:53], vcc
	s_cbranch_execz .LBB4_2414
; %bb.2406:                             ;   in Loop: Header=BB4_2378 Depth=2
	s_mov_b32 s64, 0
	s_mov_b64 s[54:55], 0
                                        ; implicit-def: $sgpr56_sgpr57
                                        ; implicit-def: $sgpr58_sgpr59
	s_branch .LBB4_2408
.LBB4_2407:                             ;   in Loop: Header=BB4_2408 Depth=3
	s_or_b64 exec, exec, s[62:63]
	s_and_b64 vcc, exec, vcc
	s_or_b64 s[54:55], vcc, s[54:55]
	s_andn2_b64 vcc, s[56:57], exec
	s_and_b64 s[56:57], s[58:59], exec
	s_or_b64 s[56:57], vcc, s[56:57]
	s_andn2_b64 exec, exec, s[54:55]
	s_cbranch_execz .LBB4_2412
.LBB4_2408:                             ;   Parent Loop BB4_47 Depth=1
                                        ;     Parent Loop BB4_2378 Depth=2
                                        ; =>    This Inner Loop Header: Depth=3
	s_add_i32 s64, s64, 1
	s_cmpk_lg_i32 s64, 0x2710
	s_cselect_b64 s[60:61], -1, 0
	s_and_b64 vcc, exec, s[60:61]
                                        ; implicit-def: $sgpr62_sgpr63
	s_cbranch_vccnz .LBB4_2410
; %bb.2409:                             ;   in Loop: Header=BB4_2408 Depth=3
	s_trap 2
	ds_read_b64 v[0:1], v0
	s_andn2_b64 s[60:61], s[60:61], exec
	s_mov_b32 s64, 0
	s_mov_b64 s[62:63], -1
	s_waitcnt lgkmcnt(0)
	flat_load_dword v0, v[0:1] glc
	s_waitcnt vmcnt(0) lgkmcnt(0)
	buffer_invl2
	buffer_wbinvl1_vol
	v_cmp_eq_u32_e32 vcc, 0, v0
	s_and_b64 vcc, vcc, exec
	s_or_b64 s[60:61], s[60:61], vcc
.LBB4_2410:                             ;   in Loop: Header=BB4_2408 Depth=3
	s_andn2_b64 s[58:59], s[58:59], exec
	s_and_b64 s[62:63], s[62:63], exec
	s_mov_b64 vcc, -1
	s_or_b64 s[58:59], s[58:59], s[62:63]
	s_and_saveexec_b64 s[62:63], s[60:61]
	s_cbranch_execz .LBB4_2407
; %bb.2411:                             ;   in Loop: Header=BB4_2408 Depth=3
	s_sleep 1
	s_trap 2
	ds_read_b64 v[0:1], v0
	s_andn2_b64 s[58:59], s[58:59], exec
	s_waitcnt lgkmcnt(0)
	v_cmp_ge_u64_e32 vcc, v[0:1], v[40:41]
	s_orn2_b64 vcc, vcc, exec
	s_branch .LBB4_2407
.LBB4_2412:                             ;   in Loop: Header=BB4_2378 Depth=2
	s_or_b64 exec, exec, s[54:55]
	s_and_saveexec_b64 vcc, s[56:57]
	s_xor_b64 vcc, exec, vcc
	s_cbranch_execz .LBB4_2414
; %bb.2413:                             ;   in Loop: Header=BB4_2378 Depth=2
	v_mov_b32_e32 v0, 1
	ds_write_b32 v0, v0
	s_trap 2
.LBB4_2414:                             ;   in Loop: Header=BB4_2378 Depth=2
	s_or_b64 exec, exec, s[52:53]
	;;#ASMSTART
	s_wakeup
	;;#ASMEND
.LBB4_2415:                             ;   in Loop: Header=BB4_2378 Depth=2
	s_or_b64 exec, exec, s[36:37]
.LBB4_2416:                             ;   in Loop: Header=BB4_2378 Depth=2
	s_andn2_saveexec_b64 vcc, s[34:35]
	s_cbranch_execz .LBB4_2418
; %bb.2417:                             ;   in Loop: Header=BB4_2378 Depth=2
	s_waitcnt vmcnt(0) lgkmcnt(0)
	buffer_wbinvl1_vol
	s_barrier
.LBB4_2418:                             ;   in Loop: Header=BB4_2378 Depth=2
	s_or_b64 exec, exec, vcc
.LBB4_2419:                             ;   in Loop: Header=BB4_2378 Depth=2
	s_or_b64 exec, exec, s[26:27]
	v_sub_u32_e32 v0, v22, v2
	v_min_i32_e32 v23, v23, v0
	s_and_saveexec_b64 s[26:27], s[24:25]
	s_xor_b64 s[26:27], exec, s[26:27]
	s_cbranch_execz .LBB4_2423
; %bb.2420:                             ;   in Loop: Header=BB4_2378 Depth=2
	s_trap 2
	ds_read_b32 v0, v0
	v_cmp_lt_i32_e32 vcc, 0, v23
	v_and_b32_e32 v1, 16, v62
	s_waitcnt lgkmcnt(0)
	v_readfirstlane_b32 s34, v0
	s_cmp_eq_u32 s34, 0
	s_cselect_b64 s[34:35], -1, 0
	s_and_b64 s[34:35], vcc, s[34:35]
	v_cmp_ne_u32_e32 vcc, 0, v1
	s_and_b64 s[34:35], vcc, s[34:35]
	s_and_saveexec_b64 vcc, s[34:35]
	s_cbranch_execz .LBB4_2422
; %bb.2421:                             ;   in Loop: Header=BB4_2378 Depth=2
	s_waitcnt vmcnt(0)
	buffer_wbinvl1_vol
.LBB4_2422:                             ;   in Loop: Header=BB4_2378 Depth=2
	s_or_b64 exec, exec, vcc
.LBB4_2423:                             ;   in Loop: Header=BB4_2378 Depth=2
	s_andn2_saveexec_b64 s[26:27], s[26:27]
	s_cbranch_execz .LBB4_2442
; %bb.2424:                             ;   in Loop: Header=BB4_2378 Depth=2
	s_and_saveexec_b64 vcc, s[44:45]
	s_xor_b64 s[34:35], exec, vcc
	s_cbranch_execz .LBB4_2439
; %bb.2425:                             ;   in Loop: Header=BB4_2378 Depth=2
	s_and_saveexec_b64 s[36:37], s[16:17]
	s_cbranch_execz .LBB4_2438
; %bb.2426:                             ;   in Loop: Header=BB4_2378 Depth=2
	s_mov_b64 s[54:55], exec
	v_mbcnt_lo_u32_b32 v0, s54, 0
	v_mbcnt_hi_u32_b32 v0, s55, v0
	v_cmp_eq_u32_e32 vcc, 0, v0
	;;#ASMSTART
	s_waitcnt lgkmcnt(0) vmcnt(0)
	;;#ASMEND
	s_and_saveexec_b64 s[52:53], vcc
	s_cbranch_execz .LBB4_2428
; %bb.2427:                             ;   in Loop: Header=BB4_2378 Depth=2
	s_bcnt1_i32_b64 vcc_lo, s[54:55]
	v_mov_b32_e32 v0, vcc_lo
	v_mov_b32_e32 v1, v42
	ds_add_u64 v0, v[0:1]
	s_trap 2
.LBB4_2428:                             ;   in Loop: Header=BB4_2378 Depth=2
	s_or_b64 exec, exec, s[52:53]
	s_trap 2
	ds_read_b64 v[0:1], v0
	v_add_co_u32_e32 v40, vcc, v40, v28
	v_addc_co_u32_e32 v41, vcc, 0, v41, vcc
	s_waitcnt lgkmcnt(0)
	v_cmp_lt_u64_e32 vcc, v[0:1], v[40:41]
	s_and_saveexec_b64 s[52:53], vcc
	s_cbranch_execz .LBB4_2437
; %bb.2429:                             ;   in Loop: Header=BB4_2378 Depth=2
	s_mov_b32 s64, 0
	s_mov_b64 s[54:55], 0
                                        ; implicit-def: $sgpr56_sgpr57
                                        ; implicit-def: $sgpr58_sgpr59
	s_branch .LBB4_2431
.LBB4_2430:                             ;   in Loop: Header=BB4_2431 Depth=3
	s_or_b64 exec, exec, s[62:63]
	s_and_b64 vcc, exec, vcc
	s_or_b64 s[54:55], vcc, s[54:55]
	s_andn2_b64 vcc, s[56:57], exec
	s_and_b64 s[56:57], s[58:59], exec
	s_or_b64 s[56:57], vcc, s[56:57]
	s_andn2_b64 exec, exec, s[54:55]
	s_cbranch_execz .LBB4_2435
.LBB4_2431:                             ;   Parent Loop BB4_47 Depth=1
                                        ;     Parent Loop BB4_2378 Depth=2
                                        ; =>    This Inner Loop Header: Depth=3
	s_add_i32 s64, s64, 1
	s_cmpk_lg_i32 s64, 0x2710
	s_cselect_b64 s[60:61], -1, 0
	s_and_b64 vcc, exec, s[60:61]
                                        ; implicit-def: $sgpr62_sgpr63
	s_cbranch_vccnz .LBB4_2433
; %bb.2432:                             ;   in Loop: Header=BB4_2431 Depth=3
	s_trap 2
	ds_read_b64 v[0:1], v0
	s_andn2_b64 s[60:61], s[60:61], exec
	s_mov_b32 s64, 0
	s_mov_b64 s[62:63], -1
	s_waitcnt vmcnt(0) lgkmcnt(0)
	flat_load_dword v0, v[0:1] glc
	s_waitcnt vmcnt(0) lgkmcnt(0)
	buffer_invl2
	buffer_wbinvl1_vol
	v_cmp_eq_u32_e32 vcc, 0, v0
	s_and_b64 vcc, vcc, exec
	s_or_b64 s[60:61], s[60:61], vcc
.LBB4_2433:                             ;   in Loop: Header=BB4_2431 Depth=3
	s_andn2_b64 s[58:59], s[58:59], exec
	s_and_b64 s[62:63], s[62:63], exec
	s_mov_b64 vcc, -1
	s_or_b64 s[58:59], s[58:59], s[62:63]
	s_and_saveexec_b64 s[62:63], s[60:61]
	s_cbranch_execz .LBB4_2430
; %bb.2434:                             ;   in Loop: Header=BB4_2431 Depth=3
	s_sleep 1
	s_trap 2
	ds_read_b64 v[0:1], v0
	s_andn2_b64 s[58:59], s[58:59], exec
	s_waitcnt lgkmcnt(0)
	v_cmp_ge_u64_e32 vcc, v[0:1], v[40:41]
	s_orn2_b64 vcc, vcc, exec
	s_branch .LBB4_2430
.LBB4_2435:                             ;   in Loop: Header=BB4_2378 Depth=2
	s_or_b64 exec, exec, s[54:55]
	s_and_saveexec_b64 vcc, s[56:57]
	s_xor_b64 vcc, exec, vcc
	s_cbranch_execz .LBB4_2437
; %bb.2436:                             ;   in Loop: Header=BB4_2378 Depth=2
	v_mov_b32_e32 v0, 1
	ds_write_b32 v0, v0
	s_trap 2
.LBB4_2437:                             ;   in Loop: Header=BB4_2378 Depth=2
	s_or_b64 exec, exec, s[52:53]
	;;#ASMSTART
	s_wakeup
	;;#ASMEND
.LBB4_2438:                             ;   in Loop: Header=BB4_2378 Depth=2
	s_or_b64 exec, exec, s[36:37]
.LBB4_2439:                             ;   in Loop: Header=BB4_2378 Depth=2
	s_andn2_saveexec_b64 vcc, s[34:35]
	s_cbranch_execz .LBB4_2441
; %bb.2440:                             ;   in Loop: Header=BB4_2378 Depth=2
	;;#ASMSTART
	s_waitcnt lgkmcnt(0) vmcnt(0)
	;;#ASMEND
	s_barrier
.LBB4_2441:                             ;   in Loop: Header=BB4_2378 Depth=2
	s_or_b64 exec, exec, vcc
.LBB4_2442:                             ;   in Loop: Header=BB4_2378 Depth=2
	s_or_b64 exec, exec, s[26:27]
	v_and_b32_e32 v0, 32, v62
	v_cmp_ne_u32_e32 vcc, 0, v0
	s_and_saveexec_b64 s[26:27], vcc
	s_cbranch_execz .LBB4_2377
; %bb.2443:                             ;   in Loop: Header=BB4_2378 Depth=2
	v_add_co_u32_e32 v44, vcc, 2, v44
	v_addc_co_u32_e32 v45, vcc, 0, v45, vcc
	flat_store_dwordx2 v[46:47], v[44:45]
	s_branch .LBB4_2377
.LBB4_2444:
	s_or_b64 exec, exec, s[42:43]
	buffer_load_dword v31, off, s[0:3], s33 offset:300 ; 4-byte Folded Reload
	s_waitcnt lgkmcnt(0)
	buffer_load_dword v18, off, s[0:3], s33 offset:308 ; 4-byte Folded Reload
	buffer_load_dword v19, off, s[0:3], s33 offset:304 ; 4-byte Folded Reload
	;; [unrolled: 1-line block ×4, first 2 shown]
.LBB4_2445:
	s_or_b64 exec, exec, s[40:41]
	v_and_b32_e32 v0, 0x800, v62
	v_cmp_eq_u32_e32 vcc, 0, v0
	s_and_saveexec_b64 s[4:5], vcc
	s_cbranch_execz .LBB4_2480
; %bb.2446:
	v_and_b32_e32 v0, 48, v62
	v_cmp_ne_u32_e32 vcc, 0, v0
	s_and_saveexec_b64 s[6:7], vcc
	s_cbranch_execz .LBB4_2448
; %bb.2447:
	s_waitcnt vmcnt(0)
	flat_store_dwordx2 v[22:23], v[44:45] offset:104
.LBB4_2448:
	s_or_b64 exec, exec, s[6:7]
	s_movk_i32 s6, 0x88
	v_and_b32_e32 v0, 0x88, v62
	v_cmp_eq_u32_e32 vcc, s6, v0
	s_and_saveexec_b64 s[6:7], vcc
	s_cbranch_execz .LBB4_2460
; %bb.2449:
	v_add_u32_e32 v0, 6, v44
	v_and_b32_e32 v0, 7, v0
	v_mad_u64_u32 v[0:1], s[10:11], v0, 24, v[48:49]
	v_add_co_u32_e32 v2, vcc, 8, v0
	v_addc_co_u32_e32 v3, vcc, 0, v1, vcc
	s_mov_b64 s[10:11], 0
	v_mov_b32_e32 v0, 0
	s_movk_i32 s24, 0x270e
                                        ; implicit-def: $sgpr12_sgpr13
	s_branch .LBB4_2454
.LBB4_2450:                             ;   in Loop: Header=BB4_2454 Depth=1
	s_or_b64 exec, exec, s[22:23]
	v_mov_b32_e32 v1, 0
	s_orn2_b64 s[20:21], s[20:21], exec
.LBB4_2451:                             ;   in Loop: Header=BB4_2454 Depth=1
	s_or_b64 exec, exec, s[18:19]
	s_and_b64 s[18:19], s[20:21], exec
	v_mov_b32_e32 v0, v1
.LBB4_2452:                             ;   in Loop: Header=BB4_2454 Depth=1
	s_or_b64 exec, exec, s[16:17]
	s_xor_b64 s[16:17], s[18:19], -1
	s_andn2_b64 s[12:13], s[12:13], exec
	s_and_b64 s[16:17], s[16:17], exec
	s_or_b64 s[12:13], s[12:13], s[16:17]
.LBB4_2453:                             ;   in Loop: Header=BB4_2454 Depth=1
	s_or_b64 exec, exec, s[14:15]
	s_and_b64 s[14:15], exec, s[12:13]
	s_or_b64 s[10:11], s[14:15], s[10:11]
	s_andn2_b64 exec, exec, s[10:11]
	s_cbranch_execz .LBB4_2459
.LBB4_2454:                             ; =>This Inner Loop Header: Depth=1
	flat_load_dwordx2 v[4:5], v[2:3] glc
	s_waitcnt vmcnt(0)
	s_or_b64 s[12:13], s[12:13], exec
	s_waitcnt lgkmcnt(0)
	v_cmp_ne_u64_e32 vcc, -1, v[4:5]
	s_and_saveexec_b64 s[14:15], vcc
	s_cbranch_execz .LBB4_2453
; %bb.2455:                             ;   in Loop: Header=BB4_2454 Depth=1
	v_and_b32_e32 v1, 64, v62
	v_cmp_eq_u32_e32 vcc, 0, v1
	s_mov_b64 s[18:19], 0
	s_and_saveexec_b64 s[16:17], vcc
	s_cbranch_execz .LBB4_2452
; %bb.2456:                             ;   in Loop: Header=BB4_2454 Depth=1
	v_add_u32_e32 v1, 1, v0
	v_cmp_lt_i32_e32 vcc, s24, v0
	s_mov_b64 s[20:21], -1
	s_and_saveexec_b64 s[18:19], vcc
	s_cbranch_execz .LBB4_2451
; %bb.2457:                             ;   in Loop: Header=BB4_2454 Depth=1
	s_trap 2
	ds_read_b64 v[0:1], v0
	s_waitcnt lgkmcnt(0)
	flat_load_dword v0, v[0:1] glc
	s_waitcnt vmcnt(0) lgkmcnt(0)
	buffer_invl2
	buffer_wbinvl1_vol
	v_cmp_ne_u32_e32 vcc, 0, v0
	s_and_saveexec_b64 s[22:23], vcc
	s_cbranch_execz .LBB4_2450
; %bb.2458:                             ;   in Loop: Header=BB4_2454 Depth=1
	v_or_b32_e32 v62, 64, v62
	s_xor_b64 s[20:21], exec, -1
	ds_write_b32 v0, v0
	s_trap 2
	s_branch .LBB4_2450
.LBB4_2459:
	s_or_b64 exec, exec, s[10:11]
.LBB4_2460:
	s_or_b64 exec, exec, s[6:7]
	v_and_b32_e32 v0, 0x2000, v62
	v_cmp_ne_u32_e32 vcc, 0, v0
	s_and_saveexec_b64 s[6:7], vcc
	s_cbranch_execz .LBB4_2462
; %bb.2461:
	s_trap 2
	ds_read_b64 v[0:1], v0
	buffer_load_dword v2, off, s[0:3], s33 offset:312 ; 4-byte Folded Reload
	buffer_load_dword v3, off, s[0:3], s33 offset:316 ; 4-byte Folded Reload
	s_waitcnt vmcnt(0) lgkmcnt(0)
	flat_store_dwordx2 v[2:3], v[0:1] offset:16
.LBB4_2462:
	s_or_b64 exec, exec, s[6:7]
	s_waitcnt vmcnt(0)
	v_cmp_ne_u32_e32 vcc, 64, v18
	s_and_b64 exec, exec, vcc
	s_cbranch_execz .LBB4_2480
; %bb.2463:
	v_cmp_ne_u32_sdwa s[6:7], v19, v18 src0_sel:WORD_0 src1_sel:DWORD
	s_and_saveexec_b64 s[10:11], s[6:7]
	s_xor_b64 s[6:7], exec, s[10:11]
	s_cbranch_execz .LBB4_2478
; %bb.2464:
	v_and_b32_e32 v0, 63, v31
	v_cmp_eq_u32_e32 vcc, 0, v0
	s_and_saveexec_b64 s[10:11], vcc
	s_cbranch_execz .LBB4_2477
; %bb.2465:
	s_mov_b64 s[14:15], exec
	v_mbcnt_lo_u32_b32 v0, s14, 0
	v_mbcnt_hi_u32_b32 v0, s15, v0
	v_cmp_eq_u32_e32 vcc, 0, v0
	s_waitcnt lgkmcnt(0)
	buffer_wbinvl1_vol
	s_and_saveexec_b64 s[12:13], vcc
	s_cbranch_execz .LBB4_2467
; %bb.2466:
	s_bcnt1_i32_b64 s14, s[14:15]
	v_mov_b32_e32 v0, s14
	v_mov_b32_e32 v1, 0
	ds_add_u64 v0, v[0:1]
	s_trap 2
.LBB4_2467:
	s_or_b64 exec, exec, s[12:13]
	v_ashrrev_i32_e32 v0, 31, v18
	v_lshrrev_b32_e32 v0, 26, v0
	v_add_u32_e32 v0, v18, v0
	v_ashrrev_i32_e32 v0, 6, v0
	s_trap 2
	ds_read_b64 v[2:3], v0
	v_ashrrev_i32_e32 v1, 31, v0
	v_add_co_u32_e32 v0, vcc, v40, v0
	v_addc_co_u32_e32 v1, vcc, v41, v1, vcc
	s_waitcnt lgkmcnt(0)
	v_cmp_lt_u64_e32 vcc, v[2:3], v[0:1]
	s_and_saveexec_b64 s[12:13], vcc
	s_cbranch_execz .LBB4_2476
; %bb.2468:
	s_mov_b32 s26, 0
	s_mov_b64 s[14:15], 0
                                        ; implicit-def: $sgpr16_sgpr17
                                        ; implicit-def: $sgpr18_sgpr19
	s_branch .LBB4_2470
.LBB4_2469:                             ;   in Loop: Header=BB4_2470 Depth=1
	s_or_b64 exec, exec, s[24:25]
	s_and_b64 s[20:21], exec, s[22:23]
	s_or_b64 s[14:15], s[20:21], s[14:15]
	s_andn2_b64 s[16:17], s[16:17], exec
	s_and_b64 s[20:21], s[18:19], exec
	s_or_b64 s[16:17], s[16:17], s[20:21]
	s_andn2_b64 exec, exec, s[14:15]
	s_cbranch_execz .LBB4_2474
.LBB4_2470:                             ; =>This Inner Loop Header: Depth=1
	s_add_i32 s26, s26, 1
	s_cmpk_lg_i32 s26, 0x2710
	s_cselect_b64 s[20:21], -1, 0
	s_and_b64 vcc, exec, s[20:21]
                                        ; implicit-def: $sgpr24_sgpr25
	s_cbranch_vccnz .LBB4_2472
; %bb.2471:                             ;   in Loop: Header=BB4_2470 Depth=1
	s_trap 2
	ds_read_b64 v[2:3], v0
	s_andn2_b64 s[20:21], s[20:21], exec
	s_mov_b32 s26, 0
	s_mov_b64 s[24:25], -1
	s_waitcnt lgkmcnt(0)
	flat_load_dword v2, v[2:3] glc
	s_waitcnt vmcnt(0) lgkmcnt(0)
	buffer_invl2
	buffer_wbinvl1_vol
	v_cmp_eq_u32_e32 vcc, 0, v2
	s_and_b64 s[22:23], vcc, exec
	s_or_b64 s[20:21], s[20:21], s[22:23]
.LBB4_2472:                             ;   in Loop: Header=BB4_2470 Depth=1
	s_andn2_b64 s[18:19], s[18:19], exec
	s_and_b64 s[24:25], s[24:25], exec
	s_mov_b64 s[22:23], -1
	s_or_b64 s[18:19], s[18:19], s[24:25]
	s_and_saveexec_b64 s[24:25], s[20:21]
	s_cbranch_execz .LBB4_2469
; %bb.2473:                             ;   in Loop: Header=BB4_2470 Depth=1
	s_sleep 1
	s_trap 2
	ds_read_b64 v[2:3], v0
	s_andn2_b64 s[18:19], s[18:19], exec
	s_waitcnt lgkmcnt(0)
	v_cmp_ge_u64_e32 vcc, v[2:3], v[0:1]
	s_orn2_b64 s[22:23], vcc, exec
	s_branch .LBB4_2469
.LBB4_2474:
	s_or_b64 exec, exec, s[14:15]
	s_and_saveexec_b64 s[14:15], s[16:17]
	s_xor_b64 s[14:15], exec, s[14:15]
	s_cbranch_execz .LBB4_2476
; %bb.2475:
	v_mov_b32_e32 v0, 1
	ds_write_b32 v0, v0
	s_trap 2
.LBB4_2476:
	s_or_b64 exec, exec, s[12:13]
	;;#ASMSTART
	s_wakeup
	;;#ASMEND
.LBB4_2477:
	s_or_b64 exec, exec, s[10:11]
.LBB4_2478:
	s_andn2_saveexec_b64 s[6:7], s[6:7]
	s_cbranch_execz .LBB4_2480
; %bb.2479:
	s_waitcnt lgkmcnt(0)
	buffer_wbinvl1_vol
	s_barrier
.LBB4_2480:
	s_or_b64 exec, exec, s[4:5]
.LBB4_2481:
	s_andn2_saveexec_b64 s[26:27], s[38:39]
	s_cbranch_execz .LBB4_2483
; %bb.2482:
	s_getpc_b64 s[4:5]
	s_add_u32 s4, s4, __PRETTY_FUNCTION__._ZN10PrimitivesI12hip_bfloat1610FuncMinMaxIS0_E12FanSymmetricILi1EELi0E11ProtoSimpleILi2ELi2ELi0ELi1ELi0ELi0EELi0ELb0ELi0ELi1ELi0EEC2EiiPKiS9_PKvPvmhhhP15ncclDevWorkCollP14ncclDevWorkP2pii@rel32@lo+4
	s_addc_u32 s5, s5, __PRETTY_FUNCTION__._ZN10PrimitivesI12hip_bfloat1610FuncMinMaxIS0_E12FanSymmetricILi1EELi0E11ProtoSimpleILi2ELi2ELi0ELi1ELi0ELi0EELi0ELb0ELi0ELi1ELi0EEC2EiiPKiS9_PKvPvmhhhP15ncclDevWorkCollP14ncclDevWorkP2pii@rel32@hi+12
	v_mov_b32_e32 v0, s4
	v_mov_b32_e32 v1, s5
	s_getpc_b64 s[6:7]
	s_add_u32 s6, s6, __assert_fail@rel32@lo+4
	s_addc_u32 s7, s7, __assert_fail@rel32@hi+12
	s_swappc_b64 s[30:31], s[6:7]
	; divergent unreachable
.LBB4_2483:
	s_or_b64 exec, exec, s[26:27]
	buffer_load_dword a63, off, s[0:3], s33 ; 4-byte Folded Reload
	buffer_load_dword a62, off, s[0:3], s33 offset:4 ; 4-byte Folded Reload
	buffer_load_dword a61, off, s[0:3], s33 offset:8 ; 4-byte Folded Reload
	;; [unrolled: 1-line block ×38, first 2 shown]
	s_waitcnt lgkmcnt(0)
	buffer_load_dword v47, off, s[0:3], s33 offset:156 ; 4-byte Folded Reload
	buffer_load_dword v46, off, s[0:3], s33 offset:160 ; 4-byte Folded Reload
	;; [unrolled: 1-line block ×9, first 2 shown]
	v_readlane_b32 s30, v63, 62
	v_readlane_b32 s31, v63, 63
	;; [unrolled: 1-line block ×64, first 2 shown]
	s_waitcnt vmcnt(0)
	v_readfirstlane_b32 s4, v0
	s_or_saveexec_b64 s[6:7], -1
	buffer_load_dword v63, off, s[0:3], s33 offset:320 ; 4-byte Folded Reload
	s_mov_b64 exec, s[6:7]
	s_addk_i32 s32, 0xac00
	s_mov_b32 s33, s4
	s_waitcnt vmcnt(0)
	s_setpc_b64 s[30:31]
.Lfunc_end4:
	.size	_ZN12_GLOBAL__N_17runRingI12hip_bfloat1610FuncMinMaxIS1_E11ProtoSimpleILi2ELi2ELi0ELi1ELi0ELi0EELi0ELi0ELi1ELi1EEEviiP15ncclDevWorkColl, .Lfunc_end4-_ZN12_GLOBAL__N_17runRingI12hip_bfloat1610FuncMinMaxIS1_E11ProtoSimpleILi2ELi2ELi0ELi1ELi0ELi0EELi0ELi0ELi1ELi1EEEviiP15ncclDevWorkColl
                                        ; -- End function
	.section	.AMDGPU.csdata,"",@progbits
; Function info:
; codeLenInByte = 76612
; NumSgprs: 100
; NumVgprs: 64
; NumAgprs: 64
; TotalNumVgprs: 128
; ScratchSize: 400
; MemoryBound: 1
	.text
	.p2align	2                               ; -- Begin function _Z51ncclDevFunc_AllReduce_RING_SIMPLE_MinMax_bf16_0_1_1v
	.type	_Z51ncclDevFunc_AllReduce_RING_SIMPLE_MinMax_bf16_0_1_1v,@function
_Z51ncclDevFunc_AllReduce_RING_SIMPLE_MinMax_bf16_0_1_1v: ; @_Z51ncclDevFunc_AllReduce_RING_SIMPLE_MinMax_bf16_0_1_1v
; %bb.0:
	s_waitcnt vmcnt(0) expcnt(0) lgkmcnt(0)
	s_mov_b32 s4, s33
	s_mov_b32 s33, s32
	s_or_saveexec_b64 s[6:7], -1
	buffer_store_dword a32, off, s[0:3], s33 offset:12 ; 4-byte Folded Spill
	buffer_store_dword v63, off, s[0:3], s33 offset:16 ; 4-byte Folded Spill
	;; [unrolled: 1-line block ×5, first 2 shown]
	s_mov_b64 exec, s[6:7]
	v_writelane_b32 v45, s4, 6
	v_writelane_b32 v45, s100, 4
	;; [unrolled: 1-line block ×3, first 2 shown]
	s_addk_i32 s32, 0xc00
	buffer_store_dword v40, off, s[0:3], s33 offset:8 ; 4-byte Folded Spill
	buffer_store_dword v41, off, s[0:3], s33 offset:4 ; 4-byte Folded Spill
	buffer_store_dword v42, off, s[0:3], s33 ; 4-byte Folded Spill
	v_writelane_b32 v44, s34, 0
	v_writelane_b32 v44, s35, 1
	v_writelane_b32 v44, s36, 2
	v_writelane_b32 v44, s37, 3
	v_writelane_b32 v44, s38, 4
	v_writelane_b32 v44, s39, 5
	v_writelane_b32 v44, s40, 6
	v_writelane_b32 v44, s41, 7
	v_writelane_b32 v44, s42, 8
	v_writelane_b32 v44, s43, 9
	v_writelane_b32 v44, s44, 10
	v_writelane_b32 v44, s45, 11
	v_writelane_b32 v44, s46, 12
	v_writelane_b32 v44, s47, 13
	v_writelane_b32 v44, s48, 14
	v_writelane_b32 v44, s49, 15
	v_writelane_b32 v44, s50, 16
	v_writelane_b32 v44, s51, 17
	v_writelane_b32 v44, s52, 18
	v_writelane_b32 v44, s53, 19
	v_writelane_b32 v44, s54, 20
	v_writelane_b32 v44, s55, 21
	v_writelane_b32 v44, s56, 22
	v_writelane_b32 v44, s57, 23
	v_writelane_b32 v44, s58, 24
	v_writelane_b32 v44, s59, 25
	v_writelane_b32 v44, s60, 26
	v_writelane_b32 v44, s61, 27
	v_writelane_b32 v44, s62, 28
	v_writelane_b32 v44, s63, 29
	v_writelane_b32 v44, s64, 30
	v_writelane_b32 v44, s65, 31
	v_writelane_b32 v44, s66, 32
	v_writelane_b32 v44, s67, 33
	v_writelane_b32 v44, s68, 34
	v_writelane_b32 v44, s69, 35
	v_writelane_b32 v44, s70, 36
	v_writelane_b32 v44, s71, 37
	v_writelane_b32 v44, s72, 38
	v_writelane_b32 v44, s73, 39
	v_writelane_b32 v44, s74, 40
	v_writelane_b32 v44, s75, 41
	v_writelane_b32 v44, s76, 42
	v_writelane_b32 v44, s77, 43
	v_writelane_b32 v44, s78, 44
	v_writelane_b32 v44, s79, 45
	v_writelane_b32 v44, s80, 46
	v_writelane_b32 v44, s81, 47
	v_writelane_b32 v44, s82, 48
	v_writelane_b32 v44, s83, 49
	v_writelane_b32 v44, s84, 50
	v_writelane_b32 v44, s85, 51
	v_writelane_b32 v44, s86, 52
	v_writelane_b32 v44, s87, 53
	v_writelane_b32 v44, s88, 54
	v_writelane_b32 v44, s89, 55
	v_writelane_b32 v44, s90, 56
	v_writelane_b32 v44, s91, 57
	v_writelane_b32 v44, s92, 58
	v_writelane_b32 v44, s93, 59
	v_writelane_b32 v44, s94, 60
	v_writelane_b32 v44, s95, 61
	v_writelane_b32 v44, s96, 62
	v_writelane_b32 v44, s97, 63
	v_writelane_b32 v45, s98, 0
	v_writelane_b32 v45, s99, 1
	v_writelane_b32 v45, s30, 2
	v_writelane_b32 v45, s31, 3
                                        ; implicit-def: $vgpr43 : SGPR spill to VGPR lane
	v_mov_b32_e32 v40, v31
	s_mov_b32 s97, s12
	v_writelane_b32 v43, s8, 0
	v_writelane_b32 v43, s9, 1
	s_or_saveexec_b64 s[100:101], -1
	v_accvgpr_write_b32 a32, v43
	s_mov_b64 exec, s[100:101]
	s_trap 2
	ds_read_b32 v0, v0
	v_and_b32_e32 v41, 0x3ff, v40
	s_waitcnt lgkmcnt(0)
	v_cmp_lt_i32_e32 vcc, v41, v0
	s_and_saveexec_b64 s[4:5], vcc
	s_cbranch_execz .LBB5_5
; %bb.1:
	s_or_saveexec_b64 s[100:101], -1
	v_accvgpr_read_b32 v43, a32
	s_mov_b64 exec, s[100:101]
	v_readlane_b32 s8, v43, 0
	v_readlane_b32 s9, v43, 1
	s_load_dword s6, s[8:9], 0x0
	v_mov_b32_e32 v1, 0
	s_mov_b32 s10, 0
	v_mov_b32_e32 v4, v41
                                        ; implicit-def: $vgpr2
	s_waitcnt lgkmcnt(0)
	s_cmp_lt_u32 s97, s6
	s_cselect_b32 s6, 12, 18
	s_add_u32 s6, s8, s6
	s_addc_u32 s7, s9, 0
	global_load_ushort v1, v1, s[6:7]
	s_trap 2
	ds_read_b32 v3, v0
	s_mov_b64 s[6:7], 0
	s_waitcnt vmcnt(0) lgkmcnt(0)
	v_mul_lo_u32 v3, v3, v1
	s_branch .LBB5_3
.LBB5_2:                                ;   in Loop: Header=BB5_3 Depth=1
	s_or_b64 exec, exec, s[8:9]
	v_add_u32_e32 v4, v4, v1
	v_cmp_ge_i32_e32 vcc, v4, v0
	s_or_b64 s[6:7], vcc, s[6:7]
	v_add_u32_e32 v2, v2, v3
	s_andn2_b64 exec, exec, s[6:7]
	s_cbranch_execz .LBB5_5
.LBB5_3:                                ; =>This Inner Loop Header: Depth=1
	ds_read_b32 v5, v2
	s_waitcnt lgkmcnt(0)
	v_and_b32_e32 v5, 0x1000000, v5
	v_cmp_ne_u32_e32 vcc, 0, v5
	s_and_saveexec_b64 s[8:9], vcc
	s_cbranch_execz .LBB5_2
; %bb.4:                                ;   in Loop: Header=BB5_3 Depth=1
	ds_read_b64 v[6:7], v2 offset:104
	s_waitcnt lgkmcnt(0)
	flat_load_ushort v5, v[6:7]
	v_mov_b32_e32 v7, s10
	s_waitcnt vmcnt(0) lgkmcnt(0)
	v_and_b32_e32 v6, 0xffff, v5
	ds_write_b64 v2, v[6:7] offset:104
	s_branch .LBB5_2
.LBB5_5:
	s_or_b64 exec, exec, s[4:5]
	s_waitcnt lgkmcnt(0)
	s_barrier
	s_trap 2
	ds_read_b32 v0, v0
	s_waitcnt lgkmcnt(0)
	v_cmp_gt_i32_e32 vcc, 1, v0
	s_cbranch_vccnz .LBB5_13
; %bb.6:
	s_mov_b32 s96, 0
	v_mov_b32_e32 v42, 6
	s_branch .LBB5_8
.LBB5_7:                                ;   in Loop: Header=BB5_8 Depth=1
	s_or_b64 exec, exec, s[98:99]
	s_trap 2
	ds_read_b32 v0, v0
	s_add_i32 s96, s96, 1
	s_waitcnt lgkmcnt(0)
	v_cmp_lt_i32_e32 vcc, s96, v0
	s_cbranch_vccz .LBB5_13
.LBB5_8:                                ; =>This Inner Loop Header: Depth=1
	s_trap 2
	ds_read_b32 v0, v0
	s_cmp_eq_u32 s96, 0
	s_cbranch_scc1 .LBB5_11
; %bb.9:                                ;   in Loop: Header=BB5_8 Depth=1
	s_trap 2
	s_waitcnt lgkmcnt(0)
	ds_read_b32 v1, v0
	s_waitcnt lgkmcnt(0)
	v_xor_b32_e32 v1, v1, v0
	v_and_b32_e32 v1, 0xff0000, v1
	v_cmp_eq_u32_e32 vcc, 0, v1
	s_cbranch_vccnz .LBB5_11
; %bb.10:                               ;   in Loop: Header=BB5_8 Depth=1
	s_barrier
	ds_read_b32 v0, v0
.LBB5_11:                               ;   in Loop: Header=BB5_8 Depth=1
	s_waitcnt lgkmcnt(0)
	v_lshlrev_b32_sdwa v1, v42, v0 dst_sel:DWORD dst_unused:UNUSED_PAD src0_sel:DWORD src1_sel:BYTE_2
	v_cmp_lt_u32_e32 vcc, v41, v1
	s_and_saveexec_b64 s[98:99], vcc
	s_cbranch_execz .LBB5_7
; %bb.12:                               ;   in Loop: Header=BB5_8 Depth=1
	s_getpc_b64 s[4:5]
	s_add_u32 s4, s4, _ZN12_GLOBAL__N_17runRingI12hip_bfloat1610FuncMinMaxIS1_E11ProtoSimpleILi2ELi2ELi0ELi1ELi0ELi0EELi0ELi0ELi1ELi1EEEviiP15ncclDevWorkColl@rel32@lo+4
	s_addc_u32 s5, s5, _ZN12_GLOBAL__N_17runRingI12hip_bfloat1610FuncMinMaxIS1_E11ProtoSimpleILi2ELi2ELi0ELi1ELi0ELi0EELi0ELi0ELi1ELi1EEEviiP15ncclDevWorkColl@rel32@hi+12
	s_or_saveexec_b64 s[100:101], -1
	v_accvgpr_read_b32 v43, a32
	s_mov_b64 exec, s[100:101]
	v_readlane_b32 s8, v43, 0
	s_mov_b64 s[6:7], src_shared_base
	v_readlane_b32 s9, v43, 1
	s_mov_b32 s12, s97
	v_mov_b32_e32 v31, v40
	v_mov_b32_e32 v0, v41
	;; [unrolled: 1-line block ×3, first 2 shown]
	s_swappc_b64 s[30:31], s[4:5]
	s_branch .LBB5_7
.LBB5_13:
	buffer_load_dword v42, off, s[0:3], s33 ; 4-byte Folded Reload
	buffer_load_dword v41, off, s[0:3], s33 offset:4 ; 4-byte Folded Reload
	buffer_load_dword v40, off, s[0:3], s33 offset:8 ; 4-byte Folded Reload
	v_readlane_b32 s30, v45, 2
	v_readlane_b32 s31, v45, 3
	;; [unrolled: 1-line block ×71, first 2 shown]
	s_or_saveexec_b64 s[6:7], -1
	buffer_load_dword a32, off, s[0:3], s33 offset:12 ; 4-byte Folded Reload
	buffer_load_dword v63, off, s[0:3], s33 offset:16 ; 4-byte Folded Reload
	;; [unrolled: 1-line block ×5, first 2 shown]
	s_mov_b64 exec, s[6:7]
	s_addk_i32 s32, 0xf400
	s_mov_b32 s33, s4
	s_waitcnt vmcnt(0)
	s_setpc_b64 s[30:31]
.Lfunc_end5:
	.size	_Z51ncclDevFunc_AllReduce_RING_SIMPLE_MinMax_bf16_0_1_1v, .Lfunc_end5-_Z51ncclDevFunc_AllReduce_RING_SIMPLE_MinMax_bf16_0_1_1v
                                        ; -- End function
	.section	.AMDGPU.csdata,"",@progbits
; Function info:
; codeLenInByte = 1864
; NumSgprs: 106
; NumVgprs: 64
; NumAgprs: 64
; TotalNumVgprs: 128
; ScratchSize: 448
; MemoryBound: 0
	.text
	.p2align	2                               ; -- Begin function _ZN12_GLOBAL__N_17runRingI12hip_bfloat1610FuncMinMaxIS1_E11ProtoSimpleILi2ELi2ELi0ELi2ELi0ELi0EELi0ELi0ELi2ELi0EEEviiP15ncclDevWorkColl
	.type	_ZN12_GLOBAL__N_17runRingI12hip_bfloat1610FuncMinMaxIS1_E11ProtoSimpleILi2ELi2ELi0ELi2ELi0ELi0EELi0ELi0ELi2ELi0EEEviiP15ncclDevWorkColl,@function
_ZN12_GLOBAL__N_17runRingI12hip_bfloat1610FuncMinMaxIS1_E11ProtoSimpleILi2ELi2ELi0ELi2ELi0ELi0EELi0ELi0ELi2ELi0EEEviiP15ncclDevWorkColl: ; @_ZN12_GLOBAL__N_17runRingI12hip_bfloat1610FuncMinMaxIS1_E11ProtoSimpleILi2ELi2ELi0ELi2ELi0ELi0EELi0ELi0ELi2ELi0EEEviiP15ncclDevWorkColl
; %bb.0:
	s_waitcnt vmcnt(0) expcnt(0) lgkmcnt(0)
	s_mov_b32 s4, s33
	s_mov_b32 s33, s32
	s_or_saveexec_b64 s[6:7], -1
	buffer_store_dword v63, off, s[0:3], s33 offset:68 ; 4-byte Folded Spill
	s_mov_b64 exec, s[6:7]
	v_writelane_b32 v63, s4, 60
	s_addk_i32 s32, 0x1400
	buffer_store_dword v40, off, s[0:3], s33 offset:64 ; 4-byte Folded Spill
	buffer_store_dword v41, off, s[0:3], s33 offset:60 ; 4-byte Folded Spill
	;; [unrolled: 1-line block ×16, first 2 shown]
	buffer_store_dword a33, off, s[0:3], s33 ; 4-byte Folded Spill
	v_writelane_b32 v63, s34, 0
	v_writelane_b32 v63, s35, 1
	;; [unrolled: 1-line block ×60, first 2 shown]
	v_mov_b32_e32 v18, v1
	s_trap 2
	flat_load_dword v1, v[2:3]
	ds_read_b32 v6, v0
	v_mov_b32_e32 v56, v0
                                        ; implicit-def: $vgpr4_vgpr5
                                        ; implicit-def: $agpr4_agpr5
                                        ; implicit-def: $vgpr8_vgpr9
	s_waitcnt lgkmcnt(0)
	v_readfirstlane_b32 s72, v6
	s_waitcnt vmcnt(0)
	v_cmp_ne_u32_sdwa s[4:5], v1, v6 src0_sel:BYTE_0 src1_sel:DWORD
	s_and_saveexec_b64 s[6:7], s[4:5]
	s_xor_b64 s[4:5], exec, s[6:7]
	s_cbranch_execz .LBB6_6
; %bb.1:
	v_not_b32_sdwa v0, v1 dst_sel:DWORD dst_unused:UNUSED_PAD src0_sel:BYTE_0
	v_cmp_ne_u32_sdwa s[6:7], v1, v6 src0_sel:BYTE_1 src1_sel:DWORD
                                        ; implicit-def: $vgpr4_vgpr5
                                        ; implicit-def: $agpr4_agpr5
                                        ; implicit-def: $vgpr8_vgpr9
	s_and_saveexec_b64 s[10:11], s[6:7]
	s_xor_b64 s[6:7], exec, s[10:11]
	s_cbranch_execz .LBB6_3
; %bb.2:
	flat_load_dwordx4 v[8:11], v[2:3] offset:72
	flat_load_dwordx2 v[4:5], v[2:3] offset:96
	v_add_u32_e32 v0, v6, v0
	v_ashrrev_i32_e32 v1, 31, v0
	s_waitcnt vmcnt(0) lgkmcnt(0)
	v_mul_lo_u32 v1, v10, v1
	v_mad_u64_u32 v[6:7], s[10:11], v10, v0, v[8:9]
	v_mul_lo_u32 v0, v11, v0
	v_add3_u32 v7, v0, v7, v1
	v_accvgpr_write_b32 a4, v6
	v_lshrrev_b64 v[4:5], 13, v[4:5]
	v_accvgpr_write_b32 a5, v7
	v_pk_mov_b32 v[8:9], v[10:11], v[10:11] op_sel:[0,1]
                                        ; implicit-def: $vgpr1
                                        ; implicit-def: $vgpr0
.LBB6_3:
	s_andn2_saveexec_b64 s[6:7], s[6:7]
	s_cbranch_execz .LBB6_5
; %bb.4:
	flat_load_dwordx4 v[4:7], v[2:3] offset:72
	flat_load_dwordx4 v[8:11], v[2:3] offset:88
	v_add_u32_sdwa v0, v1, v0 dst_sel:DWORD dst_unused:UNUSED_PAD src0_sel:BYTE_1 src1_sel:DWORD
	v_ashrrev_i32_e32 v1, 31, v0
	s_waitcnt vmcnt(0) lgkmcnt(0)
	v_mul_lo_u32 v1, v6, v1
	v_mad_u64_u32 v[4:5], s[10:11], v6, v0, v[4:5]
	v_mul_lo_u32 v0, v7, v0
	v_add3_u32 v5, v0, v5, v1
	v_accvgpr_write_b32 a4, v4
	v_accvgpr_write_b32 a5, v5
	v_lshrrev_b32_e32 v4, 2, v11
.LBB6_5:
	s_or_b64 exec, exec, s[6:7]
.LBB6_6:
	s_andn2_saveexec_b64 s[4:5], s[4:5]
	s_cbranch_execz .LBB6_8
; %bb.7:
	flat_load_dwordx2 v[0:1], v[2:3] offset:96
	flat_load_dwordx2 v[8:9], v[2:3] offset:72
	s_waitcnt vmcnt(0) lgkmcnt(0)
	v_lshlrev_b64 v[4:5], 8, v[0:1]
	v_pk_mov_b32 v[0:1], 0, 0
	v_accvgpr_write_b32 a5, v1
	v_accvgpr_write_b32 a4, v0
.LBB6_8:
	s_or_b64 exec, exec, s[4:5]
	s_trap 2
	ds_read_b64 v[0:1], v0
	s_waitcnt lgkmcnt(0)
	v_cmp_ne_u32_e32 vcc, -1, v0
	v_cndmask_b32_e64 v0, 0, 1, vcc
	v_cmp_ne_u32_e32 vcc, -1, v1
	v_addc_co_u32_e64 v1, s[4:5], 0, v0, vcc
	v_lshlrev_b32_e32 v5, 1, v1
	v_cmp_le_i32_e64 s[4:5], v5, v18
	s_and_saveexec_b64 s[6:7], s[4:5]
	s_xor_b64 s[40:41], exec, s[6:7]
	s_cbranch_execz .LBB6_1605
; %bb.9:
	flat_load_dwordx2 v[14:15], v[2:3] offset:104
	flat_load_dwordx4 v[10:13], v[2:3] offset:16
	flat_load_ushort v7, v[2:3] offset:8
	flat_load_dword v6, v[2:3] offset:4
	s_trap 2
	s_load_dword s4, s[8:9], 0x0
	v_mov_b32_e32 v5, 0
	v_accvgpr_write_b32 a6, v8
	v_accvgpr_write_b32 a7, v9
	v_mov_b32_e32 v62, 4
	s_waitcnt lgkmcnt(0)
	s_cmp_lt_u32 s12, s4
	s_cselect_b32 s4, 12, 18
	s_add_u32 s4, s8, s4
	s_addc_u32 s5, s9, 0
	global_load_ushort v19, v5, s[4:5]
	ds_read_b32 v5, v0
	v_cmp_ge_i32_e64 s[4:5], v56, v0
	s_waitcnt lgkmcnt(0)
	v_readfirstlane_b32 s18, v5
	s_and_saveexec_b64 s[6:7], s[4:5]
	s_cbranch_execz .LBB6_19
; %bb.10:
	v_cmp_le_u32_e64 s[4:5], v1, v56
                                        ; implicit-def: $vgpr62
	s_and_saveexec_b64 s[10:11], s[4:5]
	s_xor_b64 s[4:5], exec, s[10:11]
	s_cbranch_execz .LBB6_16
; %bb.11:
	v_cndmask_b32_e64 v5, 0, 1, vcc
	v_sub_u32_e32 v5, v18, v5
	v_cmp_ge_u32_e32 vcc, v56, v5
                                        ; implicit-def: $sgpr12
	s_and_saveexec_b64 s[10:11], vcc
	s_xor_b64 s[10:11], exec, s[10:11]
; %bb.12:
	s_mov_b32 s12, 16
                                        ; implicit-def: $vgpr1
; %bb.13:
	s_or_saveexec_b64 s[10:11], s[10:11]
	v_mov_b32_e32 v62, s12
	s_xor_b64 exec, exec, s[10:11]
; %bb.14:
	v_sub_u32_e32 v1, v18, v1
	v_cmp_ge_i32_e32 vcc, v56, v1
	v_cndmask_b32_e64 v1, 0, 1, vcc
	v_lshlrev_b32_e32 v62, 5, v1
; %bb.15:
	s_or_b64 exec, exec, s[10:11]
.LBB6_16:
	s_andn2_saveexec_b64 s[4:5], s[4:5]
; %bb.17:
	v_mov_b32_e32 v62, 8
; %bb.18:
	s_or_b64 exec, exec, s[4:5]
.LBB6_19:
	s_or_b64 exec, exec, s[6:7]
	v_and_b32_e32 v1, 36, v62
	v_cmp_ne_u32_e32 vcc, 0, v1
	v_mov_b32_e32 v8, -1
	s_and_saveexec_b64 s[4:5], vcc
	s_cbranch_execz .LBB6_21
; %bb.20:
	s_trap 2
	ds_read_b32 v8, v0
.LBB6_21:
	s_or_b64 exec, exec, s[4:5]
	v_and_b32_e32 v1, 24, v62
	v_cmp_ne_u32_e64 s[4:5], 0, v1
	s_and_saveexec_b64 s[6:7], s[4:5]
	s_cbranch_execz .LBB6_23
; %bb.22:
	s_trap 2
	s_waitcnt lgkmcnt(0)
	ds_read_b32 v8, v0
.LBB6_23:
	s_or_b64 exec, exec, s[6:7]
	s_waitcnt vmcnt(0)
	v_lshrrev_b64 v[6:7], 31, v[6:7]
	v_pk_mov_b32 v[20:21], 0, 0
	v_and_b32_e32 v1, 3, v6
	v_pk_mov_b32 v[6:7], v[20:21], v[20:21] op_sel:[0,1]
                                        ; implicit-def: $agpr8_agpr9
                                        ; implicit-def: $vgpr30
                                        ; implicit-def: $vgpr32_vgpr33
                                        ; implicit-def: $vgpr36_vgpr37
                                        ; implicit-def: $vgpr50_vgpr51
                                        ; implicit-def: $vgpr34_vgpr35
	s_and_saveexec_b64 s[4:5], vcc
	s_cbranch_execz .LBB6_33
; %bb.24:
	s_trap 2
	ds_read_b64 v[6:7], v0
	s_waitcnt lgkmcnt(1)
	v_ashrrev_i32_e32 v9, 31, v8
	v_lshlrev_b64 v[16:17], 3, v[8:9]
	v_and_b32_e32 v5, 0xffff, v1
	s_movk_i32 s6, 0xa8
	s_waitcnt lgkmcnt(0)
	v_add_co_u32_e32 v6, vcc, v6, v16
	v_addc_co_u32_e32 v7, vcc, v7, v17, vcc
	flat_load_dwordx2 v[6:7], v[6:7]
                                        ; implicit-def: $agpr8_agpr9
	s_waitcnt vmcnt(0) lgkmcnt(0)
	v_mad_u64_u32 v[6:7], s[6:7], v5, s6, v[6:7]
	flat_load_dword v5, v[6:7] offset:640
	v_add_co_u32_e32 v20, vcc, 0x1f8, v6
	v_addc_co_u32_e32 v21, vcc, 0, v7, vcc
	s_waitcnt vmcnt(0) lgkmcnt(0)
	v_cmp_eq_u32_e32 vcc, 1, v5
	s_and_saveexec_b64 s[6:7], vcc
	s_cbranch_execz .LBB6_26
; %bb.25:
	flat_load_dwordx2 v[16:17], v[20:21] offset:144
	v_or_b32_e32 v62, 0x2000, v62
	s_waitcnt vmcnt(0) lgkmcnt(0)
	flat_load_dwordx2 v[6:7], v[16:17]
	s_trap 2
	v_accvgpr_write_b32 a8, v16
	v_accvgpr_write_b32 a9, v17
	s_waitcnt vmcnt(0) lgkmcnt(0)
	ds_write_b64 v0, v[6:7]
	flat_load_dwordx2 v[6:7], v[16:17] offset:8
	s_waitcnt vmcnt(0) lgkmcnt(0)
	ds_write_b64 v0, v[6:7]
	flat_load_dwordx2 v[6:7], v[16:17] offset:16
	s_waitcnt vmcnt(0) lgkmcnt(0)
	ds_write_b64 v0, v[6:7]
.LBB6_26:
	s_or_b64 exec, exec, s[6:7]
	flat_load_dwordx2 v[6:7], v[20:21] offset:104
	v_and_b32_e32 v5, 32, v62
                                        ; implicit-def: $vgpr34_vgpr35
	s_waitcnt vmcnt(0) lgkmcnt(0)
	v_add_co_u32_e32 v6, vcc, 3, v6
	v_addc_co_u32_e32 v33, vcc, 0, v7, vcc
	v_and_b32_e32 v32, -4, v6
	v_cmp_ne_u32_e32 vcc, 0, v5
	s_and_saveexec_b64 s[6:7], vcc
	s_cbranch_execz .LBB6_28
; %bb.27:
	flat_load_dwordx2 v[34:35], v[20:21] offset:56
	s_waitcnt vmcnt(0) lgkmcnt(0)
	flat_store_dwordx2 v[34:35], v[32:33]
.LBB6_28:
	s_or_b64 exec, exec, s[6:7]
	v_and_b32_e32 v5, 4, v62
	v_cmp_ne_u32_e32 vcc, 0, v5
	v_pk_mov_b32 v[6:7], 0, 0
                                        ; implicit-def: $vgpr30
                                        ; implicit-def: $vgpr36_vgpr37
                                        ; implicit-def: $vgpr50_vgpr51
	s_and_saveexec_b64 s[6:7], vcc
	s_cbranch_execz .LBB6_32
; %bb.29:
	v_and_b32_e32 v5, 0x800, v62
	v_cmp_eq_u32_e32 vcc, 0, v5
	s_and_saveexec_b64 s[10:11], vcc
	s_cbranch_execz .LBB6_31
; %bb.30:
	s_trap 2
	ds_write_b64 v0, v[20:21]
.LBB6_31:
	s_or_b64 exec, exec, s[10:11]
	flat_load_dwordx2 v[34:35], v[20:21] offset:48
	v_or_b32_e32 v9, 0x100, v62
	s_waitcnt vmcnt(0) lgkmcnt(0)
	flat_load_dwordx2 v[50:51], v[34:35] glc
	flat_load_dword v5, v[20:21] offset:72
	flat_load_dwordx2 v[6:7], v[20:21] offset:96
	flat_load_dwordx2 v[36:37], v[20:21] offset:16
	s_waitcnt vmcnt(0) lgkmcnt(0)
	v_ashrrev_i32_e32 v30, 1, v5
	v_cmp_eq_u64_e32 vcc, 0, v[6:7]
	v_cndmask_b32_e32 v62, v9, v62, vcc
.LBB6_32:
	s_or_b64 exec, exec, s[6:7]
.LBB6_33:
	s_or_b64 exec, exec, s[4:5]
	v_and_b32_e32 v5, 24, v62
	v_cmp_ne_u32_e32 vcc, 0, v5
                                        ; implicit-def: $vgpr44_vgpr45
	s_and_saveexec_b64 s[4:5], vcc
	s_cbranch_execz .LBB6_41
; %bb.34:
	s_trap 2
	ds_read_b64 v[6:7], v0
	s_waitcnt lgkmcnt(0)
	v_ashrrev_i32_e32 v9, 31, v8
	v_lshlrev_b64 v[8:9], 3, v[8:9]
	v_and_b32_e32 v1, 0xffff, v1
	s_movk_i32 s6, 0xa8
	v_add_co_u32_e32 v6, vcc, v6, v8
	v_addc_co_u32_e32 v7, vcc, v7, v9, vcc
	flat_load_dwordx2 v[6:7], v[6:7]
                                        ; implicit-def: $vgpr44_vgpr45
	s_waitcnt vmcnt(0) lgkmcnt(0)
	v_mad_u64_u32 v[20:21], s[6:7], v1, s6, v[6:7]
	flat_load_dwordx4 v[6:9], v[20:21] offset:96
	v_or_b32_e32 v1, 0x100, v62
	s_waitcnt vmcnt(0) lgkmcnt(0)
	v_cmp_eq_u64_e32 vcc, 0, v[6:7]
	v_cndmask_b32_e32 v62, v1, v62, vcc
	v_and_b32_e32 v1, 16, v62
	v_cmp_ne_u32_e32 vcc, 0, v1
	s_and_saveexec_b64 s[6:7], vcc
	s_cbranch_execz .LBB6_36
; %bb.35:
	flat_load_dwordx2 v[44:45], v[20:21] offset:120
	flat_load_dwordx2 v[34:35], v[20:21] offset:48
	;; [unrolled: 1-line block ×3, first 2 shown]
.LBB6_36:
	s_or_b64 exec, exec, s[6:7]
	v_add_co_u32_e32 v1, vcc, 3, v8
	v_addc_co_u32_e32 v33, vcc, 0, v9, vcc
	v_and_b32_e32 v32, -4, v1
	v_and_b32_e32 v1, 8, v62
	v_cmp_ne_u32_e32 vcc, 0, v1
	s_and_saveexec_b64 s[6:7], vcc
	s_cbranch_execz .LBB6_40
; %bb.37:
	v_and_b32_e32 v1, 0x800, v62
	v_cmp_eq_u32_e32 vcc, 0, v1
	s_and_saveexec_b64 s[10:11], vcc
	s_cbranch_execz .LBB6_39
; %bb.38:
	s_trap 2
	ds_write_b64 v0, v[20:21]
.LBB6_39:
	s_or_b64 exec, exec, s[10:11]
	s_waitcnt vmcnt(0) lgkmcnt(0)
	flat_load_dwordx2 v[34:35], v[20:21] offset:56
	s_waitcnt vmcnt(0) lgkmcnt(0)
	flat_load_dwordx2 v[50:51], v[34:35] glc
	flat_load_dword v1, v[20:21] offset:72
	flat_load_dwordx2 v[36:37], v[20:21] offset:16
	s_waitcnt vmcnt(0) lgkmcnt(0)
	v_ashrrev_i32_e32 v30, 1, v1
.LBB6_40:
	s_or_b64 exec, exec, s[6:7]
.LBB6_41:
	s_or_b64 exec, exec, s[4:5]
	v_cmp_eq_u32_e64 s[4:5], 0, v56
	s_and_saveexec_b64 s[6:7], s[4:5]
	s_cbranch_execz .LBB6_43
; %bb.42:
	s_waitcnt lgkmcnt(0)
	flat_load_dwordx2 v[8:9], v[2:3] offset:32
	ds_write2_b64 v0, v[12:13], v[10:11] offset1:1
	s_trap 2
	s_waitcnt vmcnt(0) lgkmcnt(0)
	ds_write_b64 v0, v[8:9]
	ds_write_b64 v0, v[14:15]
.LBB6_43:
	s_or_b64 exec, exec, s[6:7]
	v_accvgpr_read_b32 v11, a7
	v_accvgpr_read_b32 v10, a6
	s_mov_b64 s[44:45], 0
	v_cmp_lt_i64_e32 vcc, 0, v[10:11]
	v_pk_mov_b32 v[48:49], 0, 0
	s_and_saveexec_b64 s[42:43], vcc
	s_cbranch_execz .LBB6_1569
; %bb.44:
	flat_load_dword v2, v[2:3] offset:4
	s_ashr_i32 s19, s18, 31
	s_lshr_b32 s19, s19, 29
	s_add_i32 s24, s18, s19
	s_waitcnt lgkmcnt(0)
	v_and_b32_e32 v8, 0x1fffff00, v4
	s_ashr_i32 s73, s72, 31
	s_ashr_i32 s25, s24, 4
	v_and_b32_e32 v1, 63, v31
	v_lshrrev_b32_e32 v54, 6, v18
	v_ashrrev_i32_e32 v3, 31, v56
	v_mov_b32_e32 v4, 0xfffff800
	v_mad_i64_i32 v[60:61], s[16:17], v8, s72, 0
	s_add_u32 s76, s72, -1
	v_mov_b32_e32 v52, 0
	s_movk_i32 s20, 0x800
	v_mov_b32_e32 v5, 0xfffffe00
	v_cmp_eq_u32_e64 s[16:17], 0, v1
	v_lshrrev_b32_e32 v1, 26, v3
	v_lshl_add_u32 v3, v54, 11, v4
	s_addc_u32 s77, s73, -1
	s_add_i32 s78, s72, s72
	s_not_b32 s27, s72
	v_mov_b32_e32 v9, v52
	v_lshlrev_b32_e32 v46, 10, v54
	v_lshl_add_u32 v4, v54, 9, v5
	v_add_u32_e32 v1, v56, v1
	v_ashrrev_i32_e32 v5, 31, v3
	v_add_co_u32_e64 v55, s[18:19], s20, v3
	s_cmp_gt_i32 s72, 0
	v_accvgpr_write_b32 a1, v31
	s_movk_i32 s21, 0x400
	v_accvgpr_write_b32 a27, v9
	v_add_u32_e32 v12, 0xfffffc00, v46
	v_ashrrev_i32_e32 v57, 6, v1
	v_and_b32_e32 v1, 0xffffffc0, v1
	v_addc_co_u32_e64 v31, s[18:19], 0, v5, s[18:19]
	s_cselect_b32 s27, s27, -1
	s_ashr_i32 s24, s24, 31
	v_accvgpr_write_b32 a26, v8
	v_lshlrev_b32_e32 v47, 7, v54
	v_ashrrev_i32_e32 v5, 31, v12
	v_sub_u32_e32 v9, v56, v1
	v_add_co_u32_e64 v1, s[18:19], s21, v12
	s_lshr_b32 s24, s24, 28
	s_movk_i32 s22, 0x80
	s_movk_i32 s26, 0x200
	v_add_u32_e32 v14, 0xffffff80, v47
	v_addc_co_u32_e64 v58, s[18:19], 0, v5, s[18:19]
	s_add_i32 s79, s27, s78
	s_add_i32 s25, s25, s24
	v_ashrrev_i32_e32 v8, 31, v4
	v_add_co_u32_e64 v59, s[18:19], s22, v14
	v_cmp_lt_i32_e64 s[20:21], v9, v0
	v_cmp_le_i32_e64 s[22:23], v9, v0
	s_ashr_i32 s80, s79, 31
	s_ashr_i32 s81, s25, 4
	v_add_co_u32_e64 v27, s[26:27], s26, v4
	s_cmp_gt_i32 s72, 2
	v_addc_co_u32_e64 v42, s[26:27], 0, v8, s[26:27]
	v_lshlrev_b32_e32 v3, 11, v57
	s_cselect_b64 s[50:51], -1, 0
	s_add_i32 s26, s72, 1
	v_accvgpr_write_b32 a12, v12
	v_lshl_add_u32 v12, v9, 4, v3
	v_ashrrev_i32_e32 v39, 31, v14
	v_ashrrev_i32_e32 v13, 31, v12
	v_accvgpr_write_b32 a10, v20
	v_cmp_ge_i32_e32 vcc, v56, v18
	v_ashrrev_i32_e32 v41, 31, v30
	v_addc_co_u32_e64 v26, s[18:19], 0, v39, s[18:19]
	v_accvgpr_write_b32 a23, v13
	s_waitcnt vmcnt(0)
	v_and_b32_e32 v0, 1, v2
	v_cmp_eq_u32_e64 s[24:25], 1, v0
	s_xor_b64 s[52:53], s[24:25], -1
	s_cmp_le_i32 s72, s26
	s_cselect_b32 s27, s72, 0
	s_sub_i32 s82, s26, s27
	v_pk_mov_b32 v[22:23], 0, 0
	v_accvgpr_write_b32 a14, v60
	v_accvgpr_write_b32 a11, v21
	s_mov_b32 s47, 0
	v_cmp_eq_u32_e64 s[6:7], 64, v18
	v_cmp_ne_u32_e64 s[10:11], 64, v18
	v_accvgpr_write_b32 a2, v19
	v_cmp_ne_u32_sdwa s[48:49], v19, v18 src0_sel:WORD_0 src1_sel:DWORD
	v_accvgpr_write_b32 a0, v18
	s_movk_i32 s74, 0xff80
	v_cmp_eq_u64_e64 s[12:13], 0, v[44:45]
	v_cmp_ne_u64_e64 s[14:15], 0, v[44:45]
	s_movk_i32 s75, 0xfe00
	v_accvgpr_write_b32 a19, v5
	v_cmp_gt_i32_e64 s[18:19], 1, v9
	v_accvgpr_write_b32 a18, v9
	v_accvgpr_write_b32 a22, v12
	s_ashr_i32 s83, s82, 31
	s_add_i32 s84, s72, -2
	s_xor_b64 s[54:55], vcc, -1
	s_movk_i32 s85, 0x270e
	v_mov_b32_e32 v40, 1
	s_movk_i32 s86, 0x108
	s_mov_b32 s87, 0x7f800000
	s_movk_i32 s88, 0x7fff
	s_mov_b32 s89, 0xffff0000
	v_pk_mov_b32 v[48:49], v[22:23], v[22:23] op_sel:[0,1]
	v_accvgpr_write_b32 a3, v56
	v_accvgpr_write_b32 a13, v41
	v_accvgpr_write_b32 a15, v61
	v_accvgpr_write_b32 a16, v14
	v_accvgpr_write_b32 a17, v57
	v_accvgpr_write_b32 a21, v39
	s_trap 2
	s_branch .LBB6_47
.LBB6_45:                               ;   in Loop: Header=BB6_47 Depth=1
	s_or_b64 exec, exec, s[30:31]
.LBB6_46:                               ;   in Loop: Header=BB6_47 Depth=1
	s_or_b64 exec, exec, s[28:29]
	v_add_co_u32_e32 v22, vcc, v22, v60
	v_accvgpr_read_b32 v11, a7
	v_addc_co_u32_e32 v23, vcc, v23, v61, vcc
	v_accvgpr_read_b32 v10, a6
	v_cmp_ge_i64_e32 vcc, v[22:23], v[10:11]
	s_or_b64 s[44:45], vcc, s[44:45]
	s_andn2_b64 exec, exec, s[44:45]
	s_cbranch_execz .LBB6_1568
.LBB6_47:                               ; =>This Loop Header: Depth=1
                                        ;     Child Loop BB6_57 Depth 2
                                        ;       Child Loop BB6_65 Depth 3
                                        ;       Child Loop BB6_89 Depth 3
	;; [unrolled: 1-line block ×9, first 2 shown]
                                        ;     Child Loop BB6_199 Depth 2
                                        ;       Child Loop BB6_205 Depth 3
                                        ;       Child Loop BB6_234 Depth 3
	;; [unrolled: 1-line block ×3, first 2 shown]
                                        ;     Child Loop BB6_271 Depth 2
                                        ;       Child Loop BB6_274 Depth 3
                                        ;         Child Loop BB6_282 Depth 4
                                        ;         Child Loop BB6_310 Depth 4
	;; [unrolled: 1-line block ×9, first 2 shown]
                                        ;       Child Loop BB6_536 Depth 3
                                        ;         Child Loop BB6_542 Depth 4
                                        ;         Child Loop BB6_582 Depth 4
	;; [unrolled: 1-line block ×3, first 2 shown]
                                        ;     Child Loop BB6_612 Depth 2
                                        ;       Child Loop BB6_620 Depth 3
                                        ;       Child Loop BB6_648 Depth 3
	;; [unrolled: 1-line block ×9, first 2 shown]
                                        ;         Child Loop BB6_838 Depth 4
                                        ;       Child Loop BB6_848 Depth 3
                                        ;       Child Loop BB6_868 Depth 3
                                        ;         Child Loop BB6_873 Depth 4
                                        ;       Child Loop BB6_695 Depth 3
                                        ;       Child Loop BB6_786 Depth 3
                                        ;     Child Loop BB6_1024 Depth 2
                                        ;       Child Loop BB6_1030 Depth 3
                                        ;       Child Loop BB6_1062 Depth 3
                                        ;       Child Loop BB6_1081 Depth 3
                                        ;     Child Loop BB6_1100 Depth 2
                                        ;       Child Loop BB6_1103 Depth 3
                                        ;         Child Loop BB6_1111 Depth 4
                                        ;         Child Loop BB6_1139 Depth 4
	;; [unrolled: 1-line block ×9, first 2 shown]
                                        ;           Child Loop BB6_1199 Depth 5
                                        ;         Child Loop BB6_1208 Depth 4
                                        ;         Child Loop BB6_1213 Depth 4
                                        ;           Child Loop BB6_1214 Depth 5
                                        ;         Child Loop BB6_1186 Depth 4
                                        ;         Child Loop BB6_1265 Depth 4
                                        ;       Child Loop BB6_1283 Depth 3
                                        ;         Child Loop BB6_1289 Depth 4
                                        ;         Child Loop BB6_1321 Depth 4
	;; [unrolled: 1-line block ×3, first 2 shown]
                                        ;     Child Loop BB6_1362 Depth 2
                                        ;       Child Loop BB6_1370 Depth 3
                                        ;       Child Loop BB6_1394 Depth 3
	;; [unrolled: 1-line block ×9, first 2 shown]
                                        ;     Child Loop BB6_1502 Depth 2
                                        ;       Child Loop BB6_1508 Depth 3
                                        ;       Child Loop BB6_1532 Depth 3
	;; [unrolled: 1-line block ×3, first 2 shown]
	v_sub_co_u32_e32 v2, vcc, v10, v22
	v_subb_co_u32_e32 v3, vcc, v11, v23, vcc
	v_accvgpr_write_b32 a29, v3
	v_accvgpr_write_b32 a28, v2
	v_cmp_lt_i64_e32 vcc, v[2:3], v[60:61]
	s_and_saveexec_b64 s[28:29], vcc
	s_cbranch_execz .LBB6_53
; %bb.48:                               ;   in Loop: Header=BB6_47 Depth=1
	v_accvgpr_read_b32 v2, a28
	v_mov_b32_e32 v0, s77
	v_accvgpr_read_b32 v3, a29
	v_add_co_u32_e32 v4, vcc, s76, v2
	v_addc_co_u32_e32 v5, vcc, v0, v3, vcc
	v_or_b32_e32 v53, s73, v5
	v_cmp_ne_u64_e32 vcc, 0, v[52:53]
                                        ; implicit-def: $vgpr2_vgpr3
	s_and_saveexec_b64 s[26:27], vcc
	s_xor_b64 s[30:31], exec, s[26:27]
	s_cbranch_execz .LBB6_50
; %bb.49:                               ;   in Loop: Header=BB6_47 Depth=1
	s_add_u32 s26, s72, s73
	s_mov_b32 s34, s73
	s_mov_b32 s35, s73
	s_addc_u32 s27, s73, s73
	s_xor_b64 s[36:37], s[26:27], s[34:35]
	v_cvt_f32_u32_e32 v0, s36
	v_cvt_f32_u32_e32 v2, s37
	s_sub_u32 s26, 0, s36
	s_subb_u32 s27, 0, s37
	v_mac_f32_e32 v0, 0x4f800000, v2
	v_rcp_f32_e32 v0, v0
	v_mul_f32_e32 v0, 0x5f7ffffc, v0
	v_mul_f32_e32 v2, 0x2f800000, v0
	v_trunc_f32_e32 v2, v2
	v_mac_f32_e32 v0, 0xcf800000, v2
	v_cvt_u32_f32_e32 v2, v2
	v_cvt_u32_f32_e32 v0, v0
	v_mul_lo_u32 v3, s26, v2
	v_mul_hi_u32 v9, s26, v0
	v_mul_lo_u32 v8, s27, v0
	v_add_u32_e32 v3, v9, v3
	v_mul_lo_u32 v10, s26, v0
	v_add_u32_e32 v3, v3, v8
	v_mul_lo_u32 v9, v0, v3
	v_mul_hi_u32 v11, v0, v10
	v_mul_hi_u32 v8, v0, v3
	v_add_co_u32_e32 v9, vcc, v11, v9
	v_addc_co_u32_e32 v8, vcc, 0, v8, vcc
	v_mul_hi_u32 v12, v2, v10
	v_mul_lo_u32 v10, v2, v10
	v_add_co_u32_e32 v9, vcc, v9, v10
	v_mul_hi_u32 v11, v2, v3
	v_addc_co_u32_e32 v8, vcc, v8, v12, vcc
	v_addc_co_u32_e32 v9, vcc, 0, v11, vcc
	v_mul_lo_u32 v3, v2, v3
	v_add_co_u32_e32 v3, vcc, v8, v3
	v_addc_co_u32_e32 v8, vcc, 0, v9, vcc
	v_add_co_u32_e32 v0, vcc, v0, v3
	v_addc_co_u32_e32 v2, vcc, v2, v8, vcc
	v_mul_lo_u32 v3, s26, v2
	v_mul_hi_u32 v8, s26, v0
	v_add_u32_e32 v3, v8, v3
	v_mul_lo_u32 v8, s27, v0
	v_add_u32_e32 v3, v3, v8
	v_mul_lo_u32 v9, s26, v0
	v_mul_hi_u32 v10, v2, v9
	v_mul_lo_u32 v11, v2, v9
	v_mul_lo_u32 v13, v0, v3
	v_mul_hi_u32 v9, v0, v9
	v_mul_hi_u32 v12, v0, v3
	v_add_co_u32_e32 v9, vcc, v9, v13
	v_addc_co_u32_e32 v12, vcc, 0, v12, vcc
	v_add_co_u32_e32 v9, vcc, v9, v11
	v_mul_hi_u32 v8, v2, v3
	v_addc_co_u32_e32 v9, vcc, v12, v10, vcc
	v_addc_co_u32_e32 v8, vcc, 0, v8, vcc
	v_mul_lo_u32 v3, v2, v3
	v_add_co_u32_e32 v3, vcc, v9, v3
	v_addc_co_u32_e32 v8, vcc, 0, v8, vcc
	v_add_co_u32_e32 v0, vcc, v0, v3
	v_addc_co_u32_e32 v8, vcc, v2, v8, vcc
	v_ashrrev_i32_e32 v9, 31, v5
	v_add_co_u32_e32 v2, vcc, v4, v9
	v_addc_co_u32_e32 v3, vcc, v5, v9, vcc
	v_xor_b32_e32 v11, v2, v9
	v_xor_b32_e32 v10, v3, v9
	v_mad_u64_u32 v[2:3], s[26:27], v11, v8, 0
	v_mul_hi_u32 v4, v11, v0
	v_add_co_u32_e32 v12, vcc, v4, v2
	v_addc_co_u32_e32 v13, vcc, 0, v3, vcc
	v_mad_u64_u32 v[4:5], s[26:27], v10, v0, 0
	v_add_co_u32_e32 v0, vcc, v12, v4
	v_mad_u64_u32 v[2:3], s[26:27], v10, v8, 0
	v_addc_co_u32_e32 v0, vcc, v13, v5, vcc
	v_addc_co_u32_e32 v3, vcc, 0, v3, vcc
	v_add_co_u32_e32 v0, vcc, v0, v2
	v_addc_co_u32_e32 v4, vcc, 0, v3, vcc
	v_mul_lo_u32 v5, s37, v0
	v_mul_lo_u32 v8, s36, v4
	v_mad_u64_u32 v[2:3], s[26:27], s36, v0, 0
	v_add3_u32 v3, v3, v8, v5
	v_sub_u32_e32 v5, v10, v3
	v_mov_b32_e32 v8, s37
	v_sub_co_u32_e32 v2, vcc, v11, v2
	v_subb_co_u32_e64 v5, s[26:27], v5, v8, vcc
	v_subrev_co_u32_e64 v8, s[26:27], s36, v2
	v_subbrev_co_u32_e64 v5, s[26:27], 0, v5, s[26:27]
	v_cmp_le_u32_e64 s[26:27], s37, v5
	v_cndmask_b32_e64 v11, 0, -1, s[26:27]
	v_cmp_le_u32_e64 s[26:27], s36, v8
	v_cndmask_b32_e64 v8, 0, -1, s[26:27]
	v_cmp_eq_u32_e64 s[26:27], s37, v5
	v_cndmask_b32_e64 v5, v11, v8, s[26:27]
	v_add_co_u32_e64 v8, s[26:27], 2, v0
	v_subb_co_u32_e32 v3, vcc, v10, v3, vcc
	v_addc_co_u32_e64 v11, s[26:27], 0, v4, s[26:27]
	v_cmp_le_u32_e32 vcc, s37, v3
	v_add_co_u32_e64 v12, s[26:27], 1, v0
	v_cndmask_b32_e64 v10, 0, -1, vcc
	v_cmp_le_u32_e32 vcc, s36, v2
	v_addc_co_u32_e64 v13, s[26:27], 0, v4, s[26:27]
	v_cndmask_b32_e64 v2, 0, -1, vcc
	v_cmp_eq_u32_e32 vcc, s37, v3
	v_cmp_ne_u32_e64 s[26:27], 0, v5
	v_cndmask_b32_e32 v2, v10, v2, vcc
	v_cndmask_b32_e64 v5, v13, v11, s[26:27]
	v_cmp_ne_u32_e32 vcc, 0, v2
	v_cndmask_b32_e64 v3, v12, v8, s[26:27]
	v_cndmask_b32_e32 v2, v4, v5, vcc
	v_cndmask_b32_e32 v0, v0, v3, vcc
	v_xor_b32_e32 v4, s34, v9
	v_xor_b32_e32 v3, s35, v9
	v_xor_b32_e32 v0, v0, v4
	v_xor_b32_e32 v5, v2, v3
	v_sub_co_u32_e32 v2, vcc, v0, v4
	v_subb_co_u32_e32 v3, vcc, v5, v3, vcc
                                        ; implicit-def: $vgpr4
.LBB6_50:                               ;   in Loop: Header=BB6_47 Depth=1
	s_andn2_saveexec_b64 s[26:27], s[30:31]
	s_cbranch_execz .LBB6_52
; %bb.51:                               ;   in Loop: Header=BB6_47 Depth=1
	v_cvt_f32_u32_e32 v0, s72
	s_sub_i32 vcc_lo, 0, s72
	v_rcp_iflag_f32_e32 v0, v0
	v_mul_f32_e32 v0, 0x4f7ffffe, v0
	v_cvt_u32_f32_e32 v0, v0
	v_mul_lo_u32 v2, vcc_lo, v0
	v_mul_hi_u32 v2, v0, v2
	v_add_u32_e32 v0, v0, v2
	v_mul_hi_u32 v0, v4, v0
	v_mul_lo_u32 v2, v0, s72
	v_sub_u32_e32 v2, v4, v2
	v_add_u32_e32 v3, 1, v0
	v_subrev_u32_e32 v4, s72, v2
	v_cmp_le_u32_e32 vcc, s72, v2
	v_cndmask_b32_e32 v2, v2, v4, vcc
	v_cndmask_b32_e32 v0, v0, v3, vcc
	v_add_u32_e32 v3, 1, v0
	v_cmp_le_u32_e32 vcc, s72, v2
	v_cndmask_b32_e32 v2, v0, v3, vcc
	v_mov_b32_e32 v3, v52
.LBB6_52:                               ;   in Loop: Header=BB6_47 Depth=1
	s_or_b64 exec, exec, s[26:27]
	v_add_co_u32_e32 v0, vcc, 7, v2
	v_addc_co_u32_e32 v3, vcc, 0, v3, vcc
	v_and_b32_e32 v2, -8, v0
	v_accvgpr_write_b32 a27, v3
	v_accvgpr_write_b32 a26, v2
.LBB6_53:                               ;   in Loop: Header=BB6_47 Depth=1
	s_or_b64 exec, exec, s[28:29]
	v_accvgpr_read_b32 v8, a26
	v_accvgpr_read_b32 v9, a27
	v_mul_lo_u32 v0, v9, s79
	v_mul_lo_u32 v2, v8, s80
	v_mad_u64_u32 v[4:5], s[26:27], v8, s79, 0
	v_add3_u32 v5, v5, v2, v0
	v_accvgpr_read_b32 v2, a4
	v_accvgpr_read_b32 v3, a5
	v_add_co_u32_e32 v2, vcc, v22, v2
	v_addc_co_u32_e32 v3, vcc, v23, v3, vcc
	v_accvgpr_write_b32 a31, v3
	v_accvgpr_write_b32 a30, v2
	v_accvgpr_read_b32 v2, a28
	v_accvgpr_read_b32 v3, a29
	v_sub_co_u32_e32 v2, vcc, v2, v4
	v_subb_co_u32_e32 v3, vcc, v3, v5, vcc
	v_cmp_lt_i64_e32 vcc, v[8:9], v[2:3]
	v_cndmask_b32_e32 v0, v2, v8, vcc
	v_max_i32_e32 v16, 0, v0
	v_add_u32_e32 v2, 31, v16
	v_lshrrev_b32_e32 v2, 1, v2
	v_and_b32_e32 v2, 0x3ffffff0, v2
	v_max_i32_e32 v2, s81, v2
	v_cmp_lt_i32_e32 vcc, 0, v0
	v_mov_b32_e32 v3, 0
	v_mov_b32_e32 v8, 0
	s_and_b64 s[26:27], s[54:55], vcc
	s_mov_b64 s[28:29], exec
	v_accvgpr_write_b32 a25, v23
	s_and_b64 s[26:27], s[28:29], s[26:27]
	v_accvgpr_write_b32 a24, v22
	s_mov_b64 exec, s[26:27]
	s_cbranch_execz .LBB6_195
; %bb.54:                               ;   in Loop: Header=BB6_47 Depth=1
	s_mov_b32 s46, 1
	s_mov_b64 s[34:35], -1
	s_mov_b64 s[30:31], 0
	v_mov_b32_e32 v8, 0
	v_lshlrev_b64 v[10:11], 1, v[4:5]
	s_branch .LBB6_57
.LBB6_55:                               ;   in Loop: Header=BB6_57 Depth=2
	s_or_b64 exec, exec, vcc
	v_add_co_u32_e32 v32, vcc, 2, v32
	v_addc_co_u32_e32 v33, vcc, 0, v33, vcc
	flat_store_dwordx2 v[34:35], v[32:33]
.LBB6_56:                               ;   in Loop: Header=BB6_57 Depth=2
	s_or_b64 exec, exec, s[26:27]
	v_add_u32_e32 v8, v2, v8
	v_cmp_ge_i32_e32 vcc, v8, v16
	s_xor_b64 s[26:27], s[34:35], -1
	s_or_b64 s[26:27], s[26:27], vcc
	s_and_b64 s[26:27], exec, s[26:27]
	s_or_b64 s[30:31], s[26:27], s[30:31]
	s_mov_b64 s[34:35], 0
	v_mov_b32_e32 v3, s46
	s_mov_b32 s46, 2
	s_andn2_b64 exec, exec, s[30:31]
	s_cbranch_execz .LBB6_194
.LBB6_57:                               ;   Parent Loop BB6_47 Depth=1
                                        ; =>  This Loop Header: Depth=2
                                        ;       Child Loop BB6_65 Depth 3
                                        ;       Child Loop BB6_89 Depth 3
	;; [unrolled: 1-line block ×9, first 2 shown]
	s_and_saveexec_b64 s[26:27], s[4:5]
	s_cbranch_execz .LBB6_59
; %bb.58:                               ;   in Loop: Header=BB6_57 Depth=2
	s_trap 2
	ds_read_b64 v[4:5], v0
	v_accvgpr_read_b32 v12, a30
	v_accvgpr_read_b32 v13, a31
	v_lshlrev_b64 v[12:13], 1, v[12:13]
	v_ashrrev_i32_e32 v9, 31, v8
	s_waitcnt lgkmcnt(0)
	v_add_co_u32_e32 v0, vcc, v4, v12
	v_addc_co_u32_e32 v3, vcc, v5, v13, vcc
	v_add_co_u32_e32 v0, vcc, v0, v10
	v_addc_co_u32_e32 v3, vcc, v3, v11, vcc
	v_lshlrev_b64 v[4:5], 1, v[8:9]
	v_add_co_u32_e32 v4, vcc, v0, v4
	v_addc_co_u32_e32 v5, vcc, v3, v5, vcc
	v_mov_b32_e32 v53, v52
	ds_write_b64 v0, v[4:5]
	ds_write_b64 v0, v[52:53]
.LBB6_59:                               ;   in Loop: Header=BB6_57 Depth=2
	s_or_b64 exec, exec, s[26:27]
	v_and_b32_e32 v0, 8, v62
	v_cmp_ne_u32_e32 vcc, 0, v0
	s_mov_b64 s[36:37], -1
	s_and_saveexec_b64 s[26:27], vcc
	s_cbranch_execz .LBB6_71
; %bb.60:                               ;   in Loop: Header=BB6_57 Depth=2
	v_add_co_u32_e32 v12, vcc, 8, v50
	v_addc_co_u32_e32 v13, vcc, 0, v51, vcc
	v_add_co_u32_e32 v4, vcc, 2, v32
	v_addc_co_u32_e32 v5, vcc, 0, v33, vcc
	v_cmp_lt_u64_e32 vcc, v[12:13], v[4:5]
	v_mov_b32_e32 v0, 1
	s_and_saveexec_b64 s[36:37], vcc
	s_cbranch_execz .LBB6_70
; %bb.61:                               ;   in Loop: Header=BB6_57 Depth=2
	s_mov_b64 s[38:39], 0
	v_mov_b32_e32 v3, 0
                                        ; implicit-def: $sgpr56_sgpr57
	s_branch .LBB6_65
.LBB6_62:                               ;   in Loop: Header=BB6_65 Depth=3
	s_or_b64 exec, exec, s[64:65]
	v_mov_b32_e32 v0, 0
	s_orn2_b64 s[62:63], s[62:63], exec
.LBB6_63:                               ;   in Loop: Header=BB6_65 Depth=3
	s_or_b64 exec, exec, s[60:61]
	s_andn2_b64 vcc, s[56:57], exec
	s_and_b64 s[56:57], s[62:63], exec
	s_or_b64 s[56:57], vcc, s[56:57]
	v_mov_b32_e32 v3, v0
.LBB6_64:                               ;   in Loop: Header=BB6_65 Depth=3
	s_or_b64 exec, exec, s[58:59]
	s_waitcnt vmcnt(0) lgkmcnt(0)
	v_add_co_u32_e32 v12, vcc, 8, v50
	v_addc_co_u32_e32 v13, vcc, 0, v51, vcc
	v_cmp_ge_u64_e32 vcc, v[12:13], v[4:5]
	s_xor_b64 s[58:59], s[56:57], -1
	s_or_b64 vcc, s[58:59], vcc
	s_and_b64 vcc, exec, vcc
	s_or_b64 s[38:39], vcc, s[38:39]
	s_andn2_b64 exec, exec, s[38:39]
	s_cbranch_execz .LBB6_69
.LBB6_65:                               ;   Parent Loop BB6_47 Depth=1
                                        ;     Parent Loop BB6_57 Depth=2
                                        ; =>    This Inner Loop Header: Depth=3
	s_sleep 1
	flat_load_dwordx2 v[50:51], v[34:35] glc
	v_and_b32_e32 v0, 64, v62
	v_cmp_eq_u32_e32 vcc, 0, v0
	s_andn2_b64 s[56:57], s[56:57], exec
	s_and_saveexec_b64 s[58:59], vcc
	s_cbranch_execz .LBB6_64
; %bb.66:                               ;   in Loop: Header=BB6_65 Depth=3
	v_add_u32_e32 v0, 1, v3
	v_cmp_lt_i32_e32 vcc, s85, v3
	s_mov_b64 s[62:63], -1
	s_and_saveexec_b64 s[60:61], vcc
	s_cbranch_execz .LBB6_63
; %bb.67:                               ;   in Loop: Header=BB6_65 Depth=3
	s_trap 2
	ds_read_b64 v[12:13], v0
	s_waitcnt vmcnt(0) lgkmcnt(0)
	flat_load_dword v0, v[12:13] glc
	s_waitcnt vmcnt(0) lgkmcnt(0)
	buffer_invl2
	buffer_wbinvl1_vol
	v_cmp_ne_u32_e32 vcc, 0, v0
	s_and_saveexec_b64 s[64:65], vcc
	s_cbranch_execz .LBB6_62
; %bb.68:                               ;   in Loop: Header=BB6_65 Depth=3
	v_or_b32_e32 v62, 64, v62
	s_xor_b64 s[62:63], exec, -1
	ds_write_b32 v0, v0
	s_trap 2
	s_branch .LBB6_62
.LBB6_69:                               ;   in Loop: Header=BB6_57 Depth=2
	s_or_b64 exec, exec, s[38:39]
	v_and_b32_e32 v0, 8, v62
.LBB6_70:                               ;   in Loop: Header=BB6_57 Depth=2
	s_or_b64 exec, exec, s[36:37]
	v_cmp_eq_u32_e32 vcc, 0, v0
	s_orn2_b64 s[36:37], vcc, exec
	;;#ASMSTART
	s_wakeup
	;;#ASMEND
.LBB6_71:                               ;   in Loop: Header=BB6_57 Depth=2
	s_or_b64 exec, exec, s[26:27]
	v_sub_u32_e32 v0, v16, v8
	s_xor_b64 s[26:27], s[36:37], -1
	v_min_i32_e32 v2, v2, v0
	s_and_saveexec_b64 s[36:37], s[26:27]
	s_cbranch_execz .LBB6_81
; %bb.72:                               ;   in Loop: Header=BB6_57 Depth=2
	v_and_b32_e32 v0, 0x100, v62
	v_cmp_ne_u32_e32 vcc, 0, v0
	v_and_b32_e32 v9, 7, v32
	s_mov_b64 s[26:27], -1
                                        ; implicit-def: $vgpr4_vgpr5
	s_and_saveexec_b64 s[38:39], vcc
	s_cbranch_execz .LBB6_76
; %bb.73:                               ;   in Loop: Header=BB6_57 Depth=2
	v_mad_u64_u32 v[12:13], s[26:27], v9, 24, v[6:7]
	flat_load_dword v0, v[12:13]
	v_ashrrev_i32_e32 v3, 31, v2
	v_lshlrev_b64 v[4:5], 1, v[2:3]
	flat_store_dwordx2 v[12:13], v[4:5] offset:8
                                        ; implicit-def: $vgpr4_vgpr5
	s_waitcnt vmcnt(0) lgkmcnt(0)
	v_cmp_ne_u32_e32 vcc, 1, v0
	v_cmp_eq_u32_e64 s[26:27], 1, v0
	s_and_saveexec_b64 s[56:57], s[26:27]
	s_cbranch_execz .LBB6_75
; %bb.74:                               ;   in Loop: Header=BB6_57 Depth=2
	flat_load_dword v4, v[12:13] offset:4 glc
	s_waitcnt vmcnt(0) lgkmcnt(0)
	v_ashrrev_i32_e32 v5, 31, v4
	v_lshrrev_b64 v[4:5], 1, v[4:5]
.LBB6_75:                               ;   in Loop: Header=BB6_57 Depth=2
	s_or_b64 exec, exec, s[56:57]
	s_orn2_b64 s[26:27], vcc, exec
.LBB6_76:                               ;   in Loop: Header=BB6_57 Depth=2
	s_or_b64 exec, exec, s[38:39]
	s_and_saveexec_b64 vcc, s[26:27]
; %bb.77:                               ;   in Loop: Header=BB6_57 Depth=2
	v_mad_i64_i32 v[4:5], s[26:27], v9, v30, 0
; %bb.78:                               ;   in Loop: Header=BB6_57 Depth=2
	s_or_b64 exec, exec, vcc
	v_lshlrev_b64 v[4:5], 1, v[4:5]
	v_add_co_u32_e32 v4, vcc, v36, v4
	v_addc_co_u32_e32 v5, vcc, v37, v5, vcc
	ds_write_b64 v0, v[4:5] offset:784
	v_and_b32_e32 v0, 0x2000, v62
	v_cmp_ne_u32_e32 vcc, 0, v0
	s_and_saveexec_b64 s[26:27], vcc
	s_cbranch_execz .LBB6_80
; %bb.79:                               ;   in Loop: Header=BB6_57 Depth=2
	ds_read_b64 v[4:5], v0 offset:584
	s_waitcnt lgkmcnt(0)
	v_add_co_u32_e32 v4, vcc, 1, v4
	v_addc_co_u32_e32 v5, vcc, 0, v5, vcc
	ds_write_b64 v0, v[4:5] offset:584
.LBB6_80:                               ;   in Loop: Header=BB6_57 Depth=2
	s_or_b64 exec, exec, s[26:27]
	v_add_co_u32_e32 v32, vcc, 2, v32
	v_addc_co_u32_e32 v33, vcc, 0, v33, vcc
.LBB6_81:                               ;   in Loop: Header=BB6_57 Depth=2
	s_or_b64 exec, exec, s[36:37]
	s_and_saveexec_b64 s[26:27], s[10:11]
	s_cbranch_execz .LBB6_100
; %bb.82:                               ;   in Loop: Header=BB6_57 Depth=2
	s_and_saveexec_b64 vcc, s[48:49]
	s_xor_b64 s[36:37], exec, vcc
	s_cbranch_execz .LBB6_97
; %bb.83:                               ;   in Loop: Header=BB6_57 Depth=2
	s_and_saveexec_b64 s[38:39], s[16:17]
	s_cbranch_execz .LBB6_96
; %bb.84:                               ;   in Loop: Header=BB6_57 Depth=2
	s_mov_b64 s[58:59], exec
	v_mbcnt_lo_u32_b32 v0, s58, 0
	v_mbcnt_hi_u32_b32 v0, s59, v0
	v_cmp_eq_u32_e32 vcc, 0, v0
	s_waitcnt vmcnt(0) lgkmcnt(0)
	buffer_wbinvl1_vol
	s_and_saveexec_b64 s[56:57], vcc
	s_cbranch_execz .LBB6_86
; %bb.85:                               ;   in Loop: Header=BB6_57 Depth=2
	s_bcnt1_i32_b64 vcc_lo, s[58:59]
	v_mov_b32_e32 v4, vcc_lo
	v_mov_b32_e32 v5, v52
	ds_add_u64 v0, v[4:5]
	s_trap 2
.LBB6_86:                               ;   in Loop: Header=BB6_57 Depth=2
	s_or_b64 exec, exec, s[56:57]
	s_trap 2
	ds_read_b64 v[4:5], v0
	v_add_co_u32_e32 v48, vcc, v48, v54
	v_addc_co_u32_e32 v49, vcc, 0, v49, vcc
	s_waitcnt lgkmcnt(0)
	v_cmp_lt_u64_e32 vcc, v[4:5], v[48:49]
	s_and_saveexec_b64 s[56:57], vcc
	s_cbranch_execz .LBB6_95
; %bb.87:                               ;   in Loop: Header=BB6_57 Depth=2
	s_mov_b32 s68, 0
	s_mov_b64 s[58:59], 0
                                        ; implicit-def: $sgpr60_sgpr61
                                        ; implicit-def: $sgpr62_sgpr63
	s_branch .LBB6_89
.LBB6_88:                               ;   in Loop: Header=BB6_89 Depth=3
	s_or_b64 exec, exec, s[66:67]
	s_and_b64 vcc, exec, vcc
	s_or_b64 s[58:59], vcc, s[58:59]
	s_andn2_b64 vcc, s[60:61], exec
	s_and_b64 s[60:61], s[62:63], exec
	s_or_b64 s[60:61], vcc, s[60:61]
	s_andn2_b64 exec, exec, s[58:59]
	s_cbranch_execz .LBB6_93
.LBB6_89:                               ;   Parent Loop BB6_47 Depth=1
                                        ;     Parent Loop BB6_57 Depth=2
                                        ; =>    This Inner Loop Header: Depth=3
	s_add_i32 s68, s68, 1
	s_cmpk_lg_i32 s68, 0x2710
	s_cselect_b64 s[64:65], -1, 0
	s_and_b64 vcc, exec, s[64:65]
                                        ; implicit-def: $sgpr66_sgpr67
	s_cbranch_vccnz .LBB6_91
; %bb.90:                               ;   in Loop: Header=BB6_89 Depth=3
	s_trap 2
	ds_read_b64 v[4:5], v0
	s_andn2_b64 s[64:65], s[64:65], exec
	s_mov_b32 s68, 0
	s_mov_b64 s[66:67], -1
	s_waitcnt lgkmcnt(0)
	flat_load_dword v0, v[4:5] glc
	s_waitcnt vmcnt(0) lgkmcnt(0)
	buffer_invl2
	buffer_wbinvl1_vol
	v_cmp_eq_u32_e32 vcc, 0, v0
	s_and_b64 vcc, vcc, exec
	s_or_b64 s[64:65], s[64:65], vcc
.LBB6_91:                               ;   in Loop: Header=BB6_89 Depth=3
	s_andn2_b64 s[62:63], s[62:63], exec
	s_and_b64 s[66:67], s[66:67], exec
	s_mov_b64 vcc, -1
	s_or_b64 s[62:63], s[62:63], s[66:67]
	s_and_saveexec_b64 s[66:67], s[64:65]
	s_cbranch_execz .LBB6_88
; %bb.92:                               ;   in Loop: Header=BB6_89 Depth=3
	s_sleep 1
	s_trap 2
	ds_read_b64 v[4:5], v0
	s_andn2_b64 s[62:63], s[62:63], exec
	s_waitcnt lgkmcnt(0)
	v_cmp_ge_u64_e32 vcc, v[4:5], v[48:49]
	s_orn2_b64 vcc, vcc, exec
	s_branch .LBB6_88
.LBB6_93:                               ;   in Loop: Header=BB6_57 Depth=2
	s_or_b64 exec, exec, s[58:59]
	s_and_saveexec_b64 vcc, s[60:61]
	s_xor_b64 vcc, exec, vcc
	s_cbranch_execz .LBB6_95
; %bb.94:                               ;   in Loop: Header=BB6_57 Depth=2
	ds_write_b32 v0, v40
	s_trap 2
.LBB6_95:                               ;   in Loop: Header=BB6_57 Depth=2
	s_or_b64 exec, exec, s[56:57]
	;;#ASMSTART
	s_wakeup
	;;#ASMEND
.LBB6_96:                               ;   in Loop: Header=BB6_57 Depth=2
	s_or_b64 exec, exec, s[38:39]
.LBB6_97:                               ;   in Loop: Header=BB6_57 Depth=2
	s_andn2_saveexec_b64 vcc, s[36:37]
	s_cbranch_execz .LBB6_99
; %bb.98:                               ;   in Loop: Header=BB6_57 Depth=2
	s_waitcnt vmcnt(0) lgkmcnt(0)
	buffer_wbinvl1_vol
	s_barrier
.LBB6_99:                               ;   in Loop: Header=BB6_57 Depth=2
	s_or_b64 exec, exec, vcc
.LBB6_100:                              ;   in Loop: Header=BB6_57 Depth=2
	s_or_b64 exec, exec, s[26:27]
	s_trap 2
	ds_read_b32 v3, v0
	v_and_b32_e32 v0, 0x4000, v62
	v_cmp_ne_u32_e32 vcc, 0, v0
	s_xor_b64 s[26:27], s[6:7], -1
	s_and_b64 vcc, s[26:27], vcc
	s_and_saveexec_b64 s[26:27], vcc
	s_cbranch_execz .LBB6_119
; %bb.101:                              ;   in Loop: Header=BB6_57 Depth=2
	s_and_saveexec_b64 vcc, s[48:49]
	s_xor_b64 s[36:37], exec, vcc
	s_cbranch_execz .LBB6_116
; %bb.102:                              ;   in Loop: Header=BB6_57 Depth=2
	s_and_saveexec_b64 s[38:39], s[16:17]
	s_cbranch_execz .LBB6_115
; %bb.103:                              ;   in Loop: Header=BB6_57 Depth=2
	s_mov_b64 s[58:59], exec
	v_mbcnt_lo_u32_b32 v0, s58, 0
	v_mbcnt_hi_u32_b32 v0, s59, v0
	v_cmp_eq_u32_e32 vcc, 0, v0
	s_waitcnt vmcnt(0) lgkmcnt(0)
	buffer_wbinvl1_vol
	s_and_saveexec_b64 s[56:57], vcc
	s_cbranch_execz .LBB6_105
; %bb.104:                              ;   in Loop: Header=BB6_57 Depth=2
	s_bcnt1_i32_b64 vcc_lo, s[58:59]
	v_mov_b32_e32 v4, vcc_lo
	v_mov_b32_e32 v5, v52
	ds_add_u64 v0, v[4:5]
	s_trap 2
.LBB6_105:                              ;   in Loop: Header=BB6_57 Depth=2
	s_or_b64 exec, exec, s[56:57]
	s_trap 2
	ds_read_b64 v[4:5], v0
	v_add_co_u32_e32 v48, vcc, v48, v54
	v_addc_co_u32_e32 v49, vcc, 0, v49, vcc
	s_waitcnt lgkmcnt(0)
	v_cmp_lt_u64_e32 vcc, v[4:5], v[48:49]
	s_and_saveexec_b64 s[56:57], vcc
	s_cbranch_execz .LBB6_114
; %bb.106:                              ;   in Loop: Header=BB6_57 Depth=2
	s_mov_b32 s68, 0
	s_mov_b64 s[58:59], 0
                                        ; implicit-def: $sgpr60_sgpr61
                                        ; implicit-def: $sgpr62_sgpr63
	s_branch .LBB6_108
.LBB6_107:                              ;   in Loop: Header=BB6_108 Depth=3
	s_or_b64 exec, exec, s[66:67]
	s_and_b64 vcc, exec, vcc
	s_or_b64 s[58:59], vcc, s[58:59]
	s_andn2_b64 vcc, s[60:61], exec
	s_and_b64 s[60:61], s[62:63], exec
	s_or_b64 s[60:61], vcc, s[60:61]
	s_andn2_b64 exec, exec, s[58:59]
	s_cbranch_execz .LBB6_112
.LBB6_108:                              ;   Parent Loop BB6_47 Depth=1
                                        ;     Parent Loop BB6_57 Depth=2
                                        ; =>    This Inner Loop Header: Depth=3
	s_add_i32 s68, s68, 1
	s_cmpk_lg_i32 s68, 0x2710
	s_cselect_b64 s[64:65], -1, 0
	s_and_b64 vcc, exec, s[64:65]
                                        ; implicit-def: $sgpr66_sgpr67
	s_cbranch_vccnz .LBB6_110
; %bb.109:                              ;   in Loop: Header=BB6_108 Depth=3
	s_trap 2
	ds_read_b64 v[4:5], v0
	s_andn2_b64 s[64:65], s[64:65], exec
	s_mov_b32 s68, 0
	s_mov_b64 s[66:67], -1
	s_waitcnt lgkmcnt(0)
	flat_load_dword v0, v[4:5] glc
	s_waitcnt vmcnt(0) lgkmcnt(0)
	buffer_invl2
	buffer_wbinvl1_vol
	v_cmp_eq_u32_e32 vcc, 0, v0
	s_and_b64 vcc, vcc, exec
	s_or_b64 s[64:65], s[64:65], vcc
.LBB6_110:                              ;   in Loop: Header=BB6_108 Depth=3
	s_andn2_b64 s[62:63], s[62:63], exec
	s_and_b64 s[66:67], s[66:67], exec
	s_mov_b64 vcc, -1
	s_or_b64 s[62:63], s[62:63], s[66:67]
	s_and_saveexec_b64 s[66:67], s[64:65]
	s_cbranch_execz .LBB6_107
; %bb.111:                              ;   in Loop: Header=BB6_108 Depth=3
	s_sleep 1
	s_trap 2
	ds_read_b64 v[4:5], v0
	s_andn2_b64 s[62:63], s[62:63], exec
	s_waitcnt lgkmcnt(0)
	v_cmp_ge_u64_e32 vcc, v[4:5], v[48:49]
	s_orn2_b64 vcc, vcc, exec
	s_branch .LBB6_107
.LBB6_112:                              ;   in Loop: Header=BB6_57 Depth=2
	s_or_b64 exec, exec, s[58:59]
	s_and_saveexec_b64 vcc, s[60:61]
	s_xor_b64 vcc, exec, vcc
	s_cbranch_execz .LBB6_114
; %bb.113:                              ;   in Loop: Header=BB6_57 Depth=2
	ds_write_b32 v0, v40
	s_trap 2
.LBB6_114:                              ;   in Loop: Header=BB6_57 Depth=2
	s_or_b64 exec, exec, s[56:57]
	;;#ASMSTART
	s_wakeup
	;;#ASMEND
.LBB6_115:                              ;   in Loop: Header=BB6_57 Depth=2
	s_or_b64 exec, exec, s[38:39]
.LBB6_116:                              ;   in Loop: Header=BB6_57 Depth=2
	s_andn2_saveexec_b64 vcc, s[36:37]
	s_cbranch_execz .LBB6_118
; %bb.117:                              ;   in Loop: Header=BB6_57 Depth=2
	s_waitcnt vmcnt(0) lgkmcnt(0)
	buffer_wbinvl1_vol
	s_barrier
.LBB6_118:                              ;   in Loop: Header=BB6_57 Depth=2
	s_or_b64 exec, exec, vcc
.LBB6_119:                              ;   in Loop: Header=BB6_57 Depth=2
	s_or_b64 exec, exec, s[26:27]
	s_trap 2
	ds_read_b64 v[4:5], v0
	v_mov_b32_e32 v9, 0
	s_waitcnt lgkmcnt(0)
	v_readfirstlane_b32 s26, v4
	v_readfirstlane_b32 s27, v5
	s_cmp_eq_u64 s[26:27], 0
	s_cselect_b64 s[26:27], -1, 0
	s_or_b64 s[26:27], s[26:27], s[26:27]
	s_and_b64 vcc, exec, s[26:27]
	s_cbranch_vccnz .LBB6_140
; %bb.120:                              ;   in Loop: Header=BB6_57 Depth=2
	s_mov_b64 s[26:27], -1
	s_and_saveexec_b64 s[36:37], s[18:19]
	s_cbranch_execz .LBB6_122
; %bb.121:                              ;   in Loop: Header=BB6_57 Depth=2
	ds_read_b32 v0, v0 offset:720
	s_waitcnt lgkmcnt(0)
	v_and_b32_e32 v0, 15, v0
	v_cmp_eq_u32_e32 vcc, 0, v0
	s_orn2_b64 s[26:27], vcc, exec
.LBB6_122:                              ;   in Loop: Header=BB6_57 Depth=2
	s_or_b64 exec, exec, s[36:37]
	s_and_saveexec_b64 s[36:37], s[20:21]
	s_cbranch_execz .LBB6_124
; %bb.123:                              ;   in Loop: Header=BB6_57 Depth=2
	ds_read_b32 v0, v0 offset:784
	s_waitcnt lgkmcnt(0)
	v_and_b32_e32 v0, 15, v0
	v_cmp_eq_u32_e32 vcc, 0, v0
	s_and_b64 vcc, s[26:27], vcc
	s_andn2_b64 s[26:27], s[26:27], exec
	s_and_b64 vcc, vcc, exec
	s_or_b64 s[26:27], s[26:27], vcc
.LBB6_124:                              ;   in Loop: Header=BB6_57 Depth=2
	s_or_b64 exec, exec, s[36:37]
	v_cmp_eq_u32_e32 vcc, 0, v3
	s_xor_b64 s[26:27], s[26:27], -1
	v_cndmask_b32_e32 v9, 0, v2, vcc
	v_cndmask_b32_e64 v0, 0, 1, s[26:27]
	v_mov_b32_e32 v13, 0
	v_lshlrev_b32_e32 v17, 1, v9
	s_mov_b64 s[38:39], -1
	;;#ASMSTART
	;;#ASMEND
	v_cmp_ne_u32_e32 vcc, 0, v0
	s_cbranch_vccz .LBB6_141
; %bb.125:                              ;   in Loop: Header=BB6_57 Depth=2
	v_mov_b32_e32 v18, v56
	v_mov_b32_e32 v3, v57
	s_and_saveexec_b64 s[26:27], s[38:39]
	s_cbranch_execz .LBB6_154
.LBB6_126:                              ;   in Loop: Header=BB6_57 Depth=2
	v_ashrrev_i32_e32 v0, 31, v17
	v_lshrrev_b32_e32 v0, 22, v0
	v_add_u32_e32 v0, v17, v0
	v_ashrrev_i32_e32 v21, 10, v0
	v_sub_u32_e32 v19, v21, v3
	v_ashrrev_i32_e32 v0, 31, v18
	v_cmp_lt_i32_e32 vcc, 0, v19
	v_lshrrev_b32_e32 v20, 26, v0
	s_and_saveexec_b64 s[36:37], vcc
	s_cbranch_execz .LBB6_130
; %bb.127:                              ;   in Loop: Header=BB6_57 Depth=2
	s_trap 2
	ds_read_b64 v[4:5], v0
	v_add_u32_e32 v0, v18, v20
	v_and_b32_e32 v0, 0x7fffffc0, v0
	v_sub_u32_e32 v0, v18, v0
	v_lshlrev_b32_e32 v0, 1, v0
	v_lshlrev_b32_e32 v3, 10, v3
	v_add3_u32 v12, v0, v13, v3
	v_ashrrev_i32_e32 v3, 31, v12
	s_mov_b64 s[38:39], 0
	s_waitcnt lgkmcnt(0)
	v_pk_mov_b32 v[14:15], v[4:5], v[4:5] op_sel:[0,1]
.LBB6_128:                              ;   Parent Loop BB6_47 Depth=1
                                        ;     Parent Loop BB6_57 Depth=2
                                        ; =>    This Inner Loop Header: Depth=3
	v_add_co_u32_e32 v22, vcc, v12, v14
	v_addc_co_u32_e32 v23, vcc, v3, v15, vcc
	flat_load_ushort v0, v[22:23] glc slc
	flat_load_ushort v24, v[22:23] offset:128 glc slc
	flat_load_ushort v25, v[22:23] offset:256 glc slc
	flat_load_ushort v28, v[22:23] offset:384 glc slc
	flat_load_ushort v29, v[22:23] offset:512 glc slc
	flat_load_ushort v38, v[22:23] offset:640 glc slc
	flat_load_ushort v39, v[22:23] offset:768 glc slc
	flat_load_ushort v53, v[22:23] offset:896 glc slc
	v_add_co_u32_e32 v22, vcc, v12, v4
	v_addc_co_u32_e32 v23, vcc, v3, v5, vcc
	v_add_co_u32_e32 v14, vcc, v14, v1
	v_addc_co_u32_e32 v15, vcc, v15, v58, vcc
	v_add_co_u32_e32 v4, vcc, v4, v1
	v_sub_u32_e32 v19, v19, v54
	v_addc_co_u32_e32 v5, vcc, v5, v58, vcc
	v_cmp_gt_i32_e32 vcc, 1, v19
	s_or_b64 s[38:39], vcc, s[38:39]
	s_waitcnt vmcnt(0) lgkmcnt(0)
	flat_store_short v[22:23], v0 glc slc
	flat_store_short v[22:23], v24 offset:128 glc slc
	flat_store_short v[22:23], v25 offset:256 glc slc
	;; [unrolled: 1-line block ×7, first 2 shown]
	s_andn2_b64 exec, exec, s[38:39]
	s_cbranch_execnz .LBB6_128
; %bb.129:                              ;   in Loop: Header=BB6_57 Depth=2
	s_or_b64 exec, exec, s[38:39]
	v_accvgpr_read_b32 v39, a21
.LBB6_130:                              ;   in Loop: Header=BB6_57 Depth=2
	s_or_b64 exec, exec, s[36:37]
	v_lshlrev_b32_e32 v0, 10, v21
	v_cmp_ne_u32_e32 vcc, v17, v0
	s_and_saveexec_b64 s[36:37], vcc
	s_cbranch_execz .LBB6_134
; %bb.131:                              ;   in Loop: Header=BB6_57 Depth=2
	v_add_u32_e32 v3, v18, v20
	v_and_b32_e32 v3, 0xffffffc0, v3
	v_sub_u32_e32 v3, v18, v3
	v_lshlrev_b32_e32 v4, 6, v19
	v_sub_u32_e32 v3, v3, v4
	v_ashrrev_i32_e32 v4, 31, v3
	v_lshrrev_b32_e32 v4, 26, v4
	v_add_u32_e32 v4, v3, v4
	v_and_b32_e32 v5, 0x7fffffc0, v4
	v_sub_u32_e32 v3, v3, v5
	v_lshlrev_b32_e32 v4, 1, v4
	v_and_b32_e32 v4, 0xffffff80, v4
	v_lshlrev_b32_e32 v3, 1, v3
	v_add3_u32 v0, v4, v3, v0
	v_sub_u32_e32 v14, v17, v0
	v_cmp_lt_i32_e32 vcc, 1, v14
	s_and_b64 exec, exec, vcc
	s_cbranch_execz .LBB6_134
; %bb.132:                              ;   in Loop: Header=BB6_57 Depth=2
	s_trap 2
	ds_read_b64 v[4:5], v0
	v_add_u32_e32 v12, v0, v13
	v_ashrrev_i32_e32 v3, 31, v12
	s_mov_b64 s[38:39], 0
.LBB6_133:                              ;   Parent Loop BB6_47 Depth=1
                                        ;     Parent Loop BB6_57 Depth=2
                                        ; =>    This Inner Loop Header: Depth=3
	s_waitcnt lgkmcnt(0)
	v_add_co_u32_e32 v18, vcc, v4, v12
	v_addc_co_u32_e32 v19, vcc, v5, v3, vcc
	flat_load_ushort v0, v[18:19] glc slc
	v_add_co_u32_e32 v12, vcc, v12, v59
	v_sub_u32_e32 v14, v14, v47
	v_addc_co_u32_e32 v3, vcc, v3, v26, vcc
	v_cmp_gt_i32_e32 vcc, 2, v14
	s_or_b64 s[38:39], vcc, s[38:39]
	s_waitcnt vmcnt(0) lgkmcnt(0)
	flat_store_short v[18:19], v0 glc slc
	s_andn2_b64 exec, exec, s[38:39]
	s_cbranch_execnz .LBB6_133
.LBB6_134:                              ;   in Loop: Header=BB6_57 Depth=2
	s_or_b64 exec, exec, s[36:37]
	s_or_b64 exec, exec, s[26:27]
	s_and_saveexec_b64 s[26:27], s[10:11]
	s_cbranch_execnz .LBB6_155
.LBB6_135:                              ;   in Loop: Header=BB6_57 Depth=2
	s_or_b64 exec, exec, s[26:27]
                                        ; implicit-def: $vgpr3
	s_and_saveexec_b64 s[26:27], s[24:25]
	s_xor_b64 s[36:37], exec, s[26:27]
	s_cbranch_execz .LBB6_173
.LBB6_136:                              ;   in Loop: Header=BB6_57 Depth=2
	v_and_b32_e32 v0, 16, v62
	v_cmp_lt_i32_e32 vcc, 0, v9
	v_cmp_ne_u32_e64 s[26:27], 0, v0
	v_and_b32_e32 v3, 16, v62
	s_and_b64 vcc, s[26:27], vcc
	s_and_saveexec_b64 s[26:27], vcc
	s_cbranch_execz .LBB6_138
; %bb.137:                              ;   in Loop: Header=BB6_57 Depth=2
	v_mov_b32_e32 v3, 1
	s_waitcnt vmcnt(0) lgkmcnt(0)
	buffer_wbinvl1_vol
.LBB6_138:                              ;   in Loop: Header=BB6_57 Depth=2
	s_or_b64 exec, exec, s[26:27]
	s_andn2_saveexec_b64 s[26:27], s[36:37]
	s_cbranch_execnz .LBB6_174
.LBB6_139:                              ;   in Loop: Header=BB6_57 Depth=2
	s_or_b64 exec, exec, s[26:27]
	v_cmp_ne_u32_e32 vcc, 0, v3
	s_and_saveexec_b64 s[26:27], vcc
	s_cbranch_execz .LBB6_56
	s_branch .LBB6_192
.LBB6_140:                              ;   in Loop: Header=BB6_57 Depth=2
	s_and_saveexec_b64 s[26:27], s[10:11]
	s_cbranch_execnz .LBB6_155
	s_branch .LBB6_135
.LBB6_141:                              ;   in Loop: Header=BB6_57 Depth=2
	v_ashrrev_i32_e32 v0, 31, v17
	v_lshrrev_b32_e32 v0, 21, v0
	v_add_u32_e32 v0, v17, v0
	v_ashrrev_i32_e32 v3, 11, v0
	v_sub_u32_e32 v15, v3, v57
	v_cmp_lt_i32_e32 vcc, 0, v15
	s_and_saveexec_b64 s[26:27], vcc
	s_cbranch_execz .LBB6_145
; %bb.142:                              ;   in Loop: Header=BB6_57 Depth=2
	s_trap 2
	ds_read_b64 v[4:5], v0
	v_accvgpr_read_b32 v12, a22
	s_mov_b64 s[36:37], 0
	v_accvgpr_read_b32 v13, a23
.LBB6_143:                              ;   Parent Loop BB6_47 Depth=1
                                        ;     Parent Loop BB6_57 Depth=2
                                        ; =>    This Inner Loop Header: Depth=3
	s_waitcnt lgkmcnt(0)
	v_add_co_u32_e32 v28, vcc, v4, v12
	v_addc_co_u32_e32 v29, vcc, v5, v13, vcc
	global_load_dwordx4 v[18:21], v[28:29], off glc slc
	global_load_dwordx4 v[22:25], v[28:29], off offset:1024 glc slc
	v_add_co_u32_e32 v12, vcc, v12, v55
	v_sub_u32_e32 v15, v15, v54
	v_addc_co_u32_e32 v13, vcc, v13, v31, vcc
	v_cmp_gt_i32_e32 vcc, 1, v15
	s_or_b64 s[36:37], vcc, s[36:37]
	s_waitcnt vmcnt(0)
	global_store_dwordx4 v[28:29], v[18:21], off glc slc
	s_waitcnt vmcnt(1)
	global_store_dwordx4 v[28:29], v[22:25], off offset:1024 glc slc
	s_andn2_b64 exec, exec, s[36:37]
	s_cbranch_execnz .LBB6_143
; %bb.144:                              ;   in Loop: Header=BB6_57 Depth=2
	s_or_b64 exec, exec, s[36:37]
.LBB6_145:                              ;   in Loop: Header=BB6_57 Depth=2
	s_or_b64 exec, exec, s[26:27]
	v_lshlrev_b32_e32 v14, 11, v3
	v_cmp_ne_u32_e32 vcc, v17, v14
	s_mov_b64 s[38:39], 0
	v_mov_b32_e32 v13, 0
                                        ; implicit-def: $vgpr18
                                        ; implicit-def: $vgpr3
	s_and_saveexec_b64 s[36:37], vcc
	s_cbranch_execz .LBB6_153
; %bb.146:                              ;   in Loop: Header=BB6_57 Depth=2
	v_lshlrev_b32_e32 v0, 6, v15
	v_accvgpr_read_b32 v4, a18
	v_sub_u32_e32 v0, v4, v0
	v_ashrrev_i32_e32 v4, 31, v0
	v_lshrrev_b32_e32 v4, 26, v4
	v_add_u32_e32 v4, v0, v4
	v_sub_u32_e32 v3, v17, v14
	v_ashrrev_i32_e32 v5, 6, v4
	v_and_b32_e32 v4, 0xffffffc0, v4
	v_sub_u32_e32 v15, v0, v4
	v_ashrrev_i32_e32 v4, 31, v3
	v_lshrrev_b32_e32 v4, 22, v4
	v_add_u32_e32 v4, v3, v4
	v_and_b32_e32 v19, 0xfffffc00, v4
	v_lshlrev_b32_e32 v0, 4, v15
	v_sub_u32_e32 v21, v3, v19
	v_lshl_add_u32 v0, v5, 10, v0
	v_ashrrev_i32_e32 v12, 10, v4
	v_cmp_lt_i32_e32 vcc, 15, v21
	v_sub_u32_e32 v13, v3, v0
	v_addc_co_u32_e64 v3, s[26:27], 0, v12, vcc
	v_sub_u32_e32 v20, v3, v5
	v_cmp_lt_i32_e64 s[26:27], 15, v13
	s_and_saveexec_b64 s[38:39], s[26:27]
	s_cbranch_execz .LBB6_150
; %bb.147:                              ;   in Loop: Header=BB6_57 Depth=2
	s_trap 2
	ds_read_b64 v[4:5], v0
	v_add_u32_e32 v12, v0, v14
	v_ashrrev_i32_e32 v3, 31, v12
	s_mov_b64 s[56:57], 0
.LBB6_148:                              ;   Parent Loop BB6_47 Depth=1
                                        ;     Parent Loop BB6_57 Depth=2
                                        ; =>    This Inner Loop Header: Depth=3
	s_waitcnt lgkmcnt(0)
	v_add_co_u32_e64 v28, s[26:27], v4, v12
	v_addc_co_u32_e64 v29, s[26:27], v5, v3, s[26:27]
	global_load_dwordx4 v[22:25], v[28:29], off glc slc
	v_add_co_u32_e64 v12, s[26:27], v12, v1
	v_sub_u32_e32 v13, v13, v46
	v_addc_co_u32_e64 v3, s[26:27], v3, v58, s[26:27]
	v_cmp_gt_i32_e64 s[26:27], 16, v13
	v_sub_u32_e32 v20, v20, v54
	s_or_b64 s[56:57], s[26:27], s[56:57]
	s_waitcnt vmcnt(0)
	global_store_dwordx4 v[28:29], v[22:25], off glc slc
	s_andn2_b64 exec, exec, s[56:57]
	s_cbranch_execnz .LBB6_148
; %bb.149:                              ;   in Loop: Header=BB6_57 Depth=2
	s_or_b64 exec, exec, s[56:57]
.LBB6_150:                              ;   in Loop: Header=BB6_57 Depth=2
	s_or_b64 exec, exec, s[38:39]
	v_and_b32_e32 v0, 14, v17
	v_cndmask_b32_e32 v17, v21, v0, vcc
	v_cmp_ne_u32_e64 s[26:27], 0, v17
	s_mov_b64 s[38:39], 0
	v_mov_b32_e32 v13, 0
                                        ; implicit-def: $vgpr18
                                        ; implicit-def: $vgpr3
	s_and_saveexec_b64 s[56:57], s[26:27]
	s_cbranch_execz .LBB6_152
; %bb.151:                              ;   in Loop: Header=BB6_57 Depth=2
	v_sub_u32_e32 v0, v21, v0
	v_cndmask_b32_e32 v0, 0, v0, vcc
	v_cmp_lt_i32_e32 vcc, 0, v20
	v_add3_u32 v13, v19, v14, v0
	v_cndmask_b32_e32 v0, 0, v54, vcc
	v_sub_u32_e32 v0, v0, v20
	v_lshl_add_u32 v18, v0, 6, v15
	v_ashrrev_i32_e32 v0, 31, v18
	v_lshrrev_b32_e32 v0, 26, v0
	v_add_u32_e32 v0, v18, v0
	s_mov_b64 s[38:39], exec
	v_ashrrev_i32_e32 v3, 6, v0
.LBB6_152:                              ;   in Loop: Header=BB6_57 Depth=2
	s_or_b64 exec, exec, s[56:57]
	s_and_b64 s[38:39], s[38:39], exec
.LBB6_153:                              ;   in Loop: Header=BB6_57 Depth=2
	s_or_b64 exec, exec, s[36:37]
	s_and_saveexec_b64 s[26:27], s[38:39]
	s_cbranch_execnz .LBB6_126
.LBB6_154:                              ;   in Loop: Header=BB6_57 Depth=2
	s_or_b64 exec, exec, s[26:27]
	s_and_saveexec_b64 s[26:27], s[10:11]
	s_cbranch_execz .LBB6_135
.LBB6_155:                              ;   in Loop: Header=BB6_57 Depth=2
	s_and_saveexec_b64 vcc, s[48:49]
	s_xor_b64 s[36:37], exec, vcc
	s_cbranch_execz .LBB6_170
; %bb.156:                              ;   in Loop: Header=BB6_57 Depth=2
	s_and_saveexec_b64 s[38:39], s[16:17]
	s_cbranch_execz .LBB6_169
; %bb.157:                              ;   in Loop: Header=BB6_57 Depth=2
	s_mov_b64 s[58:59], exec
	v_mbcnt_lo_u32_b32 v0, s58, 0
	v_mbcnt_hi_u32_b32 v0, s59, v0
	v_cmp_eq_u32_e32 vcc, 0, v0
	s_waitcnt vmcnt(0) lgkmcnt(0)
	buffer_wbinvl1_vol
	s_and_saveexec_b64 s[56:57], vcc
	s_cbranch_execz .LBB6_159
; %bb.158:                              ;   in Loop: Header=BB6_57 Depth=2
	s_bcnt1_i32_b64 vcc_lo, s[58:59]
	v_mov_b32_e32 v4, vcc_lo
	v_mov_b32_e32 v5, v52
	ds_add_u64 v0, v[4:5]
	s_trap 2
.LBB6_159:                              ;   in Loop: Header=BB6_57 Depth=2
	s_or_b64 exec, exec, s[56:57]
	s_trap 2
	ds_read_b64 v[4:5], v0
	v_add_co_u32_e32 v48, vcc, v48, v54
	v_addc_co_u32_e32 v49, vcc, 0, v49, vcc
	s_waitcnt lgkmcnt(0)
	v_cmp_lt_u64_e32 vcc, v[4:5], v[48:49]
	s_and_saveexec_b64 s[56:57], vcc
	s_cbranch_execz .LBB6_168
; %bb.160:                              ;   in Loop: Header=BB6_57 Depth=2
	s_mov_b32 s68, 0
	s_mov_b64 s[58:59], 0
                                        ; implicit-def: $sgpr60_sgpr61
                                        ; implicit-def: $sgpr62_sgpr63
	s_branch .LBB6_162
.LBB6_161:                              ;   in Loop: Header=BB6_162 Depth=3
	s_or_b64 exec, exec, s[66:67]
	s_and_b64 vcc, exec, vcc
	s_or_b64 s[58:59], vcc, s[58:59]
	s_andn2_b64 vcc, s[60:61], exec
	s_and_b64 s[60:61], s[62:63], exec
	s_or_b64 s[60:61], vcc, s[60:61]
	s_andn2_b64 exec, exec, s[58:59]
	s_cbranch_execz .LBB6_166
.LBB6_162:                              ;   Parent Loop BB6_47 Depth=1
                                        ;     Parent Loop BB6_57 Depth=2
                                        ; =>    This Inner Loop Header: Depth=3
	s_add_i32 s68, s68, 1
	s_cmpk_lg_i32 s68, 0x2710
	s_cselect_b64 s[64:65], -1, 0
	s_and_b64 vcc, exec, s[64:65]
                                        ; implicit-def: $sgpr66_sgpr67
	s_cbranch_vccnz .LBB6_164
; %bb.163:                              ;   in Loop: Header=BB6_162 Depth=3
	s_trap 2
	ds_read_b64 v[4:5], v0
	s_andn2_b64 s[64:65], s[64:65], exec
	s_mov_b32 s68, 0
	s_mov_b64 s[66:67], -1
	s_waitcnt lgkmcnt(0)
	flat_load_dword v0, v[4:5] glc
	s_waitcnt vmcnt(0) lgkmcnt(0)
	buffer_invl2
	buffer_wbinvl1_vol
	v_cmp_eq_u32_e32 vcc, 0, v0
	s_and_b64 vcc, vcc, exec
	s_or_b64 s[64:65], s[64:65], vcc
.LBB6_164:                              ;   in Loop: Header=BB6_162 Depth=3
	s_andn2_b64 s[62:63], s[62:63], exec
	s_and_b64 s[66:67], s[66:67], exec
	s_mov_b64 vcc, -1
	s_or_b64 s[62:63], s[62:63], s[66:67]
	s_and_saveexec_b64 s[66:67], s[64:65]
	s_cbranch_execz .LBB6_161
; %bb.165:                              ;   in Loop: Header=BB6_162 Depth=3
	s_sleep 1
	s_trap 2
	ds_read_b64 v[4:5], v0
	s_andn2_b64 s[62:63], s[62:63], exec
	s_waitcnt lgkmcnt(0)
	v_cmp_ge_u64_e32 vcc, v[4:5], v[48:49]
	s_orn2_b64 vcc, vcc, exec
	s_branch .LBB6_161
.LBB6_166:                              ;   in Loop: Header=BB6_57 Depth=2
	s_or_b64 exec, exec, s[58:59]
	s_and_saveexec_b64 vcc, s[60:61]
	s_xor_b64 vcc, exec, vcc
	s_cbranch_execz .LBB6_168
; %bb.167:                              ;   in Loop: Header=BB6_57 Depth=2
	ds_write_b32 v0, v40
	s_trap 2
.LBB6_168:                              ;   in Loop: Header=BB6_57 Depth=2
	s_or_b64 exec, exec, s[56:57]
	;;#ASMSTART
	s_wakeup
	;;#ASMEND
.LBB6_169:                              ;   in Loop: Header=BB6_57 Depth=2
	s_or_b64 exec, exec, s[38:39]
.LBB6_170:                              ;   in Loop: Header=BB6_57 Depth=2
	s_andn2_saveexec_b64 vcc, s[36:37]
	s_cbranch_execz .LBB6_172
; %bb.171:                              ;   in Loop: Header=BB6_57 Depth=2
	s_waitcnt vmcnt(0) lgkmcnt(0)
	buffer_wbinvl1_vol
	s_barrier
.LBB6_172:                              ;   in Loop: Header=BB6_57 Depth=2
	s_or_b64 exec, exec, vcc
	s_or_b64 exec, exec, s[26:27]
                                        ; implicit-def: $vgpr3
	s_and_saveexec_b64 s[26:27], s[24:25]
	s_xor_b64 s[36:37], exec, s[26:27]
	s_cbranch_execnz .LBB6_136
.LBB6_173:                              ;   in Loop: Header=BB6_57 Depth=2
	s_andn2_saveexec_b64 s[26:27], s[36:37]
	s_cbranch_execz .LBB6_139
.LBB6_174:                              ;   in Loop: Header=BB6_57 Depth=2
	s_and_saveexec_b64 vcc, s[48:49]
	s_xor_b64 s[36:37], exec, vcc
	s_cbranch_execz .LBB6_189
; %bb.175:                              ;   in Loop: Header=BB6_57 Depth=2
	s_and_saveexec_b64 s[38:39], s[16:17]
	s_cbranch_execz .LBB6_188
; %bb.176:                              ;   in Loop: Header=BB6_57 Depth=2
	s_mov_b64 s[58:59], exec
	v_mbcnt_lo_u32_b32 v0, s58, 0
	v_mbcnt_hi_u32_b32 v0, s59, v0
	v_cmp_eq_u32_e32 vcc, 0, v0
	;;#ASMSTART
	s_waitcnt lgkmcnt(0) vmcnt(0)
	;;#ASMEND
	s_and_saveexec_b64 s[56:57], vcc
	s_cbranch_execz .LBB6_178
; %bb.177:                              ;   in Loop: Header=BB6_57 Depth=2
	s_bcnt1_i32_b64 vcc_lo, s[58:59]
	v_mov_b32_e32 v4, vcc_lo
	v_mov_b32_e32 v5, v52
	ds_add_u64 v0, v[4:5]
	s_trap 2
.LBB6_178:                              ;   in Loop: Header=BB6_57 Depth=2
	s_or_b64 exec, exec, s[56:57]
	s_trap 2
	ds_read_b64 v[4:5], v0
	v_add_co_u32_e32 v48, vcc, v48, v54
	v_addc_co_u32_e32 v49, vcc, 0, v49, vcc
	s_waitcnt lgkmcnt(0)
	v_cmp_lt_u64_e32 vcc, v[4:5], v[48:49]
	s_and_saveexec_b64 s[56:57], vcc
	s_cbranch_execz .LBB6_187
; %bb.179:                              ;   in Loop: Header=BB6_57 Depth=2
	s_mov_b32 s68, 0
	s_mov_b64 s[58:59], 0
                                        ; implicit-def: $sgpr60_sgpr61
                                        ; implicit-def: $sgpr62_sgpr63
	s_branch .LBB6_181
.LBB6_180:                              ;   in Loop: Header=BB6_181 Depth=3
	s_or_b64 exec, exec, s[66:67]
	s_and_b64 vcc, exec, vcc
	s_or_b64 s[58:59], vcc, s[58:59]
	s_andn2_b64 vcc, s[60:61], exec
	s_and_b64 s[60:61], s[62:63], exec
	s_or_b64 s[60:61], vcc, s[60:61]
	s_andn2_b64 exec, exec, s[58:59]
	s_cbranch_execz .LBB6_185
.LBB6_181:                              ;   Parent Loop BB6_47 Depth=1
                                        ;     Parent Loop BB6_57 Depth=2
                                        ; =>    This Inner Loop Header: Depth=3
	s_add_i32 s68, s68, 1
	s_cmpk_lg_i32 s68, 0x2710
	s_cselect_b64 s[64:65], -1, 0
	s_and_b64 vcc, exec, s[64:65]
                                        ; implicit-def: $sgpr66_sgpr67
	s_cbranch_vccnz .LBB6_183
; %bb.182:                              ;   in Loop: Header=BB6_181 Depth=3
	s_trap 2
	ds_read_b64 v[4:5], v0
	s_andn2_b64 s[64:65], s[64:65], exec
	s_mov_b32 s68, 0
	s_mov_b64 s[66:67], -1
	s_waitcnt vmcnt(0) lgkmcnt(0)
	flat_load_dword v0, v[4:5] glc
	s_waitcnt vmcnt(0) lgkmcnt(0)
	buffer_invl2
	buffer_wbinvl1_vol
	v_cmp_eq_u32_e32 vcc, 0, v0
	s_and_b64 vcc, vcc, exec
	s_or_b64 s[64:65], s[64:65], vcc
.LBB6_183:                              ;   in Loop: Header=BB6_181 Depth=3
	s_andn2_b64 s[62:63], s[62:63], exec
	s_and_b64 s[66:67], s[66:67], exec
	s_mov_b64 vcc, -1
	s_or_b64 s[62:63], s[62:63], s[66:67]
	s_and_saveexec_b64 s[66:67], s[64:65]
	s_cbranch_execz .LBB6_180
; %bb.184:                              ;   in Loop: Header=BB6_181 Depth=3
	s_sleep 1
	s_trap 2
	ds_read_b64 v[4:5], v0
	s_andn2_b64 s[62:63], s[62:63], exec
	s_waitcnt lgkmcnt(0)
	v_cmp_ge_u64_e32 vcc, v[4:5], v[48:49]
	s_orn2_b64 vcc, vcc, exec
	s_branch .LBB6_180
.LBB6_185:                              ;   in Loop: Header=BB6_57 Depth=2
	s_or_b64 exec, exec, s[58:59]
	s_and_saveexec_b64 vcc, s[60:61]
	s_xor_b64 vcc, exec, vcc
	s_cbranch_execz .LBB6_187
; %bb.186:                              ;   in Loop: Header=BB6_57 Depth=2
	ds_write_b32 v0, v40
	s_trap 2
.LBB6_187:                              ;   in Loop: Header=BB6_57 Depth=2
	s_or_b64 exec, exec, s[56:57]
	;;#ASMSTART
	s_wakeup
	;;#ASMEND
.LBB6_188:                              ;   in Loop: Header=BB6_57 Depth=2
	s_or_b64 exec, exec, s[38:39]
.LBB6_189:                              ;   in Loop: Header=BB6_57 Depth=2
	s_andn2_saveexec_b64 vcc, s[36:37]
	s_cbranch_execz .LBB6_191
; %bb.190:                              ;   in Loop: Header=BB6_57 Depth=2
	;;#ASMSTART
	s_waitcnt lgkmcnt(0) vmcnt(0)
	;;#ASMEND
	s_barrier
.LBB6_191:                              ;   in Loop: Header=BB6_57 Depth=2
	s_or_b64 exec, exec, vcc
	v_and_b32_e32 v3, 16, v62
	s_or_b64 exec, exec, s[26:27]
	v_cmp_ne_u32_e32 vcc, 0, v3
	s_and_saveexec_b64 s[26:27], vcc
	s_cbranch_execz .LBB6_56
.LBB6_192:                              ;   in Loop: Header=BB6_57 Depth=2
	s_and_saveexec_b64 vcc, s[14:15]
	s_cbranch_execz .LBB6_55
; %bb.193:                              ;   in Loop: Header=BB6_57 Depth=2
	flat_store_dword v[44:45], v40
	s_branch .LBB6_55
.LBB6_194:                              ;   in Loop: Header=BB6_47 Depth=1
	s_or_b64 exec, exec, s[30:31]
.LBB6_195:                              ;   in Loop: Header=BB6_47 Depth=1
	s_or_b64 exec, exec, s[28:29]
	v_cmp_gt_i32_e32 vcc, 2, v3
	s_and_saveexec_b64 s[28:29], vcc
	s_cbranch_execz .LBB6_267
; %bb.196:                              ;   in Loop: Header=BB6_47 Depth=1
	v_cmp_eq_u32_e64 s[26:27], 0, v3
	s_mov_b64 s[30:31], 0
	s_branch .LBB6_199
.LBB6_197:                              ;   in Loop: Header=BB6_199 Depth=2
	s_or_b64 exec, exec, vcc
	v_add_co_u32_e32 v32, vcc, 2, v32
	v_addc_co_u32_e32 v33, vcc, 0, v33, vcc
	flat_store_dwordx2 v[34:35], v[32:33]
.LBB6_198:                              ;   in Loop: Header=BB6_199 Depth=2
	s_or_b64 exec, exec, s[26:27]
	v_add_u32_e32 v8, v2, v8
	s_mov_b64 s[26:27], 0
	s_andn2_b64 exec, exec, s[30:31]
	s_cbranch_execz .LBB6_266
.LBB6_199:                              ;   Parent Loop BB6_47 Depth=1
                                        ; =>  This Loop Header: Depth=2
                                        ;       Child Loop BB6_205 Depth 3
                                        ;       Child Loop BB6_234 Depth 3
	;; [unrolled: 1-line block ×3, first 2 shown]
	v_and_b32_e32 v0, 8, v62
	s_mov_b64 s[36:37], -1
	v_cmp_ne_u32_e32 vcc, 0, v0
	s_and_saveexec_b64 s[34:35], vcc
	s_cbranch_execz .LBB6_211
; %bb.200:                              ;   in Loop: Header=BB6_199 Depth=2
	v_add_co_u32_e32 v10, vcc, 8, v50
	v_addc_co_u32_e32 v11, vcc, 0, v51, vcc
	v_add_co_u32_e32 v4, vcc, 2, v32
	v_addc_co_u32_e32 v5, vcc, 0, v33, vcc
	v_cmp_lt_u64_e32 vcc, v[10:11], v[4:5]
	v_mov_b32_e32 v0, 1
	s_and_saveexec_b64 s[36:37], vcc
	s_cbranch_execz .LBB6_210
; %bb.201:                              ;   in Loop: Header=BB6_199 Depth=2
	s_mov_b64 s[38:39], 0
	v_mov_b32_e32 v3, 0
                                        ; implicit-def: $sgpr56_sgpr57
	s_branch .LBB6_205
.LBB6_202:                              ;   in Loop: Header=BB6_205 Depth=3
	s_or_b64 exec, exec, s[64:65]
	v_mov_b32_e32 v0, 0
	s_orn2_b64 s[62:63], s[62:63], exec
.LBB6_203:                              ;   in Loop: Header=BB6_205 Depth=3
	s_or_b64 exec, exec, s[60:61]
	s_andn2_b64 vcc, s[56:57], exec
	s_and_b64 s[56:57], s[62:63], exec
	s_or_b64 s[56:57], vcc, s[56:57]
	v_mov_b32_e32 v3, v0
.LBB6_204:                              ;   in Loop: Header=BB6_205 Depth=3
	s_or_b64 exec, exec, s[58:59]
	s_waitcnt vmcnt(0) lgkmcnt(0)
	v_add_co_u32_e32 v10, vcc, 8, v50
	v_addc_co_u32_e32 v11, vcc, 0, v51, vcc
	v_cmp_ge_u64_e32 vcc, v[10:11], v[4:5]
	s_xor_b64 s[58:59], s[56:57], -1
	s_or_b64 vcc, s[58:59], vcc
	s_and_b64 vcc, exec, vcc
	s_or_b64 s[38:39], vcc, s[38:39]
	s_andn2_b64 exec, exec, s[38:39]
	s_cbranch_execz .LBB6_209
.LBB6_205:                              ;   Parent Loop BB6_47 Depth=1
                                        ;     Parent Loop BB6_199 Depth=2
                                        ; =>    This Inner Loop Header: Depth=3
	s_sleep 1
	flat_load_dwordx2 v[50:51], v[34:35] glc
	v_and_b32_e32 v0, 64, v62
	v_cmp_eq_u32_e32 vcc, 0, v0
	s_andn2_b64 s[56:57], s[56:57], exec
	s_and_saveexec_b64 s[58:59], vcc
	s_cbranch_execz .LBB6_204
; %bb.206:                              ;   in Loop: Header=BB6_205 Depth=3
	v_add_u32_e32 v0, 1, v3
	v_cmp_lt_i32_e32 vcc, s85, v3
	s_mov_b64 s[62:63], -1
	s_and_saveexec_b64 s[60:61], vcc
	s_cbranch_execz .LBB6_203
; %bb.207:                              ;   in Loop: Header=BB6_205 Depth=3
	s_trap 2
	ds_read_b64 v[10:11], v0
	s_waitcnt vmcnt(0) lgkmcnt(0)
	flat_load_dword v0, v[10:11] glc
	s_waitcnt vmcnt(0) lgkmcnt(0)
	buffer_invl2
	buffer_wbinvl1_vol
	v_cmp_ne_u32_e32 vcc, 0, v0
	s_and_saveexec_b64 s[64:65], vcc
	s_cbranch_execz .LBB6_202
; %bb.208:                              ;   in Loop: Header=BB6_205 Depth=3
	v_or_b32_e32 v62, 64, v62
	s_xor_b64 s[62:63], exec, -1
	ds_write_b32 v0, v0
	s_trap 2
	s_branch .LBB6_202
.LBB6_209:                              ;   in Loop: Header=BB6_199 Depth=2
	s_or_b64 exec, exec, s[38:39]
	v_and_b32_e32 v0, 8, v62
.LBB6_210:                              ;   in Loop: Header=BB6_199 Depth=2
	s_or_b64 exec, exec, s[36:37]
	v_cmp_eq_u32_e32 vcc, 0, v0
	s_orn2_b64 s[36:37], vcc, exec
	;;#ASMSTART
	s_wakeup
	;;#ASMEND
.LBB6_211:                              ;   in Loop: Header=BB6_199 Depth=2
	s_or_b64 exec, exec, s[34:35]
	s_xor_b64 s[26:27], s[26:27], -1
	s_and_b64 s[26:27], exec, s[26:27]
	s_or_b64 s[30:31], s[26:27], s[30:31]
	v_sub_u32_e32 v0, v16, v8
	s_xor_b64 s[26:27], s[36:37], -1
	v_min_i32_e32 v2, v2, v0
	s_and_saveexec_b64 s[34:35], s[26:27]
	s_cbranch_execz .LBB6_226
; %bb.212:                              ;   in Loop: Header=BB6_199 Depth=2
	v_and_b32_e32 v0, 0x100, v62
	v_cmp_ne_u32_e32 vcc, 0, v0
	v_and_b32_e32 v9, 7, v32
	s_mov_b64 s[26:27], -1
                                        ; implicit-def: $vgpr4_vgpr5
	s_and_saveexec_b64 s[36:37], vcc
	s_cbranch_execz .LBB6_216
; %bb.213:                              ;   in Loop: Header=BB6_199 Depth=2
	v_mad_u64_u32 v[10:11], s[26:27], v9, 24, v[6:7]
	flat_load_dword v0, v[10:11]
	v_ashrrev_i32_e32 v3, 31, v2
	v_lshlrev_b64 v[4:5], 1, v[2:3]
	flat_store_dwordx2 v[10:11], v[4:5] offset:8
                                        ; implicit-def: $vgpr4_vgpr5
	s_waitcnt vmcnt(0) lgkmcnt(0)
	v_cmp_ne_u32_e32 vcc, 1, v0
	v_cmp_eq_u32_e64 s[26:27], 1, v0
	s_and_saveexec_b64 s[38:39], s[26:27]
	s_cbranch_execz .LBB6_215
; %bb.214:                              ;   in Loop: Header=BB6_199 Depth=2
	flat_load_dword v4, v[10:11] offset:4 glc
	s_waitcnt vmcnt(0) lgkmcnt(0)
	v_ashrrev_i32_e32 v5, 31, v4
	v_lshrrev_b64 v[4:5], 1, v[4:5]
.LBB6_215:                              ;   in Loop: Header=BB6_199 Depth=2
	s_or_b64 exec, exec, s[38:39]
	s_orn2_b64 s[26:27], vcc, exec
.LBB6_216:                              ;   in Loop: Header=BB6_199 Depth=2
	s_or_b64 exec, exec, s[36:37]
	s_and_saveexec_b64 vcc, s[26:27]
; %bb.217:                              ;   in Loop: Header=BB6_199 Depth=2
	v_mad_i64_i32 v[4:5], s[26:27], v9, v30, 0
; %bb.218:                              ;   in Loop: Header=BB6_199 Depth=2
	s_or_b64 exec, exec, vcc
	v_lshlrev_b64 v[4:5], 1, v[4:5]
	v_add_co_u32_e32 v4, vcc, v36, v4
	v_addc_co_u32_e32 v5, vcc, v37, v5, vcc
	ds_write_b64 v0, v[4:5] offset:784
	v_and_b32_e32 v0, 0x2000, v62
	v_cmp_ne_u32_e32 vcc, 0, v0
	s_and_saveexec_b64 s[26:27], vcc
	s_cbranch_execz .LBB6_220
; %bb.219:                              ;   in Loop: Header=BB6_199 Depth=2
	ds_read_b64 v[4:5], v0 offset:584
	s_waitcnt lgkmcnt(0)
	v_add_co_u32_e32 v4, vcc, 1, v4
	v_addc_co_u32_e32 v5, vcc, 0, v5, vcc
	ds_write_b64 v0, v[4:5] offset:584
.LBB6_220:                              ;   in Loop: Header=BB6_199 Depth=2
	s_or_b64 exec, exec, s[26:27]
	v_add_co_u32_e32 v32, vcc, 2, v32
	v_addc_co_u32_e32 v33, vcc, 0, v33, vcc
	s_or_b64 exec, exec, s[34:35]
	s_and_saveexec_b64 s[26:27], s[10:11]
	s_cbranch_execnz .LBB6_227
.LBB6_221:                              ;   in Loop: Header=BB6_199 Depth=2
	s_or_b64 exec, exec, s[26:27]
                                        ; implicit-def: $vgpr3
	s_and_saveexec_b64 s[26:27], s[24:25]
	s_xor_b64 s[26:27], exec, s[26:27]
	s_cbranch_execz .LBB6_245
.LBB6_222:                              ;   in Loop: Header=BB6_199 Depth=2
	s_trap 2
	ds_read_b32 v0, v0
	v_cmp_lt_i32_e32 vcc, 0, v2
	v_and_b32_e32 v4, 16, v62
	v_and_b32_e32 v3, 16, v62
	s_waitcnt lgkmcnt(0)
	v_readfirstlane_b32 s34, v0
	s_cmp_eq_u32 s34, 0
	s_cselect_b64 s[34:35], -1, 0
	s_and_b64 s[34:35], vcc, s[34:35]
	v_cmp_ne_u32_e32 vcc, 0, v4
	s_and_b64 s[34:35], vcc, s[34:35]
	s_and_saveexec_b64 vcc, s[34:35]
	s_cbranch_execz .LBB6_224
; %bb.223:                              ;   in Loop: Header=BB6_199 Depth=2
	v_mov_b32_e32 v3, 1
	s_waitcnt vmcnt(0)
	buffer_wbinvl1_vol
.LBB6_224:                              ;   in Loop: Header=BB6_199 Depth=2
	s_or_b64 exec, exec, vcc
	s_andn2_saveexec_b64 s[26:27], s[26:27]
	s_cbranch_execnz .LBB6_246
.LBB6_225:                              ;   in Loop: Header=BB6_199 Depth=2
	s_or_b64 exec, exec, s[26:27]
	v_cmp_ne_u32_e32 vcc, 0, v3
	s_and_saveexec_b64 s[26:27], vcc
	s_cbranch_execz .LBB6_198
	s_branch .LBB6_264
.LBB6_226:                              ;   in Loop: Header=BB6_199 Depth=2
	s_or_b64 exec, exec, s[34:35]
	s_and_saveexec_b64 s[26:27], s[10:11]
	s_cbranch_execz .LBB6_221
.LBB6_227:                              ;   in Loop: Header=BB6_199 Depth=2
	s_and_saveexec_b64 vcc, s[48:49]
	s_xor_b64 s[34:35], exec, vcc
	s_cbranch_execz .LBB6_242
; %bb.228:                              ;   in Loop: Header=BB6_199 Depth=2
	s_and_saveexec_b64 s[36:37], s[16:17]
	s_cbranch_execz .LBB6_241
; %bb.229:                              ;   in Loop: Header=BB6_199 Depth=2
	s_mov_b64 s[56:57], exec
	v_mbcnt_lo_u32_b32 v0, s56, 0
	v_mbcnt_hi_u32_b32 v0, s57, v0
	v_cmp_eq_u32_e32 vcc, 0, v0
	s_waitcnt vmcnt(0) lgkmcnt(0)
	buffer_wbinvl1_vol
	s_and_saveexec_b64 s[38:39], vcc
	s_cbranch_execz .LBB6_231
; %bb.230:                              ;   in Loop: Header=BB6_199 Depth=2
	s_bcnt1_i32_b64 vcc_lo, s[56:57]
	v_mov_b32_e32 v4, vcc_lo
	v_mov_b32_e32 v5, v52
	ds_add_u64 v0, v[4:5]
	s_trap 2
.LBB6_231:                              ;   in Loop: Header=BB6_199 Depth=2
	s_or_b64 exec, exec, s[38:39]
	s_trap 2
	ds_read_b64 v[4:5], v0
	v_add_co_u32_e32 v48, vcc, v48, v54
	v_addc_co_u32_e32 v49, vcc, 0, v49, vcc
	s_waitcnt lgkmcnt(0)
	v_cmp_lt_u64_e32 vcc, v[4:5], v[48:49]
	s_and_saveexec_b64 s[38:39], vcc
	s_cbranch_execz .LBB6_240
; %bb.232:                              ;   in Loop: Header=BB6_199 Depth=2
	s_mov_b32 s46, 0
	s_mov_b64 s[56:57], 0
                                        ; implicit-def: $sgpr58_sgpr59
                                        ; implicit-def: $sgpr60_sgpr61
	s_branch .LBB6_234
.LBB6_233:                              ;   in Loop: Header=BB6_234 Depth=3
	s_or_b64 exec, exec, s[64:65]
	s_and_b64 vcc, exec, vcc
	s_or_b64 s[56:57], vcc, s[56:57]
	s_andn2_b64 vcc, s[58:59], exec
	s_and_b64 s[58:59], s[60:61], exec
	s_or_b64 s[58:59], vcc, s[58:59]
	s_andn2_b64 exec, exec, s[56:57]
	s_cbranch_execz .LBB6_238
.LBB6_234:                              ;   Parent Loop BB6_47 Depth=1
                                        ;     Parent Loop BB6_199 Depth=2
                                        ; =>    This Inner Loop Header: Depth=3
	s_add_i32 s46, s46, 1
	s_cmpk_lg_i32 s46, 0x2710
	s_cselect_b64 s[62:63], -1, 0
	s_and_b64 vcc, exec, s[62:63]
                                        ; implicit-def: $sgpr64_sgpr65
	s_cbranch_vccnz .LBB6_236
; %bb.235:                              ;   in Loop: Header=BB6_234 Depth=3
	s_trap 2
	ds_read_b64 v[4:5], v0
	s_andn2_b64 s[62:63], s[62:63], exec
	s_mov_b32 s46, 0
	s_mov_b64 s[64:65], -1
	s_waitcnt lgkmcnt(0)
	flat_load_dword v0, v[4:5] glc
	s_waitcnt vmcnt(0) lgkmcnt(0)
	buffer_invl2
	buffer_wbinvl1_vol
	v_cmp_eq_u32_e32 vcc, 0, v0
	s_and_b64 vcc, vcc, exec
	s_or_b64 s[62:63], s[62:63], vcc
.LBB6_236:                              ;   in Loop: Header=BB6_234 Depth=3
	s_andn2_b64 s[60:61], s[60:61], exec
	s_and_b64 s[64:65], s[64:65], exec
	s_mov_b64 vcc, -1
	s_or_b64 s[60:61], s[60:61], s[64:65]
	s_and_saveexec_b64 s[64:65], s[62:63]
	s_cbranch_execz .LBB6_233
; %bb.237:                              ;   in Loop: Header=BB6_234 Depth=3
	s_sleep 1
	s_trap 2
	ds_read_b64 v[4:5], v0
	s_andn2_b64 s[60:61], s[60:61], exec
	s_waitcnt lgkmcnt(0)
	v_cmp_ge_u64_e32 vcc, v[4:5], v[48:49]
	s_orn2_b64 vcc, vcc, exec
	s_branch .LBB6_233
.LBB6_238:                              ;   in Loop: Header=BB6_199 Depth=2
	s_or_b64 exec, exec, s[56:57]
	s_and_saveexec_b64 vcc, s[58:59]
	s_xor_b64 vcc, exec, vcc
	s_cbranch_execz .LBB6_240
; %bb.239:                              ;   in Loop: Header=BB6_199 Depth=2
	ds_write_b32 v0, v40
	s_trap 2
.LBB6_240:                              ;   in Loop: Header=BB6_199 Depth=2
	s_or_b64 exec, exec, s[38:39]
	;;#ASMSTART
	s_wakeup
	;;#ASMEND
.LBB6_241:                              ;   in Loop: Header=BB6_199 Depth=2
	s_or_b64 exec, exec, s[36:37]
.LBB6_242:                              ;   in Loop: Header=BB6_199 Depth=2
	s_andn2_saveexec_b64 vcc, s[34:35]
	s_cbranch_execz .LBB6_244
; %bb.243:                              ;   in Loop: Header=BB6_199 Depth=2
	s_waitcnt vmcnt(0) lgkmcnt(0)
	buffer_wbinvl1_vol
	s_barrier
.LBB6_244:                              ;   in Loop: Header=BB6_199 Depth=2
	s_or_b64 exec, exec, vcc
	s_or_b64 exec, exec, s[26:27]
                                        ; implicit-def: $vgpr3
	s_and_saveexec_b64 s[26:27], s[24:25]
	s_xor_b64 s[26:27], exec, s[26:27]
	s_cbranch_execnz .LBB6_222
.LBB6_245:                              ;   in Loop: Header=BB6_199 Depth=2
	s_andn2_saveexec_b64 s[26:27], s[26:27]
	s_cbranch_execz .LBB6_225
.LBB6_246:                              ;   in Loop: Header=BB6_199 Depth=2
	s_and_saveexec_b64 vcc, s[48:49]
	s_xor_b64 s[34:35], exec, vcc
	s_cbranch_execz .LBB6_261
; %bb.247:                              ;   in Loop: Header=BB6_199 Depth=2
	s_and_saveexec_b64 s[36:37], s[16:17]
	s_cbranch_execz .LBB6_260
; %bb.248:                              ;   in Loop: Header=BB6_199 Depth=2
	s_mov_b64 s[56:57], exec
	v_mbcnt_lo_u32_b32 v0, s56, 0
	v_mbcnt_hi_u32_b32 v0, s57, v0
	v_cmp_eq_u32_e32 vcc, 0, v0
	;;#ASMSTART
	s_waitcnt lgkmcnt(0) vmcnt(0)
	;;#ASMEND
	s_and_saveexec_b64 s[38:39], vcc
	s_cbranch_execz .LBB6_250
; %bb.249:                              ;   in Loop: Header=BB6_199 Depth=2
	s_bcnt1_i32_b64 vcc_lo, s[56:57]
	v_mov_b32_e32 v4, vcc_lo
	v_mov_b32_e32 v5, v52
	ds_add_u64 v0, v[4:5]
	s_trap 2
.LBB6_250:                              ;   in Loop: Header=BB6_199 Depth=2
	s_or_b64 exec, exec, s[38:39]
	s_trap 2
	ds_read_b64 v[4:5], v0
	v_add_co_u32_e32 v48, vcc, v48, v54
	v_addc_co_u32_e32 v49, vcc, 0, v49, vcc
	s_waitcnt lgkmcnt(0)
	v_cmp_lt_u64_e32 vcc, v[4:5], v[48:49]
	s_and_saveexec_b64 s[38:39], vcc
	s_cbranch_execz .LBB6_259
; %bb.251:                              ;   in Loop: Header=BB6_199 Depth=2
	s_mov_b32 s46, 0
	s_mov_b64 s[56:57], 0
                                        ; implicit-def: $sgpr58_sgpr59
                                        ; implicit-def: $sgpr60_sgpr61
	s_branch .LBB6_253
.LBB6_252:                              ;   in Loop: Header=BB6_253 Depth=3
	s_or_b64 exec, exec, s[64:65]
	s_and_b64 vcc, exec, vcc
	s_or_b64 s[56:57], vcc, s[56:57]
	s_andn2_b64 vcc, s[58:59], exec
	s_and_b64 s[58:59], s[60:61], exec
	s_or_b64 s[58:59], vcc, s[58:59]
	s_andn2_b64 exec, exec, s[56:57]
	s_cbranch_execz .LBB6_257
.LBB6_253:                              ;   Parent Loop BB6_47 Depth=1
                                        ;     Parent Loop BB6_199 Depth=2
                                        ; =>    This Inner Loop Header: Depth=3
	s_add_i32 s46, s46, 1
	s_cmpk_lg_i32 s46, 0x2710
	s_cselect_b64 s[62:63], -1, 0
	s_and_b64 vcc, exec, s[62:63]
                                        ; implicit-def: $sgpr64_sgpr65
	s_cbranch_vccnz .LBB6_255
; %bb.254:                              ;   in Loop: Header=BB6_253 Depth=3
	s_trap 2
	ds_read_b64 v[4:5], v0
	s_andn2_b64 s[62:63], s[62:63], exec
	s_mov_b32 s46, 0
	s_mov_b64 s[64:65], -1
	s_waitcnt vmcnt(0) lgkmcnt(0)
	flat_load_dword v0, v[4:5] glc
	s_waitcnt vmcnt(0) lgkmcnt(0)
	buffer_invl2
	buffer_wbinvl1_vol
	v_cmp_eq_u32_e32 vcc, 0, v0
	s_and_b64 vcc, vcc, exec
	s_or_b64 s[62:63], s[62:63], vcc
.LBB6_255:                              ;   in Loop: Header=BB6_253 Depth=3
	s_andn2_b64 s[60:61], s[60:61], exec
	s_and_b64 s[64:65], s[64:65], exec
	s_mov_b64 vcc, -1
	s_or_b64 s[60:61], s[60:61], s[64:65]
	s_and_saveexec_b64 s[64:65], s[62:63]
	s_cbranch_execz .LBB6_252
; %bb.256:                              ;   in Loop: Header=BB6_253 Depth=3
	s_sleep 1
	s_trap 2
	ds_read_b64 v[4:5], v0
	s_andn2_b64 s[60:61], s[60:61], exec
	s_waitcnt lgkmcnt(0)
	v_cmp_ge_u64_e32 vcc, v[4:5], v[48:49]
	s_orn2_b64 vcc, vcc, exec
	s_branch .LBB6_252
.LBB6_257:                              ;   in Loop: Header=BB6_199 Depth=2
	s_or_b64 exec, exec, s[56:57]
	s_and_saveexec_b64 vcc, s[58:59]
	s_xor_b64 vcc, exec, vcc
	s_cbranch_execz .LBB6_259
; %bb.258:                              ;   in Loop: Header=BB6_199 Depth=2
	ds_write_b32 v0, v40
	s_trap 2
.LBB6_259:                              ;   in Loop: Header=BB6_199 Depth=2
	s_or_b64 exec, exec, s[38:39]
	;;#ASMSTART
	s_wakeup
	;;#ASMEND
.LBB6_260:                              ;   in Loop: Header=BB6_199 Depth=2
	s_or_b64 exec, exec, s[36:37]
.LBB6_261:                              ;   in Loop: Header=BB6_199 Depth=2
	s_andn2_saveexec_b64 vcc, s[34:35]
	s_cbranch_execz .LBB6_263
; %bb.262:                              ;   in Loop: Header=BB6_199 Depth=2
	;;#ASMSTART
	s_waitcnt lgkmcnt(0) vmcnt(0)
	;;#ASMEND
	s_barrier
.LBB6_263:                              ;   in Loop: Header=BB6_199 Depth=2
	s_or_b64 exec, exec, vcc
	v_and_b32_e32 v3, 16, v62
	s_or_b64 exec, exec, s[26:27]
	v_cmp_ne_u32_e32 vcc, 0, v3
	s_and_saveexec_b64 s[26:27], vcc
	s_cbranch_execz .LBB6_198
.LBB6_264:                              ;   in Loop: Header=BB6_199 Depth=2
	s_and_saveexec_b64 vcc, s[14:15]
	s_cbranch_execz .LBB6_197
; %bb.265:                              ;   in Loop: Header=BB6_199 Depth=2
	flat_store_dword v[44:45], v40
	s_branch .LBB6_197
.LBB6_266:                              ;   in Loop: Header=BB6_47 Depth=1
	s_or_b64 exec, exec, s[30:31]
.LBB6_267:                              ;   in Loop: Header=BB6_47 Depth=1
	s_or_b64 exec, exec, s[28:29]
	v_cndmask_b32_e64 v0, 0, 1, s[50:51]
	v_cmp_ne_u32_e64 s[26:27], 1, v0
	s_andn2_b64 vcc, exec, s[50:51]
	s_cbranch_vccnz .LBB6_609
; %bb.268:                              ;   in Loop: Header=BB6_47 Depth=1
	s_mov_b32 s70, 2
	s_branch .LBB6_271
.LBB6_269:                              ;   in Loop: Header=BB6_271 Depth=2
	s_or_b64 exec, exec, s[34:35]
.LBB6_270:                              ;   in Loop: Header=BB6_271 Depth=2
	s_or_b64 exec, exec, s[30:31]
	s_add_i32 s70, s70, 1
	s_cmp_eq_u32 s70, s72
	s_cbranch_scc1 .LBB6_608
.LBB6_271:                              ;   Parent Loop BB6_47 Depth=1
                                        ; =>  This Loop Header: Depth=2
                                        ;       Child Loop BB6_274 Depth 3
                                        ;         Child Loop BB6_282 Depth 4
                                        ;         Child Loop BB6_310 Depth 4
	;; [unrolled: 1-line block ×9, first 2 shown]
                                        ;       Child Loop BB6_536 Depth 3
                                        ;         Child Loop BB6_542 Depth 4
                                        ;         Child Loop BB6_582 Depth 4
	;; [unrolled: 1-line block ×3, first 2 shown]
	s_sub_i32 s28, s78, s70
	s_cmp_le_i32 s72, s28
	s_cselect_b32 s29, s72, 0
	s_sub_i32 s28, s28, s29
	v_accvgpr_read_b32 v8, a26
	s_ashr_i32 s29, s28, 31
	v_accvgpr_read_b32 v9, a27
	v_mul_lo_u32 v0, v8, s29
	v_mul_lo_u32 v2, v9, s28
	v_mad_u64_u32 v[4:5], s[28:29], v8, s28, 0
	v_add3_u32 v5, v5, v0, v2
	v_accvgpr_read_b32 v2, a28
	v_accvgpr_read_b32 v3, a29
	v_sub_co_u32_e32 v2, vcc, v2, v4
	v_subb_co_u32_e32 v3, vcc, v3, v5, vcc
	v_cmp_lt_i64_e32 vcc, v[8:9], v[2:3]
	v_cndmask_b32_e32 v0, v2, v8, vcc
	v_max_i32_e32 v60, 0, v0
	v_add_u32_e32 v2, 31, v60
	v_lshrrev_b32_e32 v2, 1, v2
	v_and_b32_e32 v2, 0x3ffffff0, v2
	v_cmp_lt_i32_e32 vcc, 0, v0
	v_max_i32_e32 v2, s81, v2
	s_and_b64 s[28:29], s[54:55], vcc
	v_mov_b32_e32 v3, 0
	v_mov_b32_e32 v24, 0
	s_and_saveexec_b64 s[34:35], s[28:29]
	s_cbranch_execz .LBB6_532
; %bb.272:                              ;   in Loop: Header=BB6_271 Depth=2
	s_mov_b32 s71, 1
	s_mov_b64 s[38:39], -1
	s_mov_b64 s[36:37], 0
	v_mov_b32_e32 v24, 0
	v_lshlrev_b64 v[28:29], 1, v[4:5]
	s_branch .LBB6_274
.LBB6_273:                              ;   in Loop: Header=BB6_274 Depth=3
	s_or_b64 exec, exec, s[28:29]
	v_add_u32_e32 v24, v2, v24
	v_cmp_ge_i32_e32 vcc, v24, v60
	s_xor_b64 s[28:29], s[38:39], -1
	s_or_b64 s[28:29], s[28:29], vcc
	s_and_b64 s[28:29], exec, s[28:29]
	s_or_b64 s[36:37], s[28:29], s[36:37]
	s_mov_b64 s[38:39], 0
	v_mov_b32_e32 v3, s71
	s_mov_b32 s71, 2
	s_andn2_b64 exec, exec, s[36:37]
	s_cbranch_execz .LBB6_533
.LBB6_274:                              ;   Parent Loop BB6_47 Depth=1
                                        ;     Parent Loop BB6_271 Depth=2
                                        ; =>    This Loop Header: Depth=3
                                        ;         Child Loop BB6_282 Depth 4
                                        ;         Child Loop BB6_310 Depth 4
	;; [unrolled: 1-line block ×9, first 2 shown]
	s_and_saveexec_b64 s[28:29], s[4:5]
	s_cbranch_execz .LBB6_276
; %bb.275:                              ;   in Loop: Header=BB6_274 Depth=3
	s_trap 2
	ds_read_b64 v[4:5], v0
	v_accvgpr_read_b32 v8, a30
	v_accvgpr_read_b32 v9, a31
	v_lshlrev_b64 v[8:9], 1, v[8:9]
	v_ashrrev_i32_e32 v25, 31, v24
	s_waitcnt lgkmcnt(0)
	v_add_co_u32_e32 v0, vcc, v4, v8
	v_addc_co_u32_e32 v3, vcc, v5, v9, vcc
	v_add_co_u32_e32 v0, vcc, v0, v28
	v_addc_co_u32_e32 v3, vcc, v3, v29, vcc
	v_lshlrev_b64 v[4:5], 1, v[24:25]
	v_add_co_u32_e32 v4, vcc, v0, v4
	v_addc_co_u32_e32 v5, vcc, v3, v5, vcc
	v_mov_b32_e32 v53, v52
	ds_write_b64 v0, v[4:5]
	ds_write_b64 v0, v[52:53]
.LBB6_276:                              ;   in Loop: Header=BB6_274 Depth=3
	s_or_b64 exec, exec, s[28:29]
	v_and_b32_e32 v0, 12, v62
	v_cmp_ne_u32_e32 vcc, 0, v0
	s_mov_b64 s[30:31], -1
	s_and_saveexec_b64 s[28:29], vcc
	s_cbranch_execz .LBB6_288
; %bb.277:                              ;   in Loop: Header=BB6_274 Depth=3
	v_and_b32_e32 v4, 8, v62
	v_add_co_u32_e32 v10, vcc, v50, v4
	v_addc_co_u32_e32 v11, vcc, 0, v51, vcc
	v_add_co_u32_e32 v8, vcc, 2, v32
	v_addc_co_u32_e32 v9, vcc, 0, v33, vcc
	v_cmp_lt_u64_e32 vcc, v[10:11], v[8:9]
	v_mov_b32_e32 v0, 1
	s_and_saveexec_b64 s[30:31], vcc
	s_cbranch_execz .LBB6_287
; %bb.278:                              ;   in Loop: Header=BB6_274 Depth=3
	s_mov_b64 s[56:57], 0
	v_mov_b32_e32 v3, 0
                                        ; implicit-def: $sgpr58_sgpr59
	s_branch .LBB6_282
.LBB6_279:                              ;   in Loop: Header=BB6_282 Depth=4
	s_or_b64 exec, exec, s[66:67]
	v_mov_b32_e32 v0, 0
	s_orn2_b64 s[64:65], s[64:65], exec
.LBB6_280:                              ;   in Loop: Header=BB6_282 Depth=4
	s_or_b64 exec, exec, s[62:63]
	s_andn2_b64 vcc, s[58:59], exec
	s_and_b64 s[58:59], s[64:65], exec
	s_or_b64 s[58:59], vcc, s[58:59]
	v_mov_b32_e32 v3, v0
.LBB6_281:                              ;   in Loop: Header=BB6_282 Depth=4
	s_or_b64 exec, exec, s[60:61]
	s_waitcnt vmcnt(0) lgkmcnt(0)
	v_add_co_u32_e32 v10, vcc, v50, v4
	v_addc_co_u32_e32 v11, vcc, 0, v51, vcc
	v_cmp_ge_u64_e32 vcc, v[10:11], v[8:9]
	s_xor_b64 s[60:61], s[58:59], -1
	s_or_b64 vcc, s[60:61], vcc
	s_and_b64 vcc, exec, vcc
	s_or_b64 s[56:57], vcc, s[56:57]
	s_andn2_b64 exec, exec, s[56:57]
	s_cbranch_execz .LBB6_286
.LBB6_282:                              ;   Parent Loop BB6_47 Depth=1
                                        ;     Parent Loop BB6_271 Depth=2
                                        ;       Parent Loop BB6_274 Depth=3
                                        ; =>      This Inner Loop Header: Depth=4
	s_sleep 1
	flat_load_dwordx2 v[50:51], v[34:35] glc
	v_and_b32_e32 v0, 64, v62
	v_cmp_eq_u32_e32 vcc, 0, v0
	s_andn2_b64 s[58:59], s[58:59], exec
	s_and_saveexec_b64 s[60:61], vcc
	s_cbranch_execz .LBB6_281
; %bb.283:                              ;   in Loop: Header=BB6_282 Depth=4
	v_add_u32_e32 v0, 1, v3
	v_cmp_lt_i32_e32 vcc, s85, v3
	s_mov_b64 s[64:65], -1
	s_and_saveexec_b64 s[62:63], vcc
	s_cbranch_execz .LBB6_280
; %bb.284:                              ;   in Loop: Header=BB6_282 Depth=4
	s_trap 2
	ds_read_b64 v[10:11], v0
	s_waitcnt vmcnt(0) lgkmcnt(0)
	flat_load_dword v0, v[10:11] glc
	s_waitcnt vmcnt(0) lgkmcnt(0)
	buffer_invl2
	buffer_wbinvl1_vol
	v_cmp_ne_u32_e32 vcc, 0, v0
	s_and_saveexec_b64 s[66:67], vcc
	s_cbranch_execz .LBB6_279
; %bb.285:                              ;   in Loop: Header=BB6_282 Depth=4
	v_or_b32_e32 v62, 64, v62
	s_xor_b64 s[64:65], exec, -1
	ds_write_b32 v0, v0
	s_trap 2
	s_branch .LBB6_279
.LBB6_286:                              ;   in Loop: Header=BB6_274 Depth=3
	s_or_b64 exec, exec, s[56:57]
	v_and_b32_e32 v0, 12, v62
.LBB6_287:                              ;   in Loop: Header=BB6_274 Depth=3
	s_or_b64 exec, exec, s[30:31]
	v_cmp_eq_u32_e32 vcc, 0, v0
	s_orn2_b64 s[30:31], vcc, exec
	;;#ASMSTART
	s_wakeup
	;;#ASMEND
.LBB6_288:                              ;   in Loop: Header=BB6_274 Depth=3
	s_or_b64 exec, exec, s[28:29]
	v_sub_u32_e32 v0, v60, v24
	s_xor_b64 s[28:29], s[30:31], -1
	v_min_i32_e32 v2, v2, v0
	s_and_saveexec_b64 s[30:31], s[28:29]
	s_cbranch_execz .LBB6_302
; %bb.289:                              ;   in Loop: Header=BB6_274 Depth=3
	v_and_b32_e32 v0, 0x108, v62
	v_cmp_ne_u32_e32 vcc, s86, v0
	v_and_b32_e32 v4, 7, v32
	s_and_saveexec_b64 s[28:29], vcc
	s_xor_b64 s[28:29], exec, s[28:29]
                                        ; implicit-def: $vgpr8_vgpr9
; %bb.290:                              ;   in Loop: Header=BB6_274 Depth=3
	v_mov_b32_e32 v9, v52
; %bb.291:                              ;   in Loop: Header=BB6_274 Depth=3
	s_andn2_saveexec_b64 s[28:29], s[28:29]
	s_cbranch_execz .LBB6_293
; %bb.292:                              ;   in Loop: Header=BB6_274 Depth=3
	v_ashrrev_i32_e32 v3, 31, v2
	v_mov_b32_e32 v9, v52
	v_mad_u64_u32 v[10:11], vcc, v4, 24, v[6:7]
	v_lshlrev_b64 v[12:13], 1, v[2:3]
	flat_store_dwordx2 v[10:11], v[12:13] offset:8
.LBB6_293:                              ;   in Loop: Header=BB6_274 Depth=3
	s_or_b64 exec, exec, s[28:29]
	v_and_b32_e32 v0, 0x100, v62
	v_cmp_ne_u32_e32 vcc, 0, v0
	s_mov_b64 s[28:29], -1
                                        ; implicit-def: $vgpr10_vgpr11
	s_and_saveexec_b64 s[56:57], vcc
	s_cbranch_execz .LBB6_297
; %bb.294:                              ;   in Loop: Header=BB6_274 Depth=3
	v_mad_u64_u32 v[12:13], s[28:29], v4, 24, v[6:7]
	v_mov_b32_e32 v0, v13
	v_mad_u64_u32 v[10:11], s[28:29], v9, 24, v[0:1]
	v_mov_b32_e32 v13, v10
	flat_load_dword v0, v[12:13]
                                        ; implicit-def: $vgpr10_vgpr11
	s_waitcnt vmcnt(0) lgkmcnt(0)
	v_cmp_ne_u32_e32 vcc, 1, v0
	v_cmp_eq_u32_e64 s[28:29], 1, v0
	s_and_saveexec_b64 s[58:59], s[28:29]
	s_cbranch_execz .LBB6_296
; %bb.295:                              ;   in Loop: Header=BB6_274 Depth=3
	flat_load_dword v10, v[12:13] offset:4 glc
	s_waitcnt vmcnt(0) lgkmcnt(0)
	v_ashrrev_i32_e32 v11, 31, v10
	v_lshrrev_b64 v[10:11], 1, v[10:11]
.LBB6_296:                              ;   in Loop: Header=BB6_274 Depth=3
	s_or_b64 exec, exec, s[58:59]
	s_orn2_b64 s[28:29], vcc, exec
.LBB6_297:                              ;   in Loop: Header=BB6_274 Depth=3
	s_or_b64 exec, exec, s[56:57]
	s_and_saveexec_b64 vcc, s[28:29]
; %bb.298:                              ;   in Loop: Header=BB6_274 Depth=3
	v_mul_lo_u32 v0, v9, v30
	v_mul_lo_u32 v3, v4, v41
	v_mad_u64_u32 v[10:11], s[28:29], v4, v30, 0
	v_add3_u32 v11, v11, v3, v0
; %bb.299:                              ;   in Loop: Header=BB6_274 Depth=3
	s_or_b64 exec, exec, vcc
	v_lshlrev_b64 v[4:5], 1, v[10:11]
	v_add_co_u32_e32 v4, vcc, v36, v4
	v_addc_co_u32_e32 v5, vcc, v37, v5, vcc
	s_trap 2
	ds_write_b64 v0, v[4:5]
	v_and_b32_e32 v0, 0x2000, v62
	v_cmp_ne_u32_e32 vcc, 0, v0
	s_and_saveexec_b64 s[28:29], vcc
	s_cbranch_execz .LBB6_301
; %bb.300:                              ;   in Loop: Header=BB6_274 Depth=3
	ds_read_b64 v[4:5], v0 offset:584
	s_waitcnt lgkmcnt(0)
	v_add_co_u32_e32 v4, vcc, 1, v4
	v_addc_co_u32_e32 v5, vcc, 0, v5, vcc
	ds_write_b64 v0, v[4:5] offset:584
.LBB6_301:                              ;   in Loop: Header=BB6_274 Depth=3
	s_or_b64 exec, exec, s[28:29]
	v_add_co_u32_e32 v32, vcc, 2, v32
	v_addc_co_u32_e32 v33, vcc, 0, v33, vcc
.LBB6_302:                              ;   in Loop: Header=BB6_274 Depth=3
	s_or_b64 exec, exec, s[30:31]
	s_and_saveexec_b64 s[28:29], s[10:11]
	s_cbranch_execz .LBB6_321
; %bb.303:                              ;   in Loop: Header=BB6_274 Depth=3
	s_and_saveexec_b64 vcc, s[48:49]
	s_xor_b64 s[30:31], exec, vcc
	s_cbranch_execz .LBB6_318
; %bb.304:                              ;   in Loop: Header=BB6_274 Depth=3
	s_and_saveexec_b64 s[56:57], s[16:17]
	s_cbranch_execz .LBB6_317
; %bb.305:                              ;   in Loop: Header=BB6_274 Depth=3
	s_mov_b64 s[60:61], exec
	v_mbcnt_lo_u32_b32 v0, s60, 0
	v_mbcnt_hi_u32_b32 v0, s61, v0
	v_cmp_eq_u32_e32 vcc, 0, v0
	s_waitcnt vmcnt(0) lgkmcnt(0)
	buffer_wbinvl1_vol
	s_and_saveexec_b64 s[58:59], vcc
	s_cbranch_execz .LBB6_307
; %bb.306:                              ;   in Loop: Header=BB6_274 Depth=3
	s_bcnt1_i32_b64 vcc_lo, s[60:61]
	v_mov_b32_e32 v4, vcc_lo
	v_mov_b32_e32 v5, v52
	ds_add_u64 v0, v[4:5]
	s_trap 2
.LBB6_307:                              ;   in Loop: Header=BB6_274 Depth=3
	s_or_b64 exec, exec, s[58:59]
	s_trap 2
	ds_read_b64 v[4:5], v0
	v_add_co_u32_e32 v48, vcc, v48, v54
	v_addc_co_u32_e32 v49, vcc, 0, v49, vcc
	s_waitcnt lgkmcnt(0)
	v_cmp_lt_u64_e32 vcc, v[4:5], v[48:49]
	s_and_saveexec_b64 s[58:59], vcc
	s_cbranch_execz .LBB6_316
; %bb.308:                              ;   in Loop: Header=BB6_274 Depth=3
	s_mov_b32 s46, 0
	s_mov_b64 s[60:61], 0
                                        ; implicit-def: $sgpr62_sgpr63
                                        ; implicit-def: $sgpr64_sgpr65
	s_branch .LBB6_310
.LBB6_309:                              ;   in Loop: Header=BB6_310 Depth=4
	s_or_b64 exec, exec, s[68:69]
	s_and_b64 vcc, exec, vcc
	s_or_b64 s[60:61], vcc, s[60:61]
	s_andn2_b64 vcc, s[62:63], exec
	s_and_b64 s[62:63], s[64:65], exec
	s_or_b64 s[62:63], vcc, s[62:63]
	s_andn2_b64 exec, exec, s[60:61]
	s_cbranch_execz .LBB6_314
.LBB6_310:                              ;   Parent Loop BB6_47 Depth=1
                                        ;     Parent Loop BB6_271 Depth=2
                                        ;       Parent Loop BB6_274 Depth=3
                                        ; =>      This Inner Loop Header: Depth=4
	s_add_i32 s46, s46, 1
	s_cmpk_lg_i32 s46, 0x2710
	s_cselect_b64 s[66:67], -1, 0
	s_and_b64 vcc, exec, s[66:67]
                                        ; implicit-def: $sgpr68_sgpr69
	s_cbranch_vccnz .LBB6_312
; %bb.311:                              ;   in Loop: Header=BB6_310 Depth=4
	s_trap 2
	ds_read_b64 v[4:5], v0
	s_andn2_b64 s[66:67], s[66:67], exec
	s_mov_b32 s46, 0
	s_mov_b64 s[68:69], -1
	s_waitcnt lgkmcnt(0)
	flat_load_dword v0, v[4:5] glc
	s_waitcnt vmcnt(0) lgkmcnt(0)
	buffer_invl2
	buffer_wbinvl1_vol
	v_cmp_eq_u32_e32 vcc, 0, v0
	s_and_b64 vcc, vcc, exec
	s_or_b64 s[66:67], s[66:67], vcc
.LBB6_312:                              ;   in Loop: Header=BB6_310 Depth=4
	s_andn2_b64 s[64:65], s[64:65], exec
	s_and_b64 s[68:69], s[68:69], exec
	s_mov_b64 vcc, -1
	s_or_b64 s[64:65], s[64:65], s[68:69]
	s_and_saveexec_b64 s[68:69], s[66:67]
	s_cbranch_execz .LBB6_309
; %bb.313:                              ;   in Loop: Header=BB6_310 Depth=4
	s_sleep 1
	s_trap 2
	ds_read_b64 v[4:5], v0
	s_andn2_b64 s[64:65], s[64:65], exec
	s_waitcnt lgkmcnt(0)
	v_cmp_ge_u64_e32 vcc, v[4:5], v[48:49]
	s_orn2_b64 vcc, vcc, exec
	s_branch .LBB6_309
.LBB6_314:                              ;   in Loop: Header=BB6_274 Depth=3
	s_or_b64 exec, exec, s[60:61]
	s_and_saveexec_b64 vcc, s[62:63]
	s_xor_b64 vcc, exec, vcc
	s_cbranch_execz .LBB6_316
; %bb.315:                              ;   in Loop: Header=BB6_274 Depth=3
	ds_write_b32 v0, v40
	s_trap 2
.LBB6_316:                              ;   in Loop: Header=BB6_274 Depth=3
	s_or_b64 exec, exec, s[58:59]
	;;#ASMSTART
	s_wakeup
	;;#ASMEND
.LBB6_317:                              ;   in Loop: Header=BB6_274 Depth=3
	s_or_b64 exec, exec, s[56:57]
.LBB6_318:                              ;   in Loop: Header=BB6_274 Depth=3
	s_andn2_saveexec_b64 vcc, s[30:31]
	s_cbranch_execz .LBB6_320
; %bb.319:                              ;   in Loop: Header=BB6_274 Depth=3
	s_waitcnt vmcnt(0) lgkmcnt(0)
	buffer_wbinvl1_vol
	s_barrier
.LBB6_320:                              ;   in Loop: Header=BB6_274 Depth=3
	s_or_b64 exec, exec, vcc
.LBB6_321:                              ;   in Loop: Header=BB6_274 Depth=3
	s_or_b64 exec, exec, s[28:29]
	s_trap 2
	ds_read_b32 v4, v0
	v_and_b32_e32 v0, 0x4000, v62
	v_cmp_ne_u32_e32 vcc, 0, v0
	s_xor_b64 s[28:29], s[6:7], -1
	s_and_b64 vcc, s[28:29], vcc
	s_and_saveexec_b64 s[28:29], vcc
	s_cbranch_execz .LBB6_340
; %bb.322:                              ;   in Loop: Header=BB6_274 Depth=3
	s_and_saveexec_b64 vcc, s[48:49]
	s_xor_b64 s[30:31], exec, vcc
	s_cbranch_execz .LBB6_337
; %bb.323:                              ;   in Loop: Header=BB6_274 Depth=3
	s_and_saveexec_b64 s[56:57], s[16:17]
	s_cbranch_execz .LBB6_336
; %bb.324:                              ;   in Loop: Header=BB6_274 Depth=3
	s_mov_b64 s[60:61], exec
	v_mbcnt_lo_u32_b32 v0, s60, 0
	v_mbcnt_hi_u32_b32 v0, s61, v0
	v_cmp_eq_u32_e32 vcc, 0, v0
	s_waitcnt vmcnt(0) lgkmcnt(0)
	buffer_wbinvl1_vol
	s_and_saveexec_b64 s[58:59], vcc
	s_cbranch_execz .LBB6_326
; %bb.325:                              ;   in Loop: Header=BB6_274 Depth=3
	s_bcnt1_i32_b64 vcc_lo, s[60:61]
	v_mov_b32_e32 v8, vcc_lo
	v_mov_b32_e32 v9, v52
	ds_add_u64 v0, v[8:9]
	s_trap 2
.LBB6_326:                              ;   in Loop: Header=BB6_274 Depth=3
	s_or_b64 exec, exec, s[58:59]
	s_trap 2
	ds_read_b64 v[8:9], v0
	v_add_co_u32_e32 v48, vcc, v48, v54
	v_addc_co_u32_e32 v49, vcc, 0, v49, vcc
	s_waitcnt lgkmcnt(0)
	v_cmp_lt_u64_e32 vcc, v[8:9], v[48:49]
	s_and_saveexec_b64 s[58:59], vcc
	s_cbranch_execz .LBB6_335
; %bb.327:                              ;   in Loop: Header=BB6_274 Depth=3
	s_mov_b32 s46, 0
	s_mov_b64 s[60:61], 0
                                        ; implicit-def: $sgpr62_sgpr63
                                        ; implicit-def: $sgpr64_sgpr65
	s_branch .LBB6_329
.LBB6_328:                              ;   in Loop: Header=BB6_329 Depth=4
	s_or_b64 exec, exec, s[68:69]
	s_and_b64 vcc, exec, vcc
	s_or_b64 s[60:61], vcc, s[60:61]
	s_andn2_b64 vcc, s[62:63], exec
	s_and_b64 s[62:63], s[64:65], exec
	s_or_b64 s[62:63], vcc, s[62:63]
	s_andn2_b64 exec, exec, s[60:61]
	s_cbranch_execz .LBB6_333
.LBB6_329:                              ;   Parent Loop BB6_47 Depth=1
                                        ;     Parent Loop BB6_271 Depth=2
                                        ;       Parent Loop BB6_274 Depth=3
                                        ; =>      This Inner Loop Header: Depth=4
	s_add_i32 s46, s46, 1
	s_cmpk_lg_i32 s46, 0x2710
	s_cselect_b64 s[66:67], -1, 0
	s_and_b64 vcc, exec, s[66:67]
                                        ; implicit-def: $sgpr68_sgpr69
	s_cbranch_vccnz .LBB6_331
; %bb.330:                              ;   in Loop: Header=BB6_329 Depth=4
	s_trap 2
	ds_read_b64 v[8:9], v0
	s_andn2_b64 s[66:67], s[66:67], exec
	s_mov_b32 s46, 0
	s_mov_b64 s[68:69], -1
	s_waitcnt lgkmcnt(0)
	flat_load_dword v0, v[8:9] glc
	s_waitcnt vmcnt(0) lgkmcnt(0)
	buffer_invl2
	buffer_wbinvl1_vol
	v_cmp_eq_u32_e32 vcc, 0, v0
	s_and_b64 vcc, vcc, exec
	s_or_b64 s[66:67], s[66:67], vcc
.LBB6_331:                              ;   in Loop: Header=BB6_329 Depth=4
	s_andn2_b64 s[64:65], s[64:65], exec
	s_and_b64 s[68:69], s[68:69], exec
	s_mov_b64 vcc, -1
	s_or_b64 s[64:65], s[64:65], s[68:69]
	s_and_saveexec_b64 s[68:69], s[66:67]
	s_cbranch_execz .LBB6_328
; %bb.332:                              ;   in Loop: Header=BB6_329 Depth=4
	s_sleep 1
	s_trap 2
	ds_read_b64 v[8:9], v0
	s_andn2_b64 s[64:65], s[64:65], exec
	s_waitcnt lgkmcnt(0)
	v_cmp_ge_u64_e32 vcc, v[8:9], v[48:49]
	s_orn2_b64 vcc, vcc, exec
	s_branch .LBB6_328
.LBB6_333:                              ;   in Loop: Header=BB6_274 Depth=3
	s_or_b64 exec, exec, s[60:61]
	s_and_saveexec_b64 vcc, s[62:63]
	s_xor_b64 vcc, exec, vcc
	s_cbranch_execz .LBB6_335
; %bb.334:                              ;   in Loop: Header=BB6_274 Depth=3
	ds_write_b32 v0, v40
	s_trap 2
.LBB6_335:                              ;   in Loop: Header=BB6_274 Depth=3
	s_or_b64 exec, exec, s[58:59]
	;;#ASMSTART
	s_wakeup
	;;#ASMEND
.LBB6_336:                              ;   in Loop: Header=BB6_274 Depth=3
	s_or_b64 exec, exec, s[56:57]
.LBB6_337:                              ;   in Loop: Header=BB6_274 Depth=3
	s_andn2_saveexec_b64 vcc, s[30:31]
	s_cbranch_execz .LBB6_339
; %bb.338:                              ;   in Loop: Header=BB6_274 Depth=3
	s_waitcnt vmcnt(0) lgkmcnt(0)
	buffer_wbinvl1_vol
	s_barrier
.LBB6_339:                              ;   in Loop: Header=BB6_274 Depth=3
	s_or_b64 exec, exec, vcc
.LBB6_340:                              ;   in Loop: Header=BB6_274 Depth=3
	s_or_b64 exec, exec, s[28:29]
	s_trap 2
	ds_read_b64 v[8:9], v0
	v_mov_b32_e32 v3, 0
	s_waitcnt lgkmcnt(0)
	v_readfirstlane_b32 s28, v8
	v_readfirstlane_b32 s29, v9
	s_cmp_eq_u64 s[28:29], 0
	s_cselect_b64 s[28:29], -1, 0
	s_or_b64 s[28:29], s[28:29], s[28:29]
	s_and_b64 vcc, exec, s[28:29]
	s_cbranch_vccnz .LBB6_366
; %bb.341:                              ;   in Loop: Header=BB6_274 Depth=3
	s_trap 2
	ds_read_b64 v[8:9], v0
	s_mov_b64 s[30:31], -1
	s_waitcnt lgkmcnt(0)
	v_readfirstlane_b32 s64, v8
	s_and_saveexec_b64 s[28:29], s[22:23]
	s_cbranch_execz .LBB6_343
; %bb.342:                              ;   in Loop: Header=BB6_274 Depth=3
	ds_read_b32 v0, v0 offset:720
	s_waitcnt lgkmcnt(0)
	v_and_b32_e32 v0, 15, v0
	v_cmp_eq_u32_e32 vcc, 0, v0
	s_orn2_b64 s[30:31], vcc, exec
.LBB6_343:                              ;   in Loop: Header=BB6_274 Depth=3
	s_or_b64 exec, exec, s[28:29]
	s_and_saveexec_b64 s[28:29], s[20:21]
	s_cbranch_execz .LBB6_345
; %bb.344:                              ;   in Loop: Header=BB6_274 Depth=3
	ds_read_b32 v0, v0 offset:784
	s_waitcnt lgkmcnt(0)
	v_and_b32_e32 v0, 15, v0
	v_cmp_eq_u32_e32 vcc, 0, v0
	s_and_b64 vcc, s[30:31], vcc
	s_andn2_b64 s[30:31], s[30:31], exec
	s_and_b64 vcc, vcc, exec
	s_or_b64 s[30:31], s[30:31], vcc
.LBB6_345:                              ;   in Loop: Header=BB6_274 Depth=3
	s_or_b64 exec, exec, s[28:29]
	v_cmp_eq_u32_e32 vcc, 0, v4
	v_cndmask_b32_e32 v3, 0, v2, vcc
	s_xor_b64 vcc, s[30:31], -1
	v_cndmask_b32_e64 v0, 0, 1, vcc
	v_mov_b32_e32 v12, 0
	v_lshlrev_b32_e32 v25, 1, v3
	s_mov_b64 s[28:29], -1
	;;#ASMSTART
	;;#ASMEND
	v_cmp_ne_u32_e32 vcc, 0, v0
	s_cbranch_vccz .LBB6_371
; %bb.346:                              ;   in Loop: Header=BB6_274 Depth=3
	v_mov_b32_e32 v13, v56
	v_mov_b32_e32 v4, v57
	s_and_saveexec_b64 s[30:31], s[28:29]
	s_cbranch_execz .LBB6_490
.LBB6_347:                              ;   in Loop: Header=BB6_274 Depth=3
	v_ashrrev_i32_e32 v0, 31, v25
	v_lshrrev_b32_e32 v0, 23, v0
	v_add_u32_e32 v0, v25, v0
	v_ashrrev_i32_e32 v16, 9, v0
	v_sub_u32_e32 v14, v16, v4
	v_ashrrev_i32_e32 v0, 31, v13
	v_cmp_lt_i32_e32 vcc, 0, v14
	v_lshrrev_b32_e32 v15, 26, v0
	s_and_saveexec_b64 s[56:57], vcc
	s_cbranch_execz .LBB6_439
; %bb.348:                              ;   in Loop: Header=BB6_274 Depth=3
	v_add_u32_e32 v0, v13, v15
	v_and_b32_e32 v0, 0x7fffffc0, v0
	v_sub_u32_e32 v0, v13, v0
	v_lshlrev_b32_e32 v0, 1, v0
	s_trap 2
	ds_read_b128 v[8:11], v0
	v_lshlrev_b32_e32 v4, 9, v4
	v_add3_u32 v0, v0, v12, v4
	ds_read_b64 v[18:19], v0
	v_ashrrev_i32_e32 v17, 31, v0
	s_waitcnt lgkmcnt(0)
	v_add_co_u32_e32 v4, vcc, v8, v0
	v_addc_co_u32_e32 v5, vcc, v9, v17, vcc
	v_add_co_u32_e32 v8, vcc, v10, v0
	v_addc_co_u32_e32 v9, vcc, v11, v17, vcc
	v_add_co_u32_e32 v10, vcc, v18, v0
	s_and_b32 s46, s64, 1
	v_addc_co_u32_e32 v11, vcc, v19, v17, vcc
	s_cmp_eq_u64 s[46:47], 0
	s_mov_b64 s[58:59], 0
	s_cselect_b64 vcc, -1, 0
	s_branch .LBB6_350
.LBB6_349:                              ;   in Loop: Header=BB6_350 Depth=4
	s_or_b64 exec, exec, s[60:61]
	v_add_co_u32_e64 v4, s[28:29], v4, v27
	v_addc_co_u32_e64 v5, s[28:29], v5, v42, s[28:29]
	v_add_co_u32_e64 v8, s[28:29], v8, v27
	v_addc_co_u32_e64 v9, s[28:29], v9, v42, s[28:29]
	v_sub_u32_e32 v14, v14, v54
	v_cmp_gt_i32_e64 s[28:29], 1, v14
	flat_store_short_d16_hi v[10:11], v17 glc slc
	flat_store_short_d16_hi v[10:11], v20 offset:128 glc slc
	flat_store_short_d16_hi v[10:11], v21 offset:256 glc slc
	;; [unrolled: 1-line block ×3, first 2 shown]
	s_or_b64 s[58:59], s[28:29], s[58:59]
	v_add_co_u32_e64 v10, s[28:29], v10, v27
	v_addc_co_u32_e64 v11, s[28:29], v11, v42, s[28:29]
	s_andn2_b64 exec, exec, s[58:59]
	s_cbranch_execz .LBB6_438
.LBB6_350:                              ;   Parent Loop BB6_47 Depth=1
                                        ;     Parent Loop BB6_271 Depth=2
                                        ;       Parent Loop BB6_274 Depth=3
                                        ; =>      This Inner Loop Header: Depth=4
	flat_load_ushort v21, v[4:5] offset:256 glc slc
	flat_load_ushort v18, v[4:5] offset:384 glc slc
	flat_load_ushort v22, v[8:9] offset:256 glc slc
	flat_load_ushort v19, v[8:9] offset:384 glc slc
	flat_load_ushort v0, v[4:5] glc slc
	flat_load_ushort v17, v[8:9] glc slc
	flat_load_ushort v20, v[4:5] offset:128 glc slc
	flat_load_ushort v23, v[8:9] offset:128 glc slc
	s_waitcnt vmcnt(0) lgkmcnt(0)
	v_lshlrev_b32_e32 v0, 16, v0
	v_lshlrev_b32_e32 v17, 16, v17
	v_max_f32_e32 v17, v17, v17
	v_max_f32_e32 v0, v0, v0
	v_min_f32_e32 v38, v0, v17
	v_max_f32_e32 v0, v0, v17
	v_cndmask_b32_e32 v0, v0, v38, vcc
	v_and_b32_e32 v17, 0x7f800000, v0
	v_cmp_ne_u32_e64 s[28:29], s87, v17
                                        ; implicit-def: $vgpr17
	s_and_saveexec_b64 s[60:61], s[28:29]
	s_xor_b64 s[28:29], exec, s[60:61]
; %bb.351:                              ;   in Loop: Header=BB6_350 Depth=4
	v_bfe_u32 v17, v0, 16, 1
	v_add3_u32 v17, v0, v17, s88
                                        ; implicit-def: $vgpr0
; %bb.352:                              ;   in Loop: Header=BB6_350 Depth=4
	s_andn2_saveexec_b64 s[60:61], s[28:29]
; %bb.353:                              ;   in Loop: Header=BB6_350 Depth=4
	v_or_b32_e32 v17, 0x10000, v0
	v_cmp_eq_u32_sdwa s[28:29], v0, v52 src0_sel:WORD_0 src1_sel:DWORD
	v_cndmask_b32_e64 v17, v17, v0, s[28:29]
; %bb.354:                              ;   in Loop: Header=BB6_350 Depth=4
	s_or_b64 exec, exec, s[60:61]
	v_lshlrev_b32_e32 v0, 16, v20
	v_lshlrev_b32_e32 v20, 16, v23
	v_max_f32_e32 v20, v20, v20
	v_max_f32_e32 v0, v0, v0
	v_min_f32_e32 v23, v0, v20
	v_max_f32_e32 v0, v0, v20
	v_cndmask_b32_e32 v0, v0, v23, vcc
	v_and_b32_e32 v20, 0x7f800000, v0
	v_cmp_ne_u32_e64 s[28:29], s87, v20
                                        ; implicit-def: $vgpr20
	s_and_saveexec_b64 s[60:61], s[28:29]
	s_xor_b64 s[28:29], exec, s[60:61]
; %bb.355:                              ;   in Loop: Header=BB6_350 Depth=4
	v_bfe_u32 v20, v0, 16, 1
	v_add3_u32 v20, v0, v20, s88
                                        ; implicit-def: $vgpr0
; %bb.356:                              ;   in Loop: Header=BB6_350 Depth=4
	s_andn2_saveexec_b64 s[60:61], s[28:29]
; %bb.357:                              ;   in Loop: Header=BB6_350 Depth=4
	v_or_b32_e32 v20, 0x10000, v0
	v_cmp_eq_u32_sdwa s[28:29], v0, v52 src0_sel:WORD_0 src1_sel:DWORD
	v_cndmask_b32_e64 v20, v20, v0, s[28:29]
; %bb.358:                              ;   in Loop: Header=BB6_350 Depth=4
	s_or_b64 exec, exec, s[60:61]
	v_lshlrev_b32_e32 v0, 16, v21
	v_lshlrev_b32_e32 v21, 16, v22
	v_max_f32_e32 v21, v21, v21
	v_max_f32_e32 v0, v0, v0
	v_min_f32_e32 v22, v0, v21
	v_max_f32_e32 v0, v0, v21
	v_cndmask_b32_e32 v0, v0, v22, vcc
	v_and_b32_e32 v21, 0x7f800000, v0
	v_cmp_ne_u32_e64 s[28:29], s87, v21
                                        ; implicit-def: $vgpr21
	s_and_saveexec_b64 s[60:61], s[28:29]
	s_xor_b64 s[28:29], exec, s[60:61]
; %bb.359:                              ;   in Loop: Header=BB6_350 Depth=4
	v_bfe_u32 v21, v0, 16, 1
	v_add3_u32 v21, v0, v21, s88
                                        ; implicit-def: $vgpr0
; %bb.360:                              ;   in Loop: Header=BB6_350 Depth=4
	s_andn2_saveexec_b64 s[60:61], s[28:29]
; %bb.361:                              ;   in Loop: Header=BB6_350 Depth=4
	v_or_b32_e32 v21, 0x10000, v0
	v_cmp_eq_u32_sdwa s[28:29], v0, v52 src0_sel:WORD_0 src1_sel:DWORD
	v_cndmask_b32_e64 v21, v21, v0, s[28:29]
; %bb.362:                              ;   in Loop: Header=BB6_350 Depth=4
	s_or_b64 exec, exec, s[60:61]
	v_lshlrev_b32_e32 v0, 16, v18
	v_lshlrev_b32_e32 v18, 16, v19
	v_max_f32_e32 v18, v18, v18
	v_max_f32_e32 v0, v0, v0
	v_min_f32_e32 v19, v0, v18
	v_max_f32_e32 v0, v0, v18
	v_cndmask_b32_e32 v0, v0, v19, vcc
	v_and_b32_e32 v18, 0x7f800000, v0
	v_cmp_ne_u32_e64 s[28:29], s87, v18
                                        ; implicit-def: $vgpr18
	s_and_saveexec_b64 s[60:61], s[28:29]
	s_xor_b64 s[28:29], exec, s[60:61]
; %bb.363:                              ;   in Loop: Header=BB6_350 Depth=4
	v_bfe_u32 v18, v0, 16, 1
	v_add3_u32 v18, v0, v18, s88
                                        ; implicit-def: $vgpr0
; %bb.364:                              ;   in Loop: Header=BB6_350 Depth=4
	s_andn2_saveexec_b64 s[60:61], s[28:29]
	s_cbranch_execz .LBB6_349
; %bb.365:                              ;   in Loop: Header=BB6_350 Depth=4
	v_or_b32_e32 v18, 0x10000, v0
	v_cmp_eq_u32_sdwa s[28:29], v0, v52 src0_sel:WORD_0 src1_sel:DWORD
	v_cndmask_b32_e64 v18, v18, v0, s[28:29]
	s_branch .LBB6_349
.LBB6_366:                              ;   in Loop: Header=BB6_274 Depth=3
	s_and_saveexec_b64 s[28:29], s[10:11]
	s_cbranch_execnz .LBB6_491
.LBB6_367:                              ;   in Loop: Header=BB6_274 Depth=3
	s_or_b64 exec, exec, s[28:29]
                                        ; implicit-def: $vgpr4
	s_and_saveexec_b64 s[28:29], s[24:25]
	s_xor_b64 s[30:31], exec, s[28:29]
	s_cbranch_execz .LBB6_509
.LBB6_368:                              ;   in Loop: Header=BB6_274 Depth=3
	v_and_b32_e32 v0, 16, v62
	v_cmp_lt_i32_e32 vcc, 0, v3
	v_cmp_ne_u32_e64 s[28:29], 0, v0
	v_and_b32_e32 v4, 16, v62
	s_and_b64 vcc, s[28:29], vcc
	s_and_saveexec_b64 s[28:29], vcc
	s_cbranch_execz .LBB6_370
; %bb.369:                              ;   in Loop: Header=BB6_274 Depth=3
	v_mov_b32_e32 v4, 1
	s_waitcnt vmcnt(0) lgkmcnt(0)
	buffer_wbinvl1_vol
.LBB6_370:                              ;   in Loop: Header=BB6_274 Depth=3
	s_or_b64 exec, exec, s[28:29]
	s_andn2_saveexec_b64 s[28:29], s[30:31]
	s_cbranch_execz .LBB6_528
	s_branch .LBB6_510
.LBB6_371:                              ;   in Loop: Header=BB6_274 Depth=3
	v_ashrrev_i32_e32 v0, 31, v25
	v_lshrrev_b32_e32 v0, 21, v0
	v_add_u32_e32 v0, v25, v0
	v_ashrrev_i32_e32 v61, 11, v0
	v_sub_u32_e32 v53, v61, v57
	v_cmp_lt_i32_e32 vcc, 0, v53
	s_and_saveexec_b64 s[30:31], vcc
	s_cbranch_execz .LBB6_449
; %bb.372:                              ;   in Loop: Header=BB6_274 Depth=3
	s_trap 2
	ds_read_b128 v[8:11], v0
	ds_read_b64 v[12:13], v0
	v_accvgpr_read_b32 v14, a22
	v_accvgpr_read_b32 v15, a23
	s_and_b32 s46, s64, 1
	s_waitcnt lgkmcnt(0)
	v_add_co_u32_e32 v4, vcc, v8, v14
	v_addc_co_u32_e32 v5, vcc, v9, v15, vcc
	v_add_co_u32_e32 v40, vcc, v10, v14
	v_addc_co_u32_e32 v41, vcc, v11, v15, vcc
	;; [unrolled: 2-line block ×3, first 2 shown]
	s_cmp_eq_u64 s[46:47], 0
	s_mov_b64 s[56:57], 0
	s_cselect_b64 vcc, -1, 0
	s_branch .LBB6_374
.LBB6_373:                              ;   in Loop: Header=BB6_374 Depth=4
	s_or_b64 exec, exec, s[58:59]
	v_lshrrev_b32_e32 v0, 16, v20
	v_and_or_b32 v17, v17, s89, v0
	v_lshrrev_b32_e32 v0, 16, v43
	v_and_or_b32 v16, v16, s89, v0
	;; [unrolled: 2-line block ×3, first 2 shown]
	v_lshrrev_b32_e32 v0, 16, v22
	v_add_co_u32_e64 v4, s[28:29], v4, v55
	v_and_or_b32 v19, v19, s89, v0
	v_lshrrev_b32_e32 v0, 16, v12
	v_addc_co_u32_e64 v5, s[28:29], v5, v31, s[28:29]
	v_and_or_b32 v9, v9, s89, v0
	v_lshrrev_b32_e32 v0, 16, v23
	v_add_co_u32_e64 v40, s[28:29], v40, v55
	v_and_or_b32 v8, v8, s89, v0
	v_lshrrev_b32_e32 v0, 16, v13
	v_addc_co_u32_e64 v41, s[28:29], v41, v31, s[28:29]
	v_sub_u32_e32 v53, v53, v54
	v_and_or_b32 v10, v10, s89, v0
	v_lshrrev_b32_e32 v0, 16, v14
	v_cmp_gt_i32_e64 s[28:29], 1, v53
	v_and_or_b32 v11, v11, s89, v0
	global_store_dwordx4 v[56:57], v[16:19], off glc slc
	global_store_dwordx4 v[56:57], v[8:11], off offset:1024 glc slc
	s_or_b64 s[56:57], s[28:29], s[56:57]
	v_add_co_u32_e64 v56, s[28:29], v56, v55
	v_addc_co_u32_e64 v57, s[28:29], v57, v31, s[28:29]
	s_andn2_b64 exec, exec, s[56:57]
	s_cbranch_execz .LBB6_448
.LBB6_374:                              ;   Parent Loop BB6_47 Depth=1
                                        ;     Parent Loop BB6_271 Depth=2
                                        ;       Parent Loop BB6_274 Depth=3
                                        ; =>      This Inner Loop Header: Depth=4
	global_load_dwordx4 v[16:19], v[4:5], off glc slc
	global_load_dwordx4 v[20:23], v[40:41], off glc slc
	global_load_dwordx4 v[8:11], v[4:5], off offset:1024 glc slc
	global_load_dwordx4 v[12:15], v[40:41], off offset:1024 glc slc
                                        ; implicit-def: $vgpr43
	s_waitcnt vmcnt(0)
	v_lshlrev_b32_e32 v0, 16, v16
	v_lshlrev_b32_e32 v38, 16, v20
	v_max_f32_e32 v38, v38, v38
	v_max_f32_e32 v0, v0, v0
	v_min_f32_e32 v39, v0, v38
	v_max_f32_e32 v0, v0, v38
	v_cndmask_b32_e32 v0, v0, v39, vcc
	v_and_b32_e32 v38, 0x7f800000, v0
	v_cmp_ne_u32_e64 s[28:29], s87, v38
	s_and_saveexec_b64 s[58:59], s[28:29]
	s_xor_b64 s[28:29], exec, s[58:59]
; %bb.375:                              ;   in Loop: Header=BB6_374 Depth=4
	v_bfe_u32 v38, v0, 16, 1
	v_add3_u32 v43, v0, v38, s88
                                        ; implicit-def: $vgpr0
; %bb.376:                              ;   in Loop: Header=BB6_374 Depth=4
	s_andn2_saveexec_b64 s[58:59], s[28:29]
; %bb.377:                              ;   in Loop: Header=BB6_374 Depth=4
	v_or_b32_e32 v38, 0x10000, v0
	v_cmp_eq_u32_sdwa s[28:29], v0, v52 src0_sel:WORD_0 src1_sel:DWORD
	v_cndmask_b32_e64 v43, v38, v0, s[28:29]
; %bb.378:                              ;   in Loop: Header=BB6_374 Depth=4
	s_or_b64 exec, exec, s[58:59]
	v_and_b32_e32 v0, 0xffff0000, v16
	v_and_b32_e32 v16, 0xffff0000, v20
	v_max_f32_e32 v16, v16, v16
	v_max_f32_e32 v0, v0, v0
	v_min_f32_e32 v20, v0, v16
	v_max_f32_e32 v0, v0, v16
	v_cndmask_b32_e32 v0, v0, v20, vcc
	v_and_b32_e32 v16, 0x7f800000, v0
	v_cmp_ne_u32_e64 s[28:29], s87, v16
                                        ; implicit-def: $vgpr16
	s_and_saveexec_b64 s[58:59], s[28:29]
	s_xor_b64 s[28:29], exec, s[58:59]
; %bb.379:                              ;   in Loop: Header=BB6_374 Depth=4
	v_bfe_u32 v16, v0, 16, 1
	v_add3_u32 v16, v0, v16, s88
                                        ; implicit-def: $vgpr0
; %bb.380:                              ;   in Loop: Header=BB6_374 Depth=4
	s_andn2_saveexec_b64 s[58:59], s[28:29]
; %bb.381:                              ;   in Loop: Header=BB6_374 Depth=4
	v_or_b32_e32 v16, 0x10000, v0
	v_cmp_eq_u32_sdwa s[28:29], v0, v52 src0_sel:WORD_0 src1_sel:DWORD
	v_cndmask_b32_e64 v16, v16, v0, s[28:29]
; %bb.382:                              ;   in Loop: Header=BB6_374 Depth=4
	s_or_b64 exec, exec, s[58:59]
	v_lshlrev_b32_e32 v0, 16, v17
	v_lshlrev_b32_e32 v20, 16, v21
	v_max_f32_e32 v20, v20, v20
	v_max_f32_e32 v0, v0, v0
	v_min_f32_e32 v38, v0, v20
	v_max_f32_e32 v0, v0, v20
	v_cndmask_b32_e32 v0, v0, v38, vcc
	v_and_b32_e32 v20, 0x7f800000, v0
	v_cmp_ne_u32_e64 s[28:29], s87, v20
                                        ; implicit-def: $vgpr20
	s_and_saveexec_b64 s[58:59], s[28:29]
	s_xor_b64 s[28:29], exec, s[58:59]
; %bb.383:                              ;   in Loop: Header=BB6_374 Depth=4
	v_bfe_u32 v20, v0, 16, 1
	v_add3_u32 v20, v0, v20, s88
                                        ; implicit-def: $vgpr0
; %bb.384:                              ;   in Loop: Header=BB6_374 Depth=4
	s_andn2_saveexec_b64 s[58:59], s[28:29]
; %bb.385:                              ;   in Loop: Header=BB6_374 Depth=4
	v_or_b32_e32 v20, 0x10000, v0
	v_cmp_eq_u32_sdwa s[28:29], v0, v52 src0_sel:WORD_0 src1_sel:DWORD
	v_cndmask_b32_e64 v20, v20, v0, s[28:29]
; %bb.386:                              ;   in Loop: Header=BB6_374 Depth=4
	s_or_b64 exec, exec, s[58:59]
	v_and_b32_e32 v0, 0xffff0000, v17
	v_and_b32_e32 v17, 0xffff0000, v21
	v_max_f32_e32 v17, v17, v17
	v_max_f32_e32 v0, v0, v0
	v_min_f32_e32 v21, v0, v17
	v_max_f32_e32 v0, v0, v17
	v_cndmask_b32_e32 v0, v0, v21, vcc
	v_and_b32_e32 v17, 0x7f800000, v0
	v_cmp_ne_u32_e64 s[28:29], s87, v17
                                        ; implicit-def: $vgpr17
	s_and_saveexec_b64 s[58:59], s[28:29]
	s_xor_b64 s[28:29], exec, s[58:59]
; %bb.387:                              ;   in Loop: Header=BB6_374 Depth=4
	v_bfe_u32 v17, v0, 16, 1
	v_add3_u32 v17, v0, v17, s88
                                        ; implicit-def: $vgpr0
; %bb.388:                              ;   in Loop: Header=BB6_374 Depth=4
	s_andn2_saveexec_b64 s[58:59], s[28:29]
; %bb.389:                              ;   in Loop: Header=BB6_374 Depth=4
	v_or_b32_e32 v17, 0x10000, v0
	v_cmp_eq_u32_sdwa s[28:29], v0, v52 src0_sel:WORD_0 src1_sel:DWORD
	v_cndmask_b32_e64 v17, v17, v0, s[28:29]
; %bb.390:                              ;   in Loop: Header=BB6_374 Depth=4
	s_or_b64 exec, exec, s[58:59]
	v_lshlrev_b32_e32 v0, 16, v18
	v_lshlrev_b32_e32 v21, 16, v22
	v_max_f32_e32 v21, v21, v21
	v_max_f32_e32 v0, v0, v0
	v_min_f32_e32 v38, v0, v21
	v_max_f32_e32 v0, v0, v21
	v_cndmask_b32_e32 v0, v0, v38, vcc
	v_and_b32_e32 v21, 0x7f800000, v0
	v_cmp_ne_u32_e64 s[28:29], s87, v21
                                        ; implicit-def: $vgpr21
	s_and_saveexec_b64 s[58:59], s[28:29]
	s_xor_b64 s[28:29], exec, s[58:59]
; %bb.391:                              ;   in Loop: Header=BB6_374 Depth=4
	v_bfe_u32 v21, v0, 16, 1
	v_add3_u32 v21, v0, v21, s88
                                        ; implicit-def: $vgpr0
; %bb.392:                              ;   in Loop: Header=BB6_374 Depth=4
	s_andn2_saveexec_b64 s[58:59], s[28:29]
; %bb.393:                              ;   in Loop: Header=BB6_374 Depth=4
	v_or_b32_e32 v21, 0x10000, v0
	v_cmp_eq_u32_sdwa s[28:29], v0, v52 src0_sel:WORD_0 src1_sel:DWORD
	v_cndmask_b32_e64 v21, v21, v0, s[28:29]
; %bb.394:                              ;   in Loop: Header=BB6_374 Depth=4
	s_or_b64 exec, exec, s[58:59]
	v_and_b32_e32 v0, 0xffff0000, v18
	v_and_b32_e32 v18, 0xffff0000, v22
	v_max_f32_e32 v18, v18, v18
	v_max_f32_e32 v0, v0, v0
	v_min_f32_e32 v22, v0, v18
	v_max_f32_e32 v0, v0, v18
	v_cndmask_b32_e32 v0, v0, v22, vcc
	v_and_b32_e32 v18, 0x7f800000, v0
	v_cmp_ne_u32_e64 s[28:29], s87, v18
                                        ; implicit-def: $vgpr18
	s_and_saveexec_b64 s[58:59], s[28:29]
	s_xor_b64 s[28:29], exec, s[58:59]
; %bb.395:                              ;   in Loop: Header=BB6_374 Depth=4
	v_bfe_u32 v18, v0, 16, 1
	v_add3_u32 v18, v0, v18, s88
                                        ; implicit-def: $vgpr0
; %bb.396:                              ;   in Loop: Header=BB6_374 Depth=4
	s_andn2_saveexec_b64 s[58:59], s[28:29]
; %bb.397:                              ;   in Loop: Header=BB6_374 Depth=4
	v_or_b32_e32 v18, 0x10000, v0
	v_cmp_eq_u32_sdwa s[28:29], v0, v52 src0_sel:WORD_0 src1_sel:DWORD
	v_cndmask_b32_e64 v18, v18, v0, s[28:29]
; %bb.398:                              ;   in Loop: Header=BB6_374 Depth=4
	s_or_b64 exec, exec, s[58:59]
	v_lshlrev_b32_e32 v0, 16, v19
	v_lshlrev_b32_e32 v22, 16, v23
	v_max_f32_e32 v22, v22, v22
	v_max_f32_e32 v0, v0, v0
	v_min_f32_e32 v38, v0, v22
	v_max_f32_e32 v0, v0, v22
	v_cndmask_b32_e32 v0, v0, v38, vcc
	v_and_b32_e32 v22, 0x7f800000, v0
	v_cmp_ne_u32_e64 s[28:29], s87, v22
                                        ; implicit-def: $vgpr22
	s_and_saveexec_b64 s[58:59], s[28:29]
	s_xor_b64 s[28:29], exec, s[58:59]
; %bb.399:                              ;   in Loop: Header=BB6_374 Depth=4
	v_bfe_u32 v22, v0, 16, 1
	v_add3_u32 v22, v0, v22, s88
                                        ; implicit-def: $vgpr0
; %bb.400:                              ;   in Loop: Header=BB6_374 Depth=4
	s_andn2_saveexec_b64 s[58:59], s[28:29]
; %bb.401:                              ;   in Loop: Header=BB6_374 Depth=4
	v_or_b32_e32 v22, 0x10000, v0
	v_cmp_eq_u32_sdwa s[28:29], v0, v52 src0_sel:WORD_0 src1_sel:DWORD
	v_cndmask_b32_e64 v22, v22, v0, s[28:29]
; %bb.402:                              ;   in Loop: Header=BB6_374 Depth=4
	s_or_b64 exec, exec, s[58:59]
	v_and_b32_e32 v0, 0xffff0000, v19
	v_and_b32_e32 v19, 0xffff0000, v23
	v_max_f32_e32 v19, v19, v19
	v_max_f32_e32 v0, v0, v0
	v_min_f32_e32 v23, v0, v19
	v_max_f32_e32 v0, v0, v19
	v_cndmask_b32_e32 v0, v0, v23, vcc
	v_and_b32_e32 v19, 0x7f800000, v0
	v_cmp_ne_u32_e64 s[28:29], s87, v19
                                        ; implicit-def: $vgpr19
	s_and_saveexec_b64 s[58:59], s[28:29]
	s_xor_b64 s[28:29], exec, s[58:59]
; %bb.403:                              ;   in Loop: Header=BB6_374 Depth=4
	v_bfe_u32 v19, v0, 16, 1
	v_add3_u32 v19, v0, v19, s88
                                        ; implicit-def: $vgpr0
; %bb.404:                              ;   in Loop: Header=BB6_374 Depth=4
	s_andn2_saveexec_b64 s[58:59], s[28:29]
; %bb.405:                              ;   in Loop: Header=BB6_374 Depth=4
	v_or_b32_e32 v19, 0x10000, v0
	v_cmp_eq_u32_sdwa s[28:29], v0, v52 src0_sel:WORD_0 src1_sel:DWORD
	v_cndmask_b32_e64 v19, v19, v0, s[28:29]
; %bb.406:                              ;   in Loop: Header=BB6_374 Depth=4
	s_or_b64 exec, exec, s[58:59]
	v_lshlrev_b32_e32 v0, 16, v8
	v_lshlrev_b32_e32 v23, 16, v12
	v_max_f32_e32 v23, v23, v23
	v_max_f32_e32 v0, v0, v0
	v_min_f32_e32 v38, v0, v23
	v_max_f32_e32 v0, v0, v23
	v_cndmask_b32_e32 v0, v0, v38, vcc
	v_and_b32_e32 v23, 0x7f800000, v0
	v_cmp_ne_u32_e64 s[28:29], s87, v23
                                        ; implicit-def: $vgpr23
	s_and_saveexec_b64 s[58:59], s[28:29]
	s_xor_b64 s[28:29], exec, s[58:59]
; %bb.407:                              ;   in Loop: Header=BB6_374 Depth=4
	v_bfe_u32 v23, v0, 16, 1
	v_add3_u32 v23, v0, v23, s88
                                        ; implicit-def: $vgpr0
; %bb.408:                              ;   in Loop: Header=BB6_374 Depth=4
	s_andn2_saveexec_b64 s[58:59], s[28:29]
; %bb.409:                              ;   in Loop: Header=BB6_374 Depth=4
	v_or_b32_e32 v23, 0x10000, v0
	v_cmp_eq_u32_sdwa s[28:29], v0, v52 src0_sel:WORD_0 src1_sel:DWORD
	v_cndmask_b32_e64 v23, v23, v0, s[28:29]
; %bb.410:                              ;   in Loop: Header=BB6_374 Depth=4
	s_or_b64 exec, exec, s[58:59]
	v_and_b32_e32 v0, 0xffff0000, v8
	v_and_b32_e32 v8, 0xffff0000, v12
	v_max_f32_e32 v8, v8, v8
	v_max_f32_e32 v0, v0, v0
	v_min_f32_e32 v12, v0, v8
	v_max_f32_e32 v0, v0, v8
	v_cndmask_b32_e32 v0, v0, v12, vcc
	v_and_b32_e32 v8, 0x7f800000, v0
	v_cmp_ne_u32_e64 s[28:29], s87, v8
                                        ; implicit-def: $vgpr8
	s_and_saveexec_b64 s[58:59], s[28:29]
	s_xor_b64 s[28:29], exec, s[58:59]
; %bb.411:                              ;   in Loop: Header=BB6_374 Depth=4
	v_bfe_u32 v8, v0, 16, 1
	v_add3_u32 v8, v0, v8, s88
                                        ; implicit-def: $vgpr0
; %bb.412:                              ;   in Loop: Header=BB6_374 Depth=4
	s_andn2_saveexec_b64 s[58:59], s[28:29]
; %bb.413:                              ;   in Loop: Header=BB6_374 Depth=4
	v_or_b32_e32 v8, 0x10000, v0
	v_cmp_eq_u32_sdwa s[28:29], v0, v52 src0_sel:WORD_0 src1_sel:DWORD
	v_cndmask_b32_e64 v8, v8, v0, s[28:29]
; %bb.414:                              ;   in Loop: Header=BB6_374 Depth=4
	s_or_b64 exec, exec, s[58:59]
	v_lshlrev_b32_e32 v0, 16, v9
	v_lshlrev_b32_e32 v12, 16, v13
	v_max_f32_e32 v12, v12, v12
	v_max_f32_e32 v0, v0, v0
	v_min_f32_e32 v38, v0, v12
	v_max_f32_e32 v0, v0, v12
	v_cndmask_b32_e32 v0, v0, v38, vcc
	v_and_b32_e32 v12, 0x7f800000, v0
	v_cmp_ne_u32_e64 s[28:29], s87, v12
                                        ; implicit-def: $vgpr12
	s_and_saveexec_b64 s[58:59], s[28:29]
	s_xor_b64 s[28:29], exec, s[58:59]
; %bb.415:                              ;   in Loop: Header=BB6_374 Depth=4
	v_bfe_u32 v12, v0, 16, 1
	v_add3_u32 v12, v0, v12, s88
                                        ; implicit-def: $vgpr0
; %bb.416:                              ;   in Loop: Header=BB6_374 Depth=4
	s_andn2_saveexec_b64 s[58:59], s[28:29]
; %bb.417:                              ;   in Loop: Header=BB6_374 Depth=4
	v_or_b32_e32 v12, 0x10000, v0
	v_cmp_eq_u32_sdwa s[28:29], v0, v52 src0_sel:WORD_0 src1_sel:DWORD
	v_cndmask_b32_e64 v12, v12, v0, s[28:29]
; %bb.418:                              ;   in Loop: Header=BB6_374 Depth=4
	s_or_b64 exec, exec, s[58:59]
	v_and_b32_e32 v0, 0xffff0000, v9
	v_and_b32_e32 v9, 0xffff0000, v13
	v_max_f32_e32 v9, v9, v9
	v_max_f32_e32 v0, v0, v0
	v_min_f32_e32 v13, v0, v9
	v_max_f32_e32 v0, v0, v9
	v_cndmask_b32_e32 v0, v0, v13, vcc
	v_and_b32_e32 v9, 0x7f800000, v0
	v_cmp_ne_u32_e64 s[28:29], s87, v9
                                        ; implicit-def: $vgpr9
	s_and_saveexec_b64 s[58:59], s[28:29]
	s_xor_b64 s[28:29], exec, s[58:59]
; %bb.419:                              ;   in Loop: Header=BB6_374 Depth=4
	v_bfe_u32 v9, v0, 16, 1
	v_add3_u32 v9, v0, v9, s88
                                        ; implicit-def: $vgpr0
; %bb.420:                              ;   in Loop: Header=BB6_374 Depth=4
	s_andn2_saveexec_b64 s[58:59], s[28:29]
; %bb.421:                              ;   in Loop: Header=BB6_374 Depth=4
	v_or_b32_e32 v9, 0x10000, v0
	v_cmp_eq_u32_sdwa s[28:29], v0, v52 src0_sel:WORD_0 src1_sel:DWORD
	v_cndmask_b32_e64 v9, v9, v0, s[28:29]
; %bb.422:                              ;   in Loop: Header=BB6_374 Depth=4
	s_or_b64 exec, exec, s[58:59]
	v_lshlrev_b32_e32 v0, 16, v10
	v_lshlrev_b32_e32 v13, 16, v14
	v_max_f32_e32 v13, v13, v13
	v_max_f32_e32 v0, v0, v0
	v_min_f32_e32 v38, v0, v13
	v_max_f32_e32 v0, v0, v13
	v_cndmask_b32_e32 v0, v0, v38, vcc
	v_and_b32_e32 v13, 0x7f800000, v0
	v_cmp_ne_u32_e64 s[28:29], s87, v13
                                        ; implicit-def: $vgpr13
	s_and_saveexec_b64 s[58:59], s[28:29]
	s_xor_b64 s[28:29], exec, s[58:59]
; %bb.423:                              ;   in Loop: Header=BB6_374 Depth=4
	v_bfe_u32 v13, v0, 16, 1
	v_add3_u32 v13, v0, v13, s88
                                        ; implicit-def: $vgpr0
; %bb.424:                              ;   in Loop: Header=BB6_374 Depth=4
	s_andn2_saveexec_b64 s[58:59], s[28:29]
; %bb.425:                              ;   in Loop: Header=BB6_374 Depth=4
	v_or_b32_e32 v13, 0x10000, v0
	v_cmp_eq_u32_sdwa s[28:29], v0, v52 src0_sel:WORD_0 src1_sel:DWORD
	v_cndmask_b32_e64 v13, v13, v0, s[28:29]
; %bb.426:                              ;   in Loop: Header=BB6_374 Depth=4
	s_or_b64 exec, exec, s[58:59]
	v_and_b32_e32 v0, 0xffff0000, v10
	v_and_b32_e32 v10, 0xffff0000, v14
	v_max_f32_e32 v10, v10, v10
	v_max_f32_e32 v0, v0, v0
	v_min_f32_e32 v14, v0, v10
	v_max_f32_e32 v0, v0, v10
	v_cndmask_b32_e32 v0, v0, v14, vcc
	v_and_b32_e32 v10, 0x7f800000, v0
	v_cmp_ne_u32_e64 s[28:29], s87, v10
                                        ; implicit-def: $vgpr10
	s_and_saveexec_b64 s[58:59], s[28:29]
	s_xor_b64 s[28:29], exec, s[58:59]
; %bb.427:                              ;   in Loop: Header=BB6_374 Depth=4
	v_bfe_u32 v10, v0, 16, 1
	v_add3_u32 v10, v0, v10, s88
                                        ; implicit-def: $vgpr0
; %bb.428:                              ;   in Loop: Header=BB6_374 Depth=4
	s_andn2_saveexec_b64 s[58:59], s[28:29]
; %bb.429:                              ;   in Loop: Header=BB6_374 Depth=4
	v_or_b32_e32 v10, 0x10000, v0
	v_cmp_eq_u32_sdwa s[28:29], v0, v52 src0_sel:WORD_0 src1_sel:DWORD
	v_cndmask_b32_e64 v10, v10, v0, s[28:29]
; %bb.430:                              ;   in Loop: Header=BB6_374 Depth=4
	s_or_b64 exec, exec, s[58:59]
	v_lshlrev_b32_e32 v0, 16, v11
	v_lshlrev_b32_e32 v14, 16, v15
	v_max_f32_e32 v14, v14, v14
	v_max_f32_e32 v0, v0, v0
	v_min_f32_e32 v38, v0, v14
	v_max_f32_e32 v0, v0, v14
	v_cndmask_b32_e32 v0, v0, v38, vcc
	v_and_b32_e32 v14, 0x7f800000, v0
	v_cmp_ne_u32_e64 s[28:29], s87, v14
                                        ; implicit-def: $vgpr14
	s_and_saveexec_b64 s[58:59], s[28:29]
	s_xor_b64 s[28:29], exec, s[58:59]
; %bb.431:                              ;   in Loop: Header=BB6_374 Depth=4
	v_bfe_u32 v14, v0, 16, 1
	v_add3_u32 v14, v0, v14, s88
                                        ; implicit-def: $vgpr0
; %bb.432:                              ;   in Loop: Header=BB6_374 Depth=4
	s_andn2_saveexec_b64 s[58:59], s[28:29]
; %bb.433:                              ;   in Loop: Header=BB6_374 Depth=4
	v_or_b32_e32 v14, 0x10000, v0
	v_cmp_eq_u32_sdwa s[28:29], v0, v52 src0_sel:WORD_0 src1_sel:DWORD
	v_cndmask_b32_e64 v14, v14, v0, s[28:29]
; %bb.434:                              ;   in Loop: Header=BB6_374 Depth=4
	s_or_b64 exec, exec, s[58:59]
	v_and_b32_e32 v0, 0xffff0000, v11
	v_and_b32_e32 v11, 0xffff0000, v15
	v_max_f32_e32 v11, v11, v11
	v_max_f32_e32 v0, v0, v0
	v_min_f32_e32 v15, v0, v11
	v_max_f32_e32 v0, v0, v11
	v_cndmask_b32_e32 v0, v0, v15, vcc
	v_and_b32_e32 v11, 0x7f800000, v0
	v_cmp_ne_u32_e64 s[28:29], s87, v11
                                        ; implicit-def: $vgpr11
	s_and_saveexec_b64 s[58:59], s[28:29]
	s_xor_b64 s[28:29], exec, s[58:59]
; %bb.435:                              ;   in Loop: Header=BB6_374 Depth=4
	v_bfe_u32 v11, v0, 16, 1
	v_add3_u32 v11, v0, v11, s88
                                        ; implicit-def: $vgpr0
; %bb.436:                              ;   in Loop: Header=BB6_374 Depth=4
	s_andn2_saveexec_b64 s[58:59], s[28:29]
	s_cbranch_execz .LBB6_373
; %bb.437:                              ;   in Loop: Header=BB6_374 Depth=4
	v_or_b32_e32 v11, 0x10000, v0
	v_cmp_eq_u32_sdwa s[28:29], v0, v52 src0_sel:WORD_0 src1_sel:DWORD
	v_cndmask_b32_e64 v11, v11, v0, s[28:29]
	s_branch .LBB6_373
.LBB6_438:                              ;   in Loop: Header=BB6_274 Depth=3
	s_or_b64 exec, exec, s[58:59]
	v_accvgpr_read_b32 v39, a21
.LBB6_439:                              ;   in Loop: Header=BB6_274 Depth=3
	s_or_b64 exec, exec, s[56:57]
	v_lshlrev_b32_e32 v0, 9, v16
	v_cmp_ne_u32_e32 vcc, v25, v0
	s_and_saveexec_b64 s[56:57], vcc
	s_cbranch_execz .LBB6_447
; %bb.440:                              ;   in Loop: Header=BB6_274 Depth=3
	v_add_u32_e32 v4, v13, v15
	v_and_b32_e32 v4, 0xffffffc0, v4
	v_sub_u32_e32 v4, v13, v4
	v_lshlrev_b32_e32 v5, 6, v14
	v_sub_u32_e32 v4, v4, v5
	v_ashrrev_i32_e32 v5, 31, v4
	v_lshrrev_b32_e32 v5, 26, v5
	v_add_u32_e32 v5, v4, v5
	v_and_b32_e32 v8, 0x7fffffc0, v5
	v_sub_u32_e32 v4, v4, v8
	v_lshlrev_b32_e32 v5, 1, v5
	v_and_b32_e32 v5, 0xffffff80, v5
	v_lshlrev_b32_e32 v4, 1, v4
	v_add3_u32 v0, v5, v4, v0
	v_sub_u32_e32 v13, v25, v0
	v_cmp_lt_i32_e32 vcc, 1, v13
	s_and_b64 exec, exec, vcc
	s_cbranch_execz .LBB6_447
; %bb.441:                              ;   in Loop: Header=BB6_274 Depth=3
	s_trap 2
	ds_read_b128 v[8:11], v0
	v_add_u32_e32 v0, v0, v12
	ds_read_b64 v[14:15], v0
	v_ashrrev_i32_e32 v12, 31, v0
	s_and_b32 s46, s64, 1
	s_waitcnt lgkmcnt(0)
	v_add_co_u32_e32 v4, vcc, v8, v0
	v_addc_co_u32_e32 v5, vcc, v9, v12, vcc
	v_add_co_u32_e32 v8, vcc, v10, v0
	v_addc_co_u32_e32 v9, vcc, v11, v12, vcc
	;; [unrolled: 2-line block ×3, first 2 shown]
	s_cmp_eq_u64 s[46:47], 0
	s_mov_b64 s[58:59], 0
	s_cselect_b64 vcc, -1, 0
	s_branch .LBB6_443
.LBB6_442:                              ;   in Loop: Header=BB6_443 Depth=4
	s_or_b64 exec, exec, s[60:61]
	v_add_co_u32_e64 v4, s[28:29], v4, v59
	v_addc_co_u32_e64 v5, s[28:29], v5, v26, s[28:29]
	v_add_co_u32_e64 v8, s[28:29], v8, v59
	v_addc_co_u32_e64 v9, s[28:29], v9, v26, s[28:29]
	v_sub_u32_e32 v13, v13, v47
	v_cmp_gt_i32_e64 s[28:29], 2, v13
	flat_store_short_d16_hi v[10:11], v12 glc slc
	s_or_b64 s[58:59], s[28:29], s[58:59]
	v_add_co_u32_e64 v10, s[28:29], v10, v59
	v_addc_co_u32_e64 v11, s[28:29], v11, v26, s[28:29]
	s_andn2_b64 exec, exec, s[58:59]
	s_cbranch_execz .LBB6_447
.LBB6_443:                              ;   Parent Loop BB6_47 Depth=1
                                        ;     Parent Loop BB6_271 Depth=2
                                        ;       Parent Loop BB6_274 Depth=3
                                        ; =>      This Inner Loop Header: Depth=4
	flat_load_ushort v0, v[4:5] glc slc
	flat_load_ushort v12, v[8:9] glc slc
	s_waitcnt vmcnt(0) lgkmcnt(0)
	v_lshlrev_b32_e32 v0, 16, v0
	v_lshlrev_b32_e32 v12, 16, v12
	v_max_f32_e32 v12, v12, v12
	v_max_f32_e32 v0, v0, v0
	v_min_f32_e32 v14, v0, v12
	v_max_f32_e32 v0, v0, v12
	v_cndmask_b32_e32 v0, v0, v14, vcc
	v_and_b32_e32 v12, 0x7f800000, v0
	v_cmp_ne_u32_e64 s[28:29], s87, v12
                                        ; implicit-def: $vgpr12
	s_and_saveexec_b64 s[60:61], s[28:29]
	s_xor_b64 s[28:29], exec, s[60:61]
; %bb.444:                              ;   in Loop: Header=BB6_443 Depth=4
	v_bfe_u32 v12, v0, 16, 1
	v_add3_u32 v12, v0, v12, s88
                                        ; implicit-def: $vgpr0
; %bb.445:                              ;   in Loop: Header=BB6_443 Depth=4
	s_andn2_saveexec_b64 s[60:61], s[28:29]
	s_cbranch_execz .LBB6_442
; %bb.446:                              ;   in Loop: Header=BB6_443 Depth=4
	v_or_b32_e32 v12, 0x10000, v0
	v_cmp_eq_u32_sdwa s[28:29], v0, v52 src0_sel:WORD_0 src1_sel:DWORD
	v_cndmask_b32_e64 v12, v12, v0, s[28:29]
	s_branch .LBB6_442
.LBB6_447:                              ;   in Loop: Header=BB6_274 Depth=3
	s_or_b64 exec, exec, s[56:57]
	s_or_b64 exec, exec, s[30:31]
	s_and_saveexec_b64 s[28:29], s[10:11]
	s_cbranch_execz .LBB6_367
	s_branch .LBB6_491
.LBB6_448:                              ;   in Loop: Header=BB6_274 Depth=3
	s_or_b64 exec, exec, s[56:57]
	v_accvgpr_read_b32 v56, a3
	v_accvgpr_read_b32 v41, a13
	;; [unrolled: 1-line block ×4, first 2 shown]
	v_mov_b32_e32 v40, 1
.LBB6_449:                              ;   in Loop: Header=BB6_274 Depth=3
	s_or_b64 exec, exec, s[30:31]
	v_lshlrev_b32_e32 v20, 11, v61
	v_cmp_ne_u32_e32 vcc, v25, v20
	s_mov_b64 s[28:29], 0
	v_mov_b32_e32 v12, 0
                                        ; implicit-def: $vgpr13
                                        ; implicit-def: $vgpr4
	s_and_saveexec_b64 s[56:57], vcc
	s_cbranch_execz .LBB6_489
; %bb.450:                              ;   in Loop: Header=BB6_274 Depth=3
	v_lshlrev_b32_e32 v0, 6, v53
	v_accvgpr_read_b32 v5, a18
	v_sub_u32_e32 v0, v5, v0
	v_ashrrev_i32_e32 v5, 31, v0
	v_lshrrev_b32_e32 v5, 26, v5
	v_add_u32_e32 v5, v0, v5
	v_sub_u32_e32 v4, v25, v20
	v_ashrrev_i32_e32 v8, 6, v5
	v_and_b32_e32 v5, 0xffffffc0, v5
	v_sub_u32_e32 v21, v0, v5
	v_ashrrev_i32_e32 v5, 31, v4
	v_lshrrev_b32_e32 v5, 22, v5
	v_add_u32_e32 v5, v4, v5
	v_and_b32_e32 v22, 0xfffffc00, v5
	v_lshlrev_b32_e32 v0, 4, v21
	v_sub_u32_e32 v53, v4, v22
	v_lshl_add_u32 v0, v8, 10, v0
	v_ashrrev_i32_e32 v9, 10, v5
	v_cmp_lt_i32_e32 vcc, 15, v53
	v_sub_u32_e32 v40, v4, v0
	v_addc_co_u32_e64 v4, s[28:29], 0, v9, vcc
	v_sub_u32_e32 v23, v4, v8
	v_cmp_lt_i32_e64 s[28:29], 15, v40
	s_and_saveexec_b64 s[58:59], s[28:29]
	s_cbranch_execz .LBB6_486
; %bb.451:                              ;   in Loop: Header=BB6_274 Depth=3
	s_trap 2
	ds_read_b128 v[8:11], v0
	v_add_u32_e32 v0, v0, v20
	ds_read_b64 v[12:13], v0
	v_ashrrev_i32_e32 v14, 31, v0
	s_and_b32 s46, s64, 1
	s_waitcnt lgkmcnt(0)
	v_add_co_u32_e64 v4, s[28:29], v8, v0
	v_addc_co_u32_e64 v5, s[28:29], v9, v14, s[28:29]
	v_add_co_u32_e64 v16, s[28:29], v10, v0
	v_addc_co_u32_e64 v17, s[28:29], v11, v14, s[28:29]
	;; [unrolled: 2-line block ×3, first 2 shown]
	s_cmp_eq_u64 s[46:47], 0
	s_mov_b64 s[60:61], 0
	s_cselect_b64 s[28:29], -1, 0
	s_branch .LBB6_453
.LBB6_452:                              ;   in Loop: Header=BB6_453 Depth=4
	s_or_b64 exec, exec, s[62:63]
	v_lshrrev_b32_e32 v0, 16, v12
	v_and_or_b32 v9, v9, s89, v0
	v_lshrrev_b32_e32 v0, 16, v41
	v_add_co_u32_e64 v4, s[30:31], v4, v1
	v_and_or_b32 v8, v8, s89, v0
	v_lshrrev_b32_e32 v0, 16, v13
	v_addc_co_u32_e64 v5, s[30:31], v5, v58, s[30:31]
	v_and_or_b32 v10, v10, s89, v0
	v_lshrrev_b32_e32 v0, 16, v14
	v_add_co_u32_e64 v16, s[30:31], v16, v1
	v_and_or_b32 v11, v11, s89, v0
	v_addc_co_u32_e64 v17, s[30:31], v17, v58, s[30:31]
	global_store_dwordx4 v[18:19], v[8:11], off glc slc
	v_add_co_u32_e64 v18, s[30:31], v18, v1
	v_addc_co_u32_e64 v19, s[30:31], v19, v58, s[30:31]
	v_sub_u32_e32 v40, v40, v46
	v_cmp_gt_i32_e64 s[30:31], 16, v40
	s_or_b64 s[60:61], s[30:31], s[60:61]
	v_sub_u32_e32 v23, v23, v54
	s_andn2_b64 exec, exec, s[60:61]
	s_cbranch_execz .LBB6_485
.LBB6_453:                              ;   Parent Loop BB6_47 Depth=1
                                        ;     Parent Loop BB6_271 Depth=2
                                        ;       Parent Loop BB6_274 Depth=3
                                        ; =>      This Inner Loop Header: Depth=4
	global_load_dwordx4 v[8:11], v[4:5], off glc slc
	global_load_dwordx4 v[12:15], v[16:17], off glc slc
                                        ; implicit-def: $vgpr41
	s_waitcnt vmcnt(0)
	v_lshlrev_b32_e32 v0, 16, v8
	v_lshlrev_b32_e32 v38, 16, v12
	v_max_f32_e32 v38, v38, v38
	v_max_f32_e32 v0, v0, v0
	v_min_f32_e32 v39, v0, v38
	v_max_f32_e32 v0, v0, v38
	v_cndmask_b32_e64 v0, v0, v39, s[28:29]
	v_and_b32_e32 v38, 0x7f800000, v0
	v_cmp_ne_u32_e64 s[30:31], s87, v38
	s_and_saveexec_b64 s[62:63], s[30:31]
	s_xor_b64 s[30:31], exec, s[62:63]
; %bb.454:                              ;   in Loop: Header=BB6_453 Depth=4
	v_bfe_u32 v38, v0, 16, 1
	v_add3_u32 v41, v0, v38, s88
                                        ; implicit-def: $vgpr0
; %bb.455:                              ;   in Loop: Header=BB6_453 Depth=4
	s_andn2_saveexec_b64 s[62:63], s[30:31]
; %bb.456:                              ;   in Loop: Header=BB6_453 Depth=4
	v_or_b32_e32 v38, 0x10000, v0
	v_cmp_eq_u32_sdwa s[30:31], v0, v52 src0_sel:WORD_0 src1_sel:DWORD
	v_cndmask_b32_e64 v41, v38, v0, s[30:31]
; %bb.457:                              ;   in Loop: Header=BB6_453 Depth=4
	s_or_b64 exec, exec, s[62:63]
	v_and_b32_e32 v0, 0xffff0000, v8
	v_and_b32_e32 v8, 0xffff0000, v12
	v_max_f32_e32 v8, v8, v8
	v_max_f32_e32 v0, v0, v0
	v_min_f32_e32 v12, v0, v8
	v_max_f32_e32 v0, v0, v8
	v_cndmask_b32_e64 v0, v0, v12, s[28:29]
	v_and_b32_e32 v8, 0x7f800000, v0
	v_cmp_ne_u32_e64 s[30:31], s87, v8
                                        ; implicit-def: $vgpr8
	s_and_saveexec_b64 s[62:63], s[30:31]
	s_xor_b64 s[30:31], exec, s[62:63]
; %bb.458:                              ;   in Loop: Header=BB6_453 Depth=4
	v_bfe_u32 v8, v0, 16, 1
	v_add3_u32 v8, v0, v8, s88
                                        ; implicit-def: $vgpr0
; %bb.459:                              ;   in Loop: Header=BB6_453 Depth=4
	s_andn2_saveexec_b64 s[62:63], s[30:31]
; %bb.460:                              ;   in Loop: Header=BB6_453 Depth=4
	v_or_b32_e32 v8, 0x10000, v0
	v_cmp_eq_u32_sdwa s[30:31], v0, v52 src0_sel:WORD_0 src1_sel:DWORD
	v_cndmask_b32_e64 v8, v8, v0, s[30:31]
; %bb.461:                              ;   in Loop: Header=BB6_453 Depth=4
	s_or_b64 exec, exec, s[62:63]
	v_lshlrev_b32_e32 v0, 16, v9
	v_lshlrev_b32_e32 v12, 16, v13
	v_max_f32_e32 v12, v12, v12
	v_max_f32_e32 v0, v0, v0
	v_min_f32_e32 v38, v0, v12
	v_max_f32_e32 v0, v0, v12
	v_cndmask_b32_e64 v0, v0, v38, s[28:29]
	v_and_b32_e32 v12, 0x7f800000, v0
	v_cmp_ne_u32_e64 s[30:31], s87, v12
                                        ; implicit-def: $vgpr12
	s_and_saveexec_b64 s[62:63], s[30:31]
	s_xor_b64 s[30:31], exec, s[62:63]
; %bb.462:                              ;   in Loop: Header=BB6_453 Depth=4
	v_bfe_u32 v12, v0, 16, 1
	v_add3_u32 v12, v0, v12, s88
                                        ; implicit-def: $vgpr0
; %bb.463:                              ;   in Loop: Header=BB6_453 Depth=4
	s_andn2_saveexec_b64 s[62:63], s[30:31]
; %bb.464:                              ;   in Loop: Header=BB6_453 Depth=4
	v_or_b32_e32 v12, 0x10000, v0
	v_cmp_eq_u32_sdwa s[30:31], v0, v52 src0_sel:WORD_0 src1_sel:DWORD
	v_cndmask_b32_e64 v12, v12, v0, s[30:31]
; %bb.465:                              ;   in Loop: Header=BB6_453 Depth=4
	s_or_b64 exec, exec, s[62:63]
	v_and_b32_e32 v0, 0xffff0000, v9
	v_and_b32_e32 v9, 0xffff0000, v13
	v_max_f32_e32 v9, v9, v9
	v_max_f32_e32 v0, v0, v0
	v_min_f32_e32 v13, v0, v9
	v_max_f32_e32 v0, v0, v9
	v_cndmask_b32_e64 v0, v0, v13, s[28:29]
	v_and_b32_e32 v9, 0x7f800000, v0
	v_cmp_ne_u32_e64 s[30:31], s87, v9
                                        ; implicit-def: $vgpr9
	s_and_saveexec_b64 s[62:63], s[30:31]
	s_xor_b64 s[30:31], exec, s[62:63]
; %bb.466:                              ;   in Loop: Header=BB6_453 Depth=4
	v_bfe_u32 v9, v0, 16, 1
	v_add3_u32 v9, v0, v9, s88
                                        ; implicit-def: $vgpr0
; %bb.467:                              ;   in Loop: Header=BB6_453 Depth=4
	s_andn2_saveexec_b64 s[62:63], s[30:31]
; %bb.468:                              ;   in Loop: Header=BB6_453 Depth=4
	v_or_b32_e32 v9, 0x10000, v0
	v_cmp_eq_u32_sdwa s[30:31], v0, v52 src0_sel:WORD_0 src1_sel:DWORD
	v_cndmask_b32_e64 v9, v9, v0, s[30:31]
; %bb.469:                              ;   in Loop: Header=BB6_453 Depth=4
	s_or_b64 exec, exec, s[62:63]
	v_lshlrev_b32_e32 v0, 16, v10
	v_lshlrev_b32_e32 v13, 16, v14
	v_max_f32_e32 v13, v13, v13
	v_max_f32_e32 v0, v0, v0
	v_min_f32_e32 v38, v0, v13
	v_max_f32_e32 v0, v0, v13
	v_cndmask_b32_e64 v0, v0, v38, s[28:29]
	v_and_b32_e32 v13, 0x7f800000, v0
	v_cmp_ne_u32_e64 s[30:31], s87, v13
                                        ; implicit-def: $vgpr13
	s_and_saveexec_b64 s[62:63], s[30:31]
	s_xor_b64 s[30:31], exec, s[62:63]
; %bb.470:                              ;   in Loop: Header=BB6_453 Depth=4
	v_bfe_u32 v13, v0, 16, 1
	v_add3_u32 v13, v0, v13, s88
                                        ; implicit-def: $vgpr0
; %bb.471:                              ;   in Loop: Header=BB6_453 Depth=4
	s_andn2_saveexec_b64 s[62:63], s[30:31]
; %bb.472:                              ;   in Loop: Header=BB6_453 Depth=4
	v_or_b32_e32 v13, 0x10000, v0
	v_cmp_eq_u32_sdwa s[30:31], v0, v52 src0_sel:WORD_0 src1_sel:DWORD
	v_cndmask_b32_e64 v13, v13, v0, s[30:31]
; %bb.473:                              ;   in Loop: Header=BB6_453 Depth=4
	s_or_b64 exec, exec, s[62:63]
	v_and_b32_e32 v0, 0xffff0000, v10
	v_and_b32_e32 v10, 0xffff0000, v14
	v_max_f32_e32 v10, v10, v10
	v_max_f32_e32 v0, v0, v0
	v_min_f32_e32 v14, v0, v10
	v_max_f32_e32 v0, v0, v10
	v_cndmask_b32_e64 v0, v0, v14, s[28:29]
	v_and_b32_e32 v10, 0x7f800000, v0
	v_cmp_ne_u32_e64 s[30:31], s87, v10
                                        ; implicit-def: $vgpr10
	s_and_saveexec_b64 s[62:63], s[30:31]
	s_xor_b64 s[30:31], exec, s[62:63]
; %bb.474:                              ;   in Loop: Header=BB6_453 Depth=4
	v_bfe_u32 v10, v0, 16, 1
	v_add3_u32 v10, v0, v10, s88
                                        ; implicit-def: $vgpr0
; %bb.475:                              ;   in Loop: Header=BB6_453 Depth=4
	s_andn2_saveexec_b64 s[62:63], s[30:31]
; %bb.476:                              ;   in Loop: Header=BB6_453 Depth=4
	v_or_b32_e32 v10, 0x10000, v0
	v_cmp_eq_u32_sdwa s[30:31], v0, v52 src0_sel:WORD_0 src1_sel:DWORD
	v_cndmask_b32_e64 v10, v10, v0, s[30:31]
; %bb.477:                              ;   in Loop: Header=BB6_453 Depth=4
	s_or_b64 exec, exec, s[62:63]
	v_lshlrev_b32_e32 v0, 16, v11
	v_lshlrev_b32_e32 v14, 16, v15
	v_max_f32_e32 v14, v14, v14
	v_max_f32_e32 v0, v0, v0
	v_min_f32_e32 v38, v0, v14
	v_max_f32_e32 v0, v0, v14
	v_cndmask_b32_e64 v0, v0, v38, s[28:29]
	v_and_b32_e32 v14, 0x7f800000, v0
	v_cmp_ne_u32_e64 s[30:31], s87, v14
                                        ; implicit-def: $vgpr14
	s_and_saveexec_b64 s[62:63], s[30:31]
	s_xor_b64 s[30:31], exec, s[62:63]
; %bb.478:                              ;   in Loop: Header=BB6_453 Depth=4
	v_bfe_u32 v14, v0, 16, 1
	v_add3_u32 v14, v0, v14, s88
                                        ; implicit-def: $vgpr0
; %bb.479:                              ;   in Loop: Header=BB6_453 Depth=4
	s_andn2_saveexec_b64 s[62:63], s[30:31]
; %bb.480:                              ;   in Loop: Header=BB6_453 Depth=4
	v_or_b32_e32 v14, 0x10000, v0
	v_cmp_eq_u32_sdwa s[30:31], v0, v52 src0_sel:WORD_0 src1_sel:DWORD
	v_cndmask_b32_e64 v14, v14, v0, s[30:31]
; %bb.481:                              ;   in Loop: Header=BB6_453 Depth=4
	s_or_b64 exec, exec, s[62:63]
	v_and_b32_e32 v0, 0xffff0000, v11
	v_and_b32_e32 v11, 0xffff0000, v15
	v_max_f32_e32 v11, v11, v11
	v_max_f32_e32 v0, v0, v0
	v_min_f32_e32 v15, v0, v11
	v_max_f32_e32 v0, v0, v11
	v_cndmask_b32_e64 v0, v0, v15, s[28:29]
	v_and_b32_e32 v11, 0x7f800000, v0
	v_cmp_ne_u32_e64 s[30:31], s87, v11
                                        ; implicit-def: $vgpr11
	s_and_saveexec_b64 s[62:63], s[30:31]
	s_xor_b64 s[30:31], exec, s[62:63]
; %bb.482:                              ;   in Loop: Header=BB6_453 Depth=4
	v_bfe_u32 v11, v0, 16, 1
	v_add3_u32 v11, v0, v11, s88
                                        ; implicit-def: $vgpr0
; %bb.483:                              ;   in Loop: Header=BB6_453 Depth=4
	s_andn2_saveexec_b64 s[62:63], s[30:31]
	s_cbranch_execz .LBB6_452
; %bb.484:                              ;   in Loop: Header=BB6_453 Depth=4
	v_or_b32_e32 v11, 0x10000, v0
	v_cmp_eq_u32_sdwa s[30:31], v0, v52 src0_sel:WORD_0 src1_sel:DWORD
	v_cndmask_b32_e64 v11, v11, v0, s[30:31]
	s_branch .LBB6_452
.LBB6_485:                              ;   in Loop: Header=BB6_274 Depth=3
	s_or_b64 exec, exec, s[60:61]
	v_accvgpr_read_b32 v39, a21
.LBB6_486:                              ;   in Loop: Header=BB6_274 Depth=3
	s_or_b64 exec, exec, s[58:59]
	v_and_b32_e32 v0, 14, v25
	v_cndmask_b32_e32 v25, v53, v0, vcc
	s_mov_b64 s[30:31], 0
	v_mov_b32_e32 v12, 0
	v_cmp_ne_u32_e64 s[28:29], 0, v25
                                        ; implicit-def: $vgpr13
                                        ; implicit-def: $vgpr4
	s_mov_b64 s[58:59], exec
	s_and_b64 s[28:29], s[58:59], s[28:29]
	v_accvgpr_read_b32 v41, a13
	v_mov_b32_e32 v40, 1
	s_mov_b64 exec, s[28:29]
	s_cbranch_execz .LBB6_488
; %bb.487:                              ;   in Loop: Header=BB6_274 Depth=3
	v_sub_u32_e32 v0, v53, v0
	v_cndmask_b32_e32 v0, 0, v0, vcc
	v_cmp_lt_i32_e32 vcc, 0, v23
	v_add3_u32 v12, v22, v20, v0
	v_cndmask_b32_e32 v0, 0, v54, vcc
	v_sub_u32_e32 v0, v0, v23
	v_lshl_add_u32 v13, v0, 6, v21
	v_ashrrev_i32_e32 v0, 31, v13
	v_lshrrev_b32_e32 v0, 26, v0
	v_add_u32_e32 v0, v13, v0
	s_mov_b64 s[30:31], exec
	v_ashrrev_i32_e32 v4, 6, v0
.LBB6_488:                              ;   in Loop: Header=BB6_274 Depth=3
	s_or_b64 exec, exec, s[58:59]
	s_and_b64 s[28:29], s[30:31], exec
.LBB6_489:                              ;   in Loop: Header=BB6_274 Depth=3
	s_or_b64 exec, exec, s[56:57]
	s_and_saveexec_b64 s[30:31], s[28:29]
	s_cbranch_execnz .LBB6_347
.LBB6_490:                              ;   in Loop: Header=BB6_274 Depth=3
	s_or_b64 exec, exec, s[30:31]
	s_and_saveexec_b64 s[28:29], s[10:11]
	s_cbranch_execz .LBB6_367
.LBB6_491:                              ;   in Loop: Header=BB6_274 Depth=3
	s_and_saveexec_b64 vcc, s[48:49]
	s_xor_b64 s[30:31], exec, vcc
	s_cbranch_execz .LBB6_506
; %bb.492:                              ;   in Loop: Header=BB6_274 Depth=3
	s_and_saveexec_b64 s[56:57], s[16:17]
	s_cbranch_execz .LBB6_505
; %bb.493:                              ;   in Loop: Header=BB6_274 Depth=3
	s_mov_b64 s[60:61], exec
	v_mbcnt_lo_u32_b32 v0, s60, 0
	v_mbcnt_hi_u32_b32 v0, s61, v0
	v_cmp_eq_u32_e32 vcc, 0, v0
	s_waitcnt vmcnt(0) lgkmcnt(0)
	buffer_wbinvl1_vol
	s_and_saveexec_b64 s[58:59], vcc
	s_cbranch_execz .LBB6_495
; %bb.494:                              ;   in Loop: Header=BB6_274 Depth=3
	s_bcnt1_i32_b64 vcc_lo, s[60:61]
	v_mov_b32_e32 v4, vcc_lo
	v_mov_b32_e32 v5, v52
	ds_add_u64 v0, v[4:5]
	s_trap 2
.LBB6_495:                              ;   in Loop: Header=BB6_274 Depth=3
	s_or_b64 exec, exec, s[58:59]
	s_trap 2
	ds_read_b64 v[4:5], v0
	v_add_co_u32_e32 v48, vcc, v48, v54
	v_addc_co_u32_e32 v49, vcc, 0, v49, vcc
	s_waitcnt lgkmcnt(0)
	v_cmp_lt_u64_e32 vcc, v[4:5], v[48:49]
	s_and_saveexec_b64 s[58:59], vcc
	s_cbranch_execz .LBB6_504
; %bb.496:                              ;   in Loop: Header=BB6_274 Depth=3
	s_mov_b32 s46, 0
	s_mov_b64 s[60:61], 0
                                        ; implicit-def: $sgpr62_sgpr63
                                        ; implicit-def: $sgpr64_sgpr65
	s_branch .LBB6_498
.LBB6_497:                              ;   in Loop: Header=BB6_498 Depth=4
	s_or_b64 exec, exec, s[68:69]
	s_and_b64 vcc, exec, vcc
	s_or_b64 s[60:61], vcc, s[60:61]
	s_andn2_b64 vcc, s[62:63], exec
	s_and_b64 s[62:63], s[64:65], exec
	s_or_b64 s[62:63], vcc, s[62:63]
	s_andn2_b64 exec, exec, s[60:61]
	s_cbranch_execz .LBB6_502
.LBB6_498:                              ;   Parent Loop BB6_47 Depth=1
                                        ;     Parent Loop BB6_271 Depth=2
                                        ;       Parent Loop BB6_274 Depth=3
                                        ; =>      This Inner Loop Header: Depth=4
	s_add_i32 s46, s46, 1
	s_cmpk_lg_i32 s46, 0x2710
	s_cselect_b64 s[66:67], -1, 0
	s_and_b64 vcc, exec, s[66:67]
                                        ; implicit-def: $sgpr68_sgpr69
	s_cbranch_vccnz .LBB6_500
; %bb.499:                              ;   in Loop: Header=BB6_498 Depth=4
	s_trap 2
	ds_read_b64 v[4:5], v0
	s_andn2_b64 s[66:67], s[66:67], exec
	s_mov_b32 s46, 0
	s_mov_b64 s[68:69], -1
	s_waitcnt lgkmcnt(0)
	flat_load_dword v0, v[4:5] glc
	s_waitcnt vmcnt(0) lgkmcnt(0)
	buffer_invl2
	buffer_wbinvl1_vol
	v_cmp_eq_u32_e32 vcc, 0, v0
	s_and_b64 vcc, vcc, exec
	s_or_b64 s[66:67], s[66:67], vcc
.LBB6_500:                              ;   in Loop: Header=BB6_498 Depth=4
	s_andn2_b64 s[64:65], s[64:65], exec
	s_and_b64 s[68:69], s[68:69], exec
	s_mov_b64 vcc, -1
	s_or_b64 s[64:65], s[64:65], s[68:69]
	s_and_saveexec_b64 s[68:69], s[66:67]
	s_cbranch_execz .LBB6_497
; %bb.501:                              ;   in Loop: Header=BB6_498 Depth=4
	s_sleep 1
	s_trap 2
	ds_read_b64 v[4:5], v0
	s_andn2_b64 s[64:65], s[64:65], exec
	s_waitcnt lgkmcnt(0)
	v_cmp_ge_u64_e32 vcc, v[4:5], v[48:49]
	s_orn2_b64 vcc, vcc, exec
	s_branch .LBB6_497
.LBB6_502:                              ;   in Loop: Header=BB6_274 Depth=3
	s_or_b64 exec, exec, s[60:61]
	s_and_saveexec_b64 vcc, s[62:63]
	s_xor_b64 vcc, exec, vcc
	s_cbranch_execz .LBB6_504
; %bb.503:                              ;   in Loop: Header=BB6_274 Depth=3
	ds_write_b32 v0, v40
	s_trap 2
.LBB6_504:                              ;   in Loop: Header=BB6_274 Depth=3
	s_or_b64 exec, exec, s[58:59]
	;;#ASMSTART
	s_wakeup
	;;#ASMEND
.LBB6_505:                              ;   in Loop: Header=BB6_274 Depth=3
	s_or_b64 exec, exec, s[56:57]
.LBB6_506:                              ;   in Loop: Header=BB6_274 Depth=3
	s_andn2_saveexec_b64 vcc, s[30:31]
	s_cbranch_execz .LBB6_508
; %bb.507:                              ;   in Loop: Header=BB6_274 Depth=3
	s_waitcnt vmcnt(0) lgkmcnt(0)
	buffer_wbinvl1_vol
	s_barrier
.LBB6_508:                              ;   in Loop: Header=BB6_274 Depth=3
	s_or_b64 exec, exec, vcc
	s_or_b64 exec, exec, s[28:29]
                                        ; implicit-def: $vgpr4
	s_and_saveexec_b64 s[28:29], s[24:25]
	s_xor_b64 s[30:31], exec, s[28:29]
	s_cbranch_execnz .LBB6_368
.LBB6_509:                              ;   in Loop: Header=BB6_274 Depth=3
	s_andn2_saveexec_b64 s[28:29], s[30:31]
	s_cbranch_execz .LBB6_528
.LBB6_510:                              ;   in Loop: Header=BB6_274 Depth=3
	s_and_saveexec_b64 vcc, s[48:49]
	s_xor_b64 s[30:31], exec, vcc
	s_cbranch_execz .LBB6_525
; %bb.511:                              ;   in Loop: Header=BB6_274 Depth=3
	s_and_saveexec_b64 s[56:57], s[16:17]
	s_cbranch_execz .LBB6_524
; %bb.512:                              ;   in Loop: Header=BB6_274 Depth=3
	s_mov_b64 s[60:61], exec
	v_mbcnt_lo_u32_b32 v0, s60, 0
	v_mbcnt_hi_u32_b32 v0, s61, v0
	v_cmp_eq_u32_e32 vcc, 0, v0
	;;#ASMSTART
	s_waitcnt lgkmcnt(0) vmcnt(0)
	;;#ASMEND
	s_and_saveexec_b64 s[58:59], vcc
	s_cbranch_execz .LBB6_514
; %bb.513:                              ;   in Loop: Header=BB6_274 Depth=3
	s_bcnt1_i32_b64 vcc_lo, s[60:61]
	v_mov_b32_e32 v4, vcc_lo
	v_mov_b32_e32 v5, v52
	ds_add_u64 v0, v[4:5]
	s_trap 2
.LBB6_514:                              ;   in Loop: Header=BB6_274 Depth=3
	s_or_b64 exec, exec, s[58:59]
	s_trap 2
	ds_read_b64 v[4:5], v0
	v_add_co_u32_e32 v48, vcc, v48, v54
	v_addc_co_u32_e32 v49, vcc, 0, v49, vcc
	s_waitcnt lgkmcnt(0)
	v_cmp_lt_u64_e32 vcc, v[4:5], v[48:49]
	s_and_saveexec_b64 s[58:59], vcc
	s_cbranch_execz .LBB6_523
; %bb.515:                              ;   in Loop: Header=BB6_274 Depth=3
	s_mov_b32 s46, 0
	s_mov_b64 s[60:61], 0
                                        ; implicit-def: $sgpr62_sgpr63
                                        ; implicit-def: $sgpr64_sgpr65
	s_branch .LBB6_517
.LBB6_516:                              ;   in Loop: Header=BB6_517 Depth=4
	s_or_b64 exec, exec, s[68:69]
	s_and_b64 vcc, exec, vcc
	s_or_b64 s[60:61], vcc, s[60:61]
	s_andn2_b64 vcc, s[62:63], exec
	s_and_b64 s[62:63], s[64:65], exec
	s_or_b64 s[62:63], vcc, s[62:63]
	s_andn2_b64 exec, exec, s[60:61]
	s_cbranch_execz .LBB6_521
.LBB6_517:                              ;   Parent Loop BB6_47 Depth=1
                                        ;     Parent Loop BB6_271 Depth=2
                                        ;       Parent Loop BB6_274 Depth=3
                                        ; =>      This Inner Loop Header: Depth=4
	s_add_i32 s46, s46, 1
	s_cmpk_lg_i32 s46, 0x2710
	s_cselect_b64 s[66:67], -1, 0
	s_and_b64 vcc, exec, s[66:67]
                                        ; implicit-def: $sgpr68_sgpr69
	s_cbranch_vccnz .LBB6_519
; %bb.518:                              ;   in Loop: Header=BB6_517 Depth=4
	s_trap 2
	ds_read_b64 v[4:5], v0
	s_andn2_b64 s[66:67], s[66:67], exec
	s_mov_b32 s46, 0
	s_mov_b64 s[68:69], -1
	s_waitcnt vmcnt(0) lgkmcnt(0)
	flat_load_dword v0, v[4:5] glc
	s_waitcnt vmcnt(0) lgkmcnt(0)
	buffer_invl2
	buffer_wbinvl1_vol
	v_cmp_eq_u32_e32 vcc, 0, v0
	s_and_b64 vcc, vcc, exec
	s_or_b64 s[66:67], s[66:67], vcc
.LBB6_519:                              ;   in Loop: Header=BB6_517 Depth=4
	s_andn2_b64 s[64:65], s[64:65], exec
	s_and_b64 s[68:69], s[68:69], exec
	s_mov_b64 vcc, -1
	s_or_b64 s[64:65], s[64:65], s[68:69]
	s_and_saveexec_b64 s[68:69], s[66:67]
	s_cbranch_execz .LBB6_516
; %bb.520:                              ;   in Loop: Header=BB6_517 Depth=4
	s_sleep 1
	s_trap 2
	ds_read_b64 v[4:5], v0
	s_andn2_b64 s[64:65], s[64:65], exec
	s_waitcnt lgkmcnt(0)
	v_cmp_ge_u64_e32 vcc, v[4:5], v[48:49]
	s_orn2_b64 vcc, vcc, exec
	s_branch .LBB6_516
.LBB6_521:                              ;   in Loop: Header=BB6_274 Depth=3
	s_or_b64 exec, exec, s[60:61]
	s_and_saveexec_b64 vcc, s[62:63]
	s_xor_b64 vcc, exec, vcc
	s_cbranch_execz .LBB6_523
; %bb.522:                              ;   in Loop: Header=BB6_274 Depth=3
	ds_write_b32 v0, v40
	s_trap 2
.LBB6_523:                              ;   in Loop: Header=BB6_274 Depth=3
	s_or_b64 exec, exec, s[58:59]
	;;#ASMSTART
	s_wakeup
	;;#ASMEND
.LBB6_524:                              ;   in Loop: Header=BB6_274 Depth=3
	s_or_b64 exec, exec, s[56:57]
.LBB6_525:                              ;   in Loop: Header=BB6_274 Depth=3
	s_andn2_saveexec_b64 vcc, s[30:31]
	s_cbranch_execz .LBB6_527
; %bb.526:                              ;   in Loop: Header=BB6_274 Depth=3
	;;#ASMSTART
	s_waitcnt lgkmcnt(0) vmcnt(0)
	;;#ASMEND
	s_barrier
.LBB6_527:                              ;   in Loop: Header=BB6_274 Depth=3
	s_or_b64 exec, exec, vcc
	v_and_b32_e32 v4, 16, v62
.LBB6_528:                              ;   in Loop: Header=BB6_274 Depth=3
	s_or_b64 exec, exec, s[28:29]
	v_cmp_ne_u32_e32 vcc, 0, v4
	s_xor_b64 s[28:29], s[12:13], -1
	s_and_b64 vcc, vcc, s[28:29]
	s_and_saveexec_b64 s[28:29], vcc
	s_cbranch_execz .LBB6_530
; %bb.529:                              ;   in Loop: Header=BB6_274 Depth=3
	flat_store_dword v[44:45], v40
.LBB6_530:                              ;   in Loop: Header=BB6_274 Depth=3
	s_or_b64 exec, exec, s[28:29]
	v_and_b32_e32 v0, 48, v62
	v_cmp_ne_u32_e32 vcc, 0, v0
	s_and_saveexec_b64 s[28:29], vcc
	s_cbranch_execz .LBB6_273
; %bb.531:                              ;   in Loop: Header=BB6_274 Depth=3
	v_add_co_u32_e32 v32, vcc, 2, v32
	v_addc_co_u32_e32 v33, vcc, 0, v33, vcc
	flat_store_dwordx2 v[34:35], v[32:33]
	s_branch .LBB6_273
.LBB6_532:                              ;   in Loop: Header=BB6_271 Depth=2
	s_or_b64 exec, exec, s[34:35]
	v_cmp_gt_i32_e32 vcc, 2, v3
	s_and_saveexec_b64 s[30:31], vcc
	s_cbranch_execz .LBB6_270
	s_branch .LBB6_534
.LBB6_533:                              ;   in Loop: Header=BB6_271 Depth=2
	s_or_b64 exec, exec, s[36:37]
	s_or_b64 exec, exec, s[34:35]
	v_cmp_gt_i32_e32 vcc, 2, v3
	s_and_saveexec_b64 s[30:31], vcc
	s_cbranch_execz .LBB6_270
.LBB6_534:                              ;   in Loop: Header=BB6_271 Depth=2
	v_cmp_eq_u32_e64 s[28:29], 0, v3
	s_mov_b64 s[34:35], 0
	s_branch .LBB6_536
.LBB6_535:                              ;   in Loop: Header=BB6_536 Depth=3
	s_or_b64 exec, exec, s[28:29]
	v_add_u32_e32 v24, v2, v24
	s_mov_b64 s[28:29], 0
	s_andn2_b64 exec, exec, s[34:35]
	s_cbranch_execz .LBB6_269
.LBB6_536:                              ;   Parent Loop BB6_47 Depth=1
                                        ;     Parent Loop BB6_271 Depth=2
                                        ; =>    This Loop Header: Depth=3
                                        ;         Child Loop BB6_542 Depth 4
                                        ;         Child Loop BB6_582 Depth 4
	;; [unrolled: 1-line block ×3, first 2 shown]
	v_and_b32_e32 v0, 12, v62
	s_mov_b64 s[38:39], -1
	v_cmp_ne_u32_e32 vcc, 0, v0
	s_and_saveexec_b64 s[36:37], vcc
	s_cbranch_execz .LBB6_548
; %bb.537:                              ;   in Loop: Header=BB6_536 Depth=3
	v_and_b32_e32 v4, 8, v62
	v_add_co_u32_e32 v10, vcc, v50, v4
	v_addc_co_u32_e32 v11, vcc, 0, v51, vcc
	v_add_co_u32_e32 v8, vcc, 2, v32
	v_addc_co_u32_e32 v9, vcc, 0, v33, vcc
	v_cmp_lt_u64_e32 vcc, v[10:11], v[8:9]
	v_mov_b32_e32 v0, 1
	s_and_saveexec_b64 s[38:39], vcc
	s_cbranch_execz .LBB6_547
; %bb.538:                              ;   in Loop: Header=BB6_536 Depth=3
	s_mov_b64 s[56:57], 0
	v_mov_b32_e32 v3, 0
                                        ; implicit-def: $sgpr58_sgpr59
	s_branch .LBB6_542
.LBB6_539:                              ;   in Loop: Header=BB6_542 Depth=4
	s_or_b64 exec, exec, s[66:67]
	v_mov_b32_e32 v0, 0
	s_orn2_b64 s[64:65], s[64:65], exec
.LBB6_540:                              ;   in Loop: Header=BB6_542 Depth=4
	s_or_b64 exec, exec, s[62:63]
	s_andn2_b64 vcc, s[58:59], exec
	s_and_b64 s[58:59], s[64:65], exec
	s_or_b64 s[58:59], vcc, s[58:59]
	v_mov_b32_e32 v3, v0
.LBB6_541:                              ;   in Loop: Header=BB6_542 Depth=4
	s_or_b64 exec, exec, s[60:61]
	s_waitcnt vmcnt(0) lgkmcnt(0)
	v_add_co_u32_e32 v10, vcc, v50, v4
	v_addc_co_u32_e32 v11, vcc, 0, v51, vcc
	v_cmp_ge_u64_e32 vcc, v[10:11], v[8:9]
	s_xor_b64 s[60:61], s[58:59], -1
	s_or_b64 vcc, s[60:61], vcc
	s_and_b64 vcc, exec, vcc
	s_or_b64 s[56:57], vcc, s[56:57]
	s_andn2_b64 exec, exec, s[56:57]
	s_cbranch_execz .LBB6_546
.LBB6_542:                              ;   Parent Loop BB6_47 Depth=1
                                        ;     Parent Loop BB6_271 Depth=2
                                        ;       Parent Loop BB6_536 Depth=3
                                        ; =>      This Inner Loop Header: Depth=4
	s_sleep 1
	flat_load_dwordx2 v[50:51], v[34:35] glc
	v_and_b32_e32 v0, 64, v62
	v_cmp_eq_u32_e32 vcc, 0, v0
	s_andn2_b64 s[58:59], s[58:59], exec
	s_and_saveexec_b64 s[60:61], vcc
	s_cbranch_execz .LBB6_541
; %bb.543:                              ;   in Loop: Header=BB6_542 Depth=4
	v_add_u32_e32 v0, 1, v3
	v_cmp_lt_i32_e32 vcc, s85, v3
	s_mov_b64 s[64:65], -1
	s_and_saveexec_b64 s[62:63], vcc
	s_cbranch_execz .LBB6_540
; %bb.544:                              ;   in Loop: Header=BB6_542 Depth=4
	s_trap 2
	ds_read_b64 v[10:11], v0
	s_waitcnt vmcnt(0) lgkmcnt(0)
	flat_load_dword v0, v[10:11] glc
	s_waitcnt vmcnt(0) lgkmcnt(0)
	buffer_invl2
	buffer_wbinvl1_vol
	v_cmp_ne_u32_e32 vcc, 0, v0
	s_and_saveexec_b64 s[66:67], vcc
	s_cbranch_execz .LBB6_539
; %bb.545:                              ;   in Loop: Header=BB6_542 Depth=4
	v_or_b32_e32 v62, 64, v62
	s_xor_b64 s[64:65], exec, -1
	ds_write_b32 v0, v0
	s_trap 2
	s_branch .LBB6_539
.LBB6_546:                              ;   in Loop: Header=BB6_536 Depth=3
	s_or_b64 exec, exec, s[56:57]
	v_and_b32_e32 v0, 12, v62
.LBB6_547:                              ;   in Loop: Header=BB6_536 Depth=3
	s_or_b64 exec, exec, s[38:39]
	v_cmp_eq_u32_e32 vcc, 0, v0
	s_orn2_b64 s[38:39], vcc, exec
	;;#ASMSTART
	s_wakeup
	;;#ASMEND
.LBB6_548:                              ;   in Loop: Header=BB6_536 Depth=3
	s_or_b64 exec, exec, s[36:37]
	s_xor_b64 s[28:29], s[28:29], -1
	s_and_b64 s[28:29], exec, s[28:29]
	s_or_b64 s[34:35], s[28:29], s[34:35]
	v_sub_u32_e32 v0, v60, v24
	s_xor_b64 s[28:29], s[38:39], -1
	v_min_i32_e32 v2, v2, v0
	s_and_saveexec_b64 s[36:37], s[28:29]
	s_cbranch_execz .LBB6_574
; %bb.549:                              ;   in Loop: Header=BB6_536 Depth=3
	v_and_b32_e32 v0, 0x108, v62
	v_cmp_ne_u32_e32 vcc, s86, v0
	v_and_b32_e32 v4, 7, v32
	s_and_saveexec_b64 s[28:29], vcc
	s_xor_b64 s[28:29], exec, s[28:29]
                                        ; implicit-def: $vgpr8_vgpr9
; %bb.550:                              ;   in Loop: Header=BB6_536 Depth=3
	v_mov_b32_e32 v9, v52
; %bb.551:                              ;   in Loop: Header=BB6_536 Depth=3
	s_andn2_saveexec_b64 s[28:29], s[28:29]
	s_cbranch_execz .LBB6_553
; %bb.552:                              ;   in Loop: Header=BB6_536 Depth=3
	v_ashrrev_i32_e32 v3, 31, v2
	v_mov_b32_e32 v9, v52
	v_mad_u64_u32 v[10:11], vcc, v4, 24, v[6:7]
	v_lshlrev_b64 v[12:13], 1, v[2:3]
	flat_store_dwordx2 v[10:11], v[12:13] offset:8
.LBB6_553:                              ;   in Loop: Header=BB6_536 Depth=3
	s_or_b64 exec, exec, s[28:29]
	v_and_b32_e32 v0, 0x100, v62
	v_cmp_ne_u32_e32 vcc, 0, v0
	s_mov_b64 s[28:29], -1
                                        ; implicit-def: $vgpr10_vgpr11
	s_and_saveexec_b64 s[38:39], vcc
	s_cbranch_execz .LBB6_557
; %bb.554:                              ;   in Loop: Header=BB6_536 Depth=3
	v_mad_u64_u32 v[12:13], s[28:29], v4, 24, v[6:7]
	v_mov_b32_e32 v0, v13
	v_mad_u64_u32 v[10:11], s[28:29], v9, 24, v[0:1]
	v_mov_b32_e32 v13, v10
	flat_load_dword v0, v[12:13]
                                        ; implicit-def: $vgpr10_vgpr11
	s_waitcnt vmcnt(0) lgkmcnt(0)
	v_cmp_ne_u32_e32 vcc, 1, v0
	v_cmp_eq_u32_e64 s[28:29], 1, v0
	s_and_saveexec_b64 s[56:57], s[28:29]
	s_cbranch_execz .LBB6_556
; %bb.555:                              ;   in Loop: Header=BB6_536 Depth=3
	flat_load_dword v10, v[12:13] offset:4 glc
	s_waitcnt vmcnt(0) lgkmcnt(0)
	v_ashrrev_i32_e32 v11, 31, v10
	v_lshrrev_b64 v[10:11], 1, v[10:11]
.LBB6_556:                              ;   in Loop: Header=BB6_536 Depth=3
	s_or_b64 exec, exec, s[56:57]
	s_orn2_b64 s[28:29], vcc, exec
.LBB6_557:                              ;   in Loop: Header=BB6_536 Depth=3
	s_or_b64 exec, exec, s[38:39]
	s_and_saveexec_b64 vcc, s[28:29]
; %bb.558:                              ;   in Loop: Header=BB6_536 Depth=3
	v_mul_lo_u32 v0, v9, v30
	v_mul_lo_u32 v3, v4, v41
	v_mad_u64_u32 v[10:11], s[28:29], v4, v30, 0
	v_add3_u32 v11, v11, v3, v0
; %bb.559:                              ;   in Loop: Header=BB6_536 Depth=3
	s_or_b64 exec, exec, vcc
	v_lshlrev_b64 v[4:5], 1, v[10:11]
	v_add_co_u32_e32 v4, vcc, v36, v4
	v_addc_co_u32_e32 v5, vcc, v37, v5, vcc
	s_trap 2
	ds_write_b64 v0, v[4:5]
	v_and_b32_e32 v0, 0x2000, v62
	v_cmp_ne_u32_e32 vcc, 0, v0
	s_and_saveexec_b64 s[28:29], vcc
	s_cbranch_execz .LBB6_561
; %bb.560:                              ;   in Loop: Header=BB6_536 Depth=3
	ds_read_b64 v[4:5], v0 offset:584
	s_waitcnt lgkmcnt(0)
	v_add_co_u32_e32 v4, vcc, 1, v4
	v_addc_co_u32_e32 v5, vcc, 0, v5, vcc
	ds_write_b64 v0, v[4:5] offset:584
.LBB6_561:                              ;   in Loop: Header=BB6_536 Depth=3
	s_or_b64 exec, exec, s[28:29]
	v_add_co_u32_e32 v32, vcc, 2, v32
	v_addc_co_u32_e32 v33, vcc, 0, v33, vcc
	s_or_b64 exec, exec, s[36:37]
	s_and_saveexec_b64 s[28:29], s[10:11]
	s_cbranch_execnz .LBB6_575
.LBB6_562:                              ;   in Loop: Header=BB6_536 Depth=3
	s_or_b64 exec, exec, s[28:29]
                                        ; implicit-def: $vgpr3
	s_and_saveexec_b64 s[28:29], s[52:53]
	s_xor_b64 s[28:29], exec, s[28:29]
	s_cbranch_execz .LBB6_600
.LBB6_563:                              ;   in Loop: Header=BB6_536 Depth=3
	s_and_saveexec_b64 vcc, s[48:49]
	s_xor_b64 s[36:37], exec, vcc
	s_cbranch_execz .LBB6_590
; %bb.564:                              ;   in Loop: Header=BB6_536 Depth=3
	s_and_saveexec_b64 s[38:39], s[16:17]
	s_cbranch_execz .LBB6_589
; %bb.565:                              ;   in Loop: Header=BB6_536 Depth=3
	s_mov_b64 s[58:59], exec
	v_mbcnt_lo_u32_b32 v0, s58, 0
	v_mbcnt_hi_u32_b32 v0, s59, v0
	v_cmp_eq_u32_e32 vcc, 0, v0
	;;#ASMSTART
	s_waitcnt lgkmcnt(0) vmcnt(0)
	;;#ASMEND
	s_and_saveexec_b64 s[56:57], vcc
	s_cbranch_execz .LBB6_567
; %bb.566:                              ;   in Loop: Header=BB6_536 Depth=3
	s_bcnt1_i32_b64 vcc_lo, s[58:59]
	v_mov_b32_e32 v4, vcc_lo
	v_mov_b32_e32 v5, v52
	ds_add_u64 v0, v[4:5]
	s_trap 2
.LBB6_567:                              ;   in Loop: Header=BB6_536 Depth=3
	s_or_b64 exec, exec, s[56:57]
	s_trap 2
	ds_read_b64 v[4:5], v0
	v_add_co_u32_e32 v48, vcc, v48, v54
	v_addc_co_u32_e32 v49, vcc, 0, v49, vcc
	s_waitcnt lgkmcnt(0)
	v_cmp_lt_u64_e32 vcc, v[4:5], v[48:49]
	s_and_saveexec_b64 s[56:57], vcc
	s_cbranch_execz .LBB6_588
; %bb.568:                              ;   in Loop: Header=BB6_536 Depth=3
	s_mov_b32 s46, 0
	s_mov_b64 s[58:59], 0
                                        ; implicit-def: $sgpr60_sgpr61
                                        ; implicit-def: $sgpr62_sgpr63
	s_branch .LBB6_570
.LBB6_569:                              ;   in Loop: Header=BB6_570 Depth=4
	s_or_b64 exec, exec, s[66:67]
	s_and_b64 vcc, exec, vcc
	s_or_b64 s[58:59], vcc, s[58:59]
	s_andn2_b64 vcc, s[60:61], exec
	s_and_b64 s[60:61], s[62:63], exec
	s_or_b64 s[60:61], vcc, s[60:61]
	s_andn2_b64 exec, exec, s[58:59]
	s_cbranch_execz .LBB6_586
.LBB6_570:                              ;   Parent Loop BB6_47 Depth=1
                                        ;     Parent Loop BB6_271 Depth=2
                                        ;       Parent Loop BB6_536 Depth=3
                                        ; =>      This Inner Loop Header: Depth=4
	s_add_i32 s46, s46, 1
	s_cmpk_lg_i32 s46, 0x2710
	s_cselect_b64 s[64:65], -1, 0
	s_and_b64 vcc, exec, s[64:65]
                                        ; implicit-def: $sgpr66_sgpr67
	s_cbranch_vccnz .LBB6_572
; %bb.571:                              ;   in Loop: Header=BB6_570 Depth=4
	s_trap 2
	ds_read_b64 v[4:5], v0
	s_andn2_b64 s[64:65], s[64:65], exec
	s_mov_b32 s46, 0
	s_mov_b64 s[66:67], -1
	s_waitcnt vmcnt(0) lgkmcnt(0)
	flat_load_dword v0, v[4:5] glc
	s_waitcnt vmcnt(0) lgkmcnt(0)
	buffer_invl2
	buffer_wbinvl1_vol
	v_cmp_eq_u32_e32 vcc, 0, v0
	s_and_b64 vcc, vcc, exec
	s_or_b64 s[64:65], s[64:65], vcc
.LBB6_572:                              ;   in Loop: Header=BB6_570 Depth=4
	s_andn2_b64 s[62:63], s[62:63], exec
	s_and_b64 s[66:67], s[66:67], exec
	s_mov_b64 vcc, -1
	s_or_b64 s[62:63], s[62:63], s[66:67]
	s_and_saveexec_b64 s[66:67], s[64:65]
	s_cbranch_execz .LBB6_569
; %bb.573:                              ;   in Loop: Header=BB6_570 Depth=4
	s_sleep 1
	s_trap 2
	ds_read_b64 v[4:5], v0
	s_andn2_b64 s[62:63], s[62:63], exec
	s_waitcnt lgkmcnt(0)
	v_cmp_ge_u64_e32 vcc, v[4:5], v[48:49]
	s_orn2_b64 vcc, vcc, exec
	s_branch .LBB6_569
.LBB6_574:                              ;   in Loop: Header=BB6_536 Depth=3
	s_or_b64 exec, exec, s[36:37]
	s_and_saveexec_b64 s[28:29], s[10:11]
	s_cbranch_execz .LBB6_562
.LBB6_575:                              ;   in Loop: Header=BB6_536 Depth=3
	s_and_saveexec_b64 vcc, s[48:49]
	s_xor_b64 s[36:37], exec, vcc
	s_cbranch_execz .LBB6_597
; %bb.576:                              ;   in Loop: Header=BB6_536 Depth=3
	s_and_saveexec_b64 s[38:39], s[16:17]
	s_cbranch_execz .LBB6_596
; %bb.577:                              ;   in Loop: Header=BB6_536 Depth=3
	s_mov_b64 s[58:59], exec
	v_mbcnt_lo_u32_b32 v0, s58, 0
	v_mbcnt_hi_u32_b32 v0, s59, v0
	v_cmp_eq_u32_e32 vcc, 0, v0
	s_waitcnt vmcnt(0) lgkmcnt(0)
	buffer_wbinvl1_vol
	s_and_saveexec_b64 s[56:57], vcc
	s_cbranch_execz .LBB6_579
; %bb.578:                              ;   in Loop: Header=BB6_536 Depth=3
	s_bcnt1_i32_b64 vcc_lo, s[58:59]
	v_mov_b32_e32 v4, vcc_lo
	v_mov_b32_e32 v5, v52
	ds_add_u64 v0, v[4:5]
	s_trap 2
.LBB6_579:                              ;   in Loop: Header=BB6_536 Depth=3
	s_or_b64 exec, exec, s[56:57]
	s_trap 2
	ds_read_b64 v[4:5], v0
	v_add_co_u32_e32 v48, vcc, v48, v54
	v_addc_co_u32_e32 v49, vcc, 0, v49, vcc
	s_waitcnt lgkmcnt(0)
	v_cmp_lt_u64_e32 vcc, v[4:5], v[48:49]
	s_and_saveexec_b64 s[56:57], vcc
	s_cbranch_execz .LBB6_595
; %bb.580:                              ;   in Loop: Header=BB6_536 Depth=3
	s_mov_b32 s46, 0
	s_mov_b64 s[58:59], 0
                                        ; implicit-def: $sgpr60_sgpr61
                                        ; implicit-def: $sgpr62_sgpr63
	s_branch .LBB6_582
.LBB6_581:                              ;   in Loop: Header=BB6_582 Depth=4
	s_or_b64 exec, exec, s[66:67]
	s_and_b64 vcc, exec, vcc
	s_or_b64 s[58:59], vcc, s[58:59]
	s_andn2_b64 vcc, s[60:61], exec
	s_and_b64 s[60:61], s[62:63], exec
	s_or_b64 s[60:61], vcc, s[60:61]
	s_andn2_b64 exec, exec, s[58:59]
	s_cbranch_execz .LBB6_593
.LBB6_582:                              ;   Parent Loop BB6_47 Depth=1
                                        ;     Parent Loop BB6_271 Depth=2
                                        ;       Parent Loop BB6_536 Depth=3
                                        ; =>      This Inner Loop Header: Depth=4
	s_add_i32 s46, s46, 1
	s_cmpk_lg_i32 s46, 0x2710
	s_cselect_b64 s[64:65], -1, 0
	s_and_b64 vcc, exec, s[64:65]
                                        ; implicit-def: $sgpr66_sgpr67
	s_cbranch_vccnz .LBB6_584
; %bb.583:                              ;   in Loop: Header=BB6_582 Depth=4
	s_trap 2
	ds_read_b64 v[4:5], v0
	s_andn2_b64 s[64:65], s[64:65], exec
	s_mov_b32 s46, 0
	s_mov_b64 s[66:67], -1
	s_waitcnt lgkmcnt(0)
	flat_load_dword v0, v[4:5] glc
	s_waitcnt vmcnt(0) lgkmcnt(0)
	buffer_invl2
	buffer_wbinvl1_vol
	v_cmp_eq_u32_e32 vcc, 0, v0
	s_and_b64 vcc, vcc, exec
	s_or_b64 s[64:65], s[64:65], vcc
.LBB6_584:                              ;   in Loop: Header=BB6_582 Depth=4
	s_andn2_b64 s[62:63], s[62:63], exec
	s_and_b64 s[66:67], s[66:67], exec
	s_mov_b64 vcc, -1
	s_or_b64 s[62:63], s[62:63], s[66:67]
	s_and_saveexec_b64 s[66:67], s[64:65]
	s_cbranch_execz .LBB6_581
; %bb.585:                              ;   in Loop: Header=BB6_582 Depth=4
	s_sleep 1
	s_trap 2
	ds_read_b64 v[4:5], v0
	s_andn2_b64 s[62:63], s[62:63], exec
	s_waitcnt lgkmcnt(0)
	v_cmp_ge_u64_e32 vcc, v[4:5], v[48:49]
	s_orn2_b64 vcc, vcc, exec
	s_branch .LBB6_581
.LBB6_586:                              ;   in Loop: Header=BB6_536 Depth=3
	s_or_b64 exec, exec, s[58:59]
	s_and_saveexec_b64 vcc, s[60:61]
	s_xor_b64 vcc, exec, vcc
	s_cbranch_execz .LBB6_588
; %bb.587:                              ;   in Loop: Header=BB6_536 Depth=3
	ds_write_b32 v0, v40
	s_trap 2
.LBB6_588:                              ;   in Loop: Header=BB6_536 Depth=3
	s_or_b64 exec, exec, s[56:57]
	;;#ASMSTART
	s_wakeup
	;;#ASMEND
.LBB6_589:                              ;   in Loop: Header=BB6_536 Depth=3
	s_or_b64 exec, exec, s[38:39]
.LBB6_590:                              ;   in Loop: Header=BB6_536 Depth=3
	s_andn2_saveexec_b64 vcc, s[36:37]
	s_cbranch_execz .LBB6_592
; %bb.591:                              ;   in Loop: Header=BB6_536 Depth=3
	;;#ASMSTART
	s_waitcnt lgkmcnt(0) vmcnt(0)
	;;#ASMEND
	s_barrier
.LBB6_592:                              ;   in Loop: Header=BB6_536 Depth=3
	s_or_b64 exec, exec, vcc
	v_and_b32_e32 v3, 16, v62
	s_andn2_saveexec_b64 s[28:29], s[28:29]
	s_cbranch_execz .LBB6_604
	s_branch .LBB6_601
.LBB6_593:                              ;   in Loop: Header=BB6_536 Depth=3
	s_or_b64 exec, exec, s[58:59]
	s_and_saveexec_b64 vcc, s[60:61]
	s_xor_b64 vcc, exec, vcc
	s_cbranch_execz .LBB6_595
; %bb.594:                              ;   in Loop: Header=BB6_536 Depth=3
	ds_write_b32 v0, v40
	s_trap 2
.LBB6_595:                              ;   in Loop: Header=BB6_536 Depth=3
	s_or_b64 exec, exec, s[56:57]
	;;#ASMSTART
	s_wakeup
	;;#ASMEND
.LBB6_596:                              ;   in Loop: Header=BB6_536 Depth=3
	s_or_b64 exec, exec, s[38:39]
.LBB6_597:                              ;   in Loop: Header=BB6_536 Depth=3
	s_andn2_saveexec_b64 vcc, s[36:37]
	s_cbranch_execz .LBB6_599
; %bb.598:                              ;   in Loop: Header=BB6_536 Depth=3
	s_waitcnt vmcnt(0) lgkmcnt(0)
	buffer_wbinvl1_vol
	s_barrier
.LBB6_599:                              ;   in Loop: Header=BB6_536 Depth=3
	s_or_b64 exec, exec, vcc
	s_or_b64 exec, exec, s[28:29]
                                        ; implicit-def: $vgpr3
	s_and_saveexec_b64 s[28:29], s[52:53]
	s_xor_b64 s[28:29], exec, s[28:29]
	s_cbranch_execnz .LBB6_563
.LBB6_600:                              ;   in Loop: Header=BB6_536 Depth=3
	s_andn2_saveexec_b64 s[28:29], s[28:29]
	s_cbranch_execz .LBB6_604
.LBB6_601:                              ;   in Loop: Header=BB6_536 Depth=3
	s_trap 2
	ds_read_b32 v0, v0
	v_cmp_lt_i32_e32 vcc, 0, v2
	v_and_b32_e32 v4, 16, v62
	v_and_b32_e32 v3, 16, v62
	s_waitcnt lgkmcnt(0)
	v_readfirstlane_b32 s36, v0
	s_cmp_eq_u32 s36, 0
	s_cselect_b64 s[36:37], -1, 0
	s_and_b64 s[36:37], vcc, s[36:37]
	v_cmp_ne_u32_e32 vcc, 0, v4
	s_and_b64 s[36:37], vcc, s[36:37]
	s_and_saveexec_b64 vcc, s[36:37]
	s_cbranch_execz .LBB6_603
; %bb.602:                              ;   in Loop: Header=BB6_536 Depth=3
	v_mov_b32_e32 v3, 1
	s_waitcnt vmcnt(0)
	buffer_wbinvl1_vol
.LBB6_603:                              ;   in Loop: Header=BB6_536 Depth=3
	s_or_b64 exec, exec, vcc
.LBB6_604:                              ;   in Loop: Header=BB6_536 Depth=3
	s_or_b64 exec, exec, s[28:29]
	v_cmp_ne_u32_e32 vcc, 0, v3
	s_xor_b64 s[28:29], s[12:13], -1
	s_and_b64 vcc, vcc, s[28:29]
	s_and_saveexec_b64 s[28:29], vcc
	s_cbranch_execz .LBB6_606
; %bb.605:                              ;   in Loop: Header=BB6_536 Depth=3
	flat_store_dword v[44:45], v40
.LBB6_606:                              ;   in Loop: Header=BB6_536 Depth=3
	s_or_b64 exec, exec, s[28:29]
	v_and_b32_e32 v0, 48, v62
	v_cmp_ne_u32_e32 vcc, 0, v0
	s_and_saveexec_b64 s[28:29], vcc
	s_cbranch_execz .LBB6_535
; %bb.607:                              ;   in Loop: Header=BB6_536 Depth=3
	v_add_co_u32_e32 v32, vcc, 2, v32
	v_addc_co_u32_e32 v33, vcc, 0, v33, vcc
	flat_store_dwordx2 v[34:35], v[32:33]
	s_branch .LBB6_535
.LBB6_608:                              ;   in Loop: Header=BB6_47 Depth=1
	v_accvgpr_read_b32 v61, a15
	v_accvgpr_read_b32 v60, a14
.LBB6_609:                              ;   in Loop: Header=BB6_47 Depth=1
	v_accvgpr_read_b32 v8, a26
	v_accvgpr_read_b32 v9, a27
	v_mul_lo_u32 v0, v9, s72
	v_mul_lo_u32 v2, v8, s73
	v_mad_u64_u32 v[4:5], s[28:29], v8, s72, 0
	v_add3_u32 v5, v5, v2, v0
	v_accvgpr_read_b32 v2, a28
	v_accvgpr_read_b32 v3, a29
	v_sub_co_u32_e32 v2, vcc, v2, v4
	v_subb_co_u32_e32 v3, vcc, v3, v5, vcc
	v_cmp_lt_i64_e32 vcc, v[8:9], v[2:3]
	v_cndmask_b32_e32 v0, v2, v8, vcc
	v_max_i32_e32 v43, 0, v0
	v_add_u32_e32 v2, 31, v43
	v_lshrrev_b32_e32 v2, 1, v2
	v_and_b32_e32 v2, 0x3ffffff0, v2
	v_cmp_lt_i32_e32 vcc, 0, v0
	v_max_i32_e32 v2, s81, v2
	s_and_b64 s[28:29], s[54:55], vcc
	v_mov_b32_e32 v3, 0
	v_mov_b32_e32 v28, 0
	s_and_saveexec_b64 s[56:57], s[28:29]
	s_cbranch_execz .LBB6_1021
; %bb.610:                              ;   in Loop: Header=BB6_47 Depth=1
	v_accvgpr_read_b32 v8, a30
	v_accvgpr_read_b32 v9, a31
	v_add_co_u32_e32 v4, vcc, v4, v8
	v_addc_co_u32_e32 v5, vcc, v5, v9, vcc
	v_lshlrev_b64 v[4:5], 1, v[4:5]
	v_accvgpr_write_b32 a33, v5
	s_mov_b32 s90, 1
	s_mov_b64 s[60:61], -1
	s_mov_b64 s[58:59], 0
	v_mov_b32_e32 v28, 0
	v_accvgpr_write_b32 a32, v4
	s_branch .LBB6_612
.LBB6_611:                              ;   in Loop: Header=BB6_612 Depth=2
	s_or_b64 exec, exec, s[28:29]
	v_add_u32_e32 v28, v2, v28
	v_cmp_ge_i32_e32 vcc, v28, v43
	s_xor_b64 s[28:29], s[60:61], -1
	s_or_b64 s[28:29], s[28:29], vcc
	s_and_b64 s[28:29], exec, s[28:29]
	s_or_b64 s[58:59], s[28:29], s[58:59]
	s_mov_b64 s[60:61], 0
	v_mov_b32_e32 v3, s90
	s_mov_b32 s90, 2
	s_andn2_b64 exec, exec, s[58:59]
	s_cbranch_execz .LBB6_1096
.LBB6_612:                              ;   Parent Loop BB6_47 Depth=1
                                        ; =>  This Loop Header: Depth=2
                                        ;       Child Loop BB6_620 Depth 3
                                        ;       Child Loop BB6_648 Depth 3
	;; [unrolled: 1-line block ×9, first 2 shown]
                                        ;         Child Loop BB6_838 Depth 4
                                        ;       Child Loop BB6_848 Depth 3
                                        ;       Child Loop BB6_868 Depth 3
                                        ;         Child Loop BB6_873 Depth 4
                                        ;       Child Loop BB6_695 Depth 3
                                        ;       Child Loop BB6_786 Depth 3
	s_and_saveexec_b64 s[28:29], s[4:5]
	s_cbranch_execz .LBB6_614
; %bb.613:                              ;   in Loop: Header=BB6_612 Depth=2
	s_trap 2
	ds_read2_b64 v[8:11], v0 offset1:1
	ds_read_b64 v[4:5], v0
	v_accvgpr_read_b32 v14, a32
	v_accvgpr_read_b32 v15, a33
	v_ashrrev_i32_e32 v29, 31, v28
	s_waitcnt lgkmcnt(0)
	v_add_co_u32_e32 v0, vcc, v8, v14
	v_addc_co_u32_e32 v3, vcc, v9, v15, vcc
	v_lshlrev_b64 v[8:9], 1, v[28:29]
	v_add_co_u32_e32 v12, vcc, v0, v8
	v_addc_co_u32_e32 v13, vcc, v3, v9, vcc
	ds_write_b64 v0, v[12:13]
	v_add_co_u32_e32 v0, vcc, v10, v14
	v_addc_co_u32_e32 v3, vcc, v11, v15, vcc
	v_add_co_u32_e32 v10, vcc, v0, v8
	v_addc_co_u32_e32 v11, vcc, v3, v9, vcc
	ds_write_b64 v0, v[10:11]
	v_add_co_u32_e32 v0, vcc, v4, v14
	v_addc_co_u32_e32 v3, vcc, v5, v15, vcc
	v_add_co_u32_e32 v0, vcc, v0, v8
	v_addc_co_u32_e32 v3, vcc, v3, v9, vcc
	v_cmp_ne_u64_e32 vcc, 0, v[4:5]
	v_cndmask_b32_e32 v5, 0, v3, vcc
	v_cndmask_b32_e32 v4, 0, v0, vcc
	ds_write_b64 v0, v[4:5]
.LBB6_614:                              ;   in Loop: Header=BB6_612 Depth=2
	s_or_b64 exec, exec, s[28:29]
	v_and_b32_e32 v0, 12, v62
	v_cmp_ne_u32_e32 vcc, 0, v0
	s_mov_b64 s[30:31], -1
	s_and_saveexec_b64 s[28:29], vcc
	s_cbranch_execz .LBB6_626
; %bb.615:                              ;   in Loop: Header=BB6_612 Depth=2
	v_and_b32_e32 v4, 8, v62
	v_add_co_u32_e32 v10, vcc, v50, v4
	v_addc_co_u32_e32 v11, vcc, 0, v51, vcc
	v_add_co_u32_e32 v8, vcc, 2, v32
	v_addc_co_u32_e32 v9, vcc, 0, v33, vcc
	v_cmp_lt_u64_e32 vcc, v[10:11], v[8:9]
	v_mov_b32_e32 v0, 1
	s_and_saveexec_b64 s[30:31], vcc
	s_cbranch_execz .LBB6_625
; %bb.616:                              ;   in Loop: Header=BB6_612 Depth=2
	s_mov_b64 s[34:35], 0
	v_mov_b32_e32 v3, 0
                                        ; implicit-def: $sgpr36_sgpr37
	s_branch .LBB6_620
.LBB6_617:                              ;   in Loop: Header=BB6_620 Depth=3
	s_or_b64 exec, exec, s[66:67]
	v_mov_b32_e32 v0, 0
	s_orn2_b64 s[64:65], s[64:65], exec
.LBB6_618:                              ;   in Loop: Header=BB6_620 Depth=3
	s_or_b64 exec, exec, s[62:63]
	s_andn2_b64 vcc, s[36:37], exec
	s_and_b64 s[36:37], s[64:65], exec
	s_or_b64 s[36:37], vcc, s[36:37]
	v_mov_b32_e32 v3, v0
.LBB6_619:                              ;   in Loop: Header=BB6_620 Depth=3
	s_or_b64 exec, exec, s[38:39]
	s_waitcnt vmcnt(0) lgkmcnt(0)
	v_add_co_u32_e32 v10, vcc, v50, v4
	v_addc_co_u32_e32 v11, vcc, 0, v51, vcc
	v_cmp_ge_u64_e32 vcc, v[10:11], v[8:9]
	s_xor_b64 s[38:39], s[36:37], -1
	s_or_b64 vcc, s[38:39], vcc
	s_and_b64 vcc, exec, vcc
	s_or_b64 s[34:35], vcc, s[34:35]
	s_andn2_b64 exec, exec, s[34:35]
	s_cbranch_execz .LBB6_624
.LBB6_620:                              ;   Parent Loop BB6_47 Depth=1
                                        ;     Parent Loop BB6_612 Depth=2
                                        ; =>    This Inner Loop Header: Depth=3
	s_sleep 1
	flat_load_dwordx2 v[50:51], v[34:35] glc
	v_and_b32_e32 v0, 64, v62
	v_cmp_eq_u32_e32 vcc, 0, v0
	s_andn2_b64 s[36:37], s[36:37], exec
	s_and_saveexec_b64 s[38:39], vcc
	s_cbranch_execz .LBB6_619
; %bb.621:                              ;   in Loop: Header=BB6_620 Depth=3
	v_add_u32_e32 v0, 1, v3
	v_cmp_lt_i32_e32 vcc, s85, v3
	s_mov_b64 s[64:65], -1
	s_and_saveexec_b64 s[62:63], vcc
	s_cbranch_execz .LBB6_618
; %bb.622:                              ;   in Loop: Header=BB6_620 Depth=3
	s_trap 2
	ds_read_b64 v[10:11], v0
	s_waitcnt vmcnt(0) lgkmcnt(0)
	flat_load_dword v0, v[10:11] glc
	s_waitcnt vmcnt(0) lgkmcnt(0)
	buffer_invl2
	buffer_wbinvl1_vol
	v_cmp_ne_u32_e32 vcc, 0, v0
	s_and_saveexec_b64 s[66:67], vcc
	s_cbranch_execz .LBB6_617
; %bb.623:                              ;   in Loop: Header=BB6_620 Depth=3
	v_or_b32_e32 v62, 64, v62
	s_xor_b64 s[64:65], exec, -1
	ds_write_b32 v0, v0
	s_trap 2
	s_branch .LBB6_617
.LBB6_624:                              ;   in Loop: Header=BB6_612 Depth=2
	s_or_b64 exec, exec, s[34:35]
	v_and_b32_e32 v0, 12, v62
.LBB6_625:                              ;   in Loop: Header=BB6_612 Depth=2
	s_or_b64 exec, exec, s[30:31]
	v_cmp_eq_u32_e32 vcc, 0, v0
	s_orn2_b64 s[30:31], vcc, exec
	;;#ASMSTART
	s_wakeup
	;;#ASMEND
.LBB6_626:                              ;   in Loop: Header=BB6_612 Depth=2
	s_or_b64 exec, exec, s[28:29]
	v_sub_u32_e32 v0, v43, v28
	s_xor_b64 s[28:29], s[30:31], -1
	v_min_i32_e32 v2, v2, v0
	s_and_saveexec_b64 s[30:31], s[28:29]
	s_cbranch_execz .LBB6_640
; %bb.627:                              ;   in Loop: Header=BB6_612 Depth=2
	v_and_b32_e32 v0, 0x108, v62
	v_cmp_ne_u32_e32 vcc, s86, v0
	v_and_b32_e32 v4, 7, v32
	s_and_saveexec_b64 s[28:29], vcc
	s_xor_b64 s[28:29], exec, s[28:29]
                                        ; implicit-def: $vgpr8_vgpr9
; %bb.628:                              ;   in Loop: Header=BB6_612 Depth=2
	v_mov_b32_e32 v9, v52
; %bb.629:                              ;   in Loop: Header=BB6_612 Depth=2
	s_andn2_saveexec_b64 s[28:29], s[28:29]
	s_cbranch_execz .LBB6_631
; %bb.630:                              ;   in Loop: Header=BB6_612 Depth=2
	v_ashrrev_i32_e32 v3, 31, v2
	v_mov_b32_e32 v9, v52
	v_mad_u64_u32 v[10:11], vcc, v4, 24, v[6:7]
	v_lshlrev_b64 v[12:13], 1, v[2:3]
	flat_store_dwordx2 v[10:11], v[12:13] offset:8
.LBB6_631:                              ;   in Loop: Header=BB6_612 Depth=2
	s_or_b64 exec, exec, s[28:29]
	v_and_b32_e32 v0, 0x100, v62
	v_cmp_ne_u32_e32 vcc, 0, v0
	s_mov_b64 s[28:29], -1
                                        ; implicit-def: $vgpr10_vgpr11
	s_and_saveexec_b64 s[34:35], vcc
	s_cbranch_execz .LBB6_635
; %bb.632:                              ;   in Loop: Header=BB6_612 Depth=2
	v_mad_u64_u32 v[12:13], s[28:29], v4, 24, v[6:7]
	v_mov_b32_e32 v0, v13
	v_mad_u64_u32 v[10:11], s[28:29], v9, 24, v[0:1]
	v_mov_b32_e32 v13, v10
	flat_load_dword v0, v[12:13]
                                        ; implicit-def: $vgpr10_vgpr11
	s_waitcnt vmcnt(0) lgkmcnt(0)
	v_cmp_ne_u32_e32 vcc, 1, v0
	v_cmp_eq_u32_e64 s[28:29], 1, v0
	s_and_saveexec_b64 s[36:37], s[28:29]
	s_cbranch_execz .LBB6_634
; %bb.633:                              ;   in Loop: Header=BB6_612 Depth=2
	flat_load_dword v10, v[12:13] offset:4 glc
	s_waitcnt vmcnt(0) lgkmcnt(0)
	v_ashrrev_i32_e32 v11, 31, v10
	v_lshrrev_b64 v[10:11], 1, v[10:11]
.LBB6_634:                              ;   in Loop: Header=BB6_612 Depth=2
	s_or_b64 exec, exec, s[36:37]
	s_orn2_b64 s[28:29], vcc, exec
.LBB6_635:                              ;   in Loop: Header=BB6_612 Depth=2
	s_or_b64 exec, exec, s[34:35]
	s_and_saveexec_b64 vcc, s[28:29]
; %bb.636:                              ;   in Loop: Header=BB6_612 Depth=2
	v_mul_lo_u32 v0, v9, v30
	v_mul_lo_u32 v3, v4, v41
	v_mad_u64_u32 v[10:11], s[28:29], v4, v30, 0
	v_add3_u32 v11, v11, v3, v0
; %bb.637:                              ;   in Loop: Header=BB6_612 Depth=2
	s_or_b64 exec, exec, vcc
	v_lshlrev_b64 v[4:5], 1, v[10:11]
	v_add_co_u32_e32 v4, vcc, v36, v4
	v_addc_co_u32_e32 v5, vcc, v37, v5, vcc
	s_trap 2
	ds_write_b64 v0, v[4:5]
	v_and_b32_e32 v0, 0x2000, v62
	v_cmp_ne_u32_e32 vcc, 0, v0
	s_and_saveexec_b64 s[28:29], vcc
	s_cbranch_execz .LBB6_639
; %bb.638:                              ;   in Loop: Header=BB6_612 Depth=2
	ds_read_b64 v[4:5], v0 offset:584
	s_waitcnt lgkmcnt(0)
	v_add_co_u32_e32 v4, vcc, 1, v4
	v_addc_co_u32_e32 v5, vcc, 0, v5, vcc
	ds_write_b64 v0, v[4:5] offset:584
.LBB6_639:                              ;   in Loop: Header=BB6_612 Depth=2
	s_or_b64 exec, exec, s[28:29]
	v_add_co_u32_e32 v32, vcc, 2, v32
	v_addc_co_u32_e32 v33, vcc, 0, v33, vcc
.LBB6_640:                              ;   in Loop: Header=BB6_612 Depth=2
	s_or_b64 exec, exec, s[30:31]
	s_and_saveexec_b64 s[28:29], s[10:11]
	s_cbranch_execz .LBB6_659
; %bb.641:                              ;   in Loop: Header=BB6_612 Depth=2
	s_and_saveexec_b64 vcc, s[48:49]
	s_xor_b64 s[30:31], exec, vcc
	s_cbranch_execz .LBB6_656
; %bb.642:                              ;   in Loop: Header=BB6_612 Depth=2
	s_and_saveexec_b64 s[34:35], s[16:17]
	s_cbranch_execz .LBB6_655
; %bb.643:                              ;   in Loop: Header=BB6_612 Depth=2
	s_mov_b64 s[38:39], exec
	v_mbcnt_lo_u32_b32 v0, s38, 0
	v_mbcnt_hi_u32_b32 v0, s39, v0
	v_cmp_eq_u32_e32 vcc, 0, v0
	s_waitcnt vmcnt(0) lgkmcnt(0)
	buffer_wbinvl1_vol
	s_and_saveexec_b64 s[36:37], vcc
	s_cbranch_execz .LBB6_645
; %bb.644:                              ;   in Loop: Header=BB6_612 Depth=2
	s_bcnt1_i32_b64 vcc_lo, s[38:39]
	v_mov_b32_e32 v4, vcc_lo
	v_mov_b32_e32 v5, v52
	ds_add_u64 v0, v[4:5]
	s_trap 2
.LBB6_645:                              ;   in Loop: Header=BB6_612 Depth=2
	s_or_b64 exec, exec, s[36:37]
	s_trap 2
	ds_read_b64 v[4:5], v0
	v_add_co_u32_e32 v48, vcc, v48, v54
	v_addc_co_u32_e32 v49, vcc, 0, v49, vcc
	s_waitcnt lgkmcnt(0)
	v_cmp_lt_u64_e32 vcc, v[4:5], v[48:49]
	s_and_saveexec_b64 s[36:37], vcc
	s_cbranch_execz .LBB6_654
; %bb.646:                              ;   in Loop: Header=BB6_612 Depth=2
	s_mov_b32 s46, 0
	s_mov_b64 s[38:39], 0
                                        ; implicit-def: $sgpr62_sgpr63
                                        ; implicit-def: $sgpr64_sgpr65
	s_branch .LBB6_648
.LBB6_647:                              ;   in Loop: Header=BB6_648 Depth=3
	s_or_b64 exec, exec, s[68:69]
	s_and_b64 vcc, exec, vcc
	s_or_b64 s[38:39], vcc, s[38:39]
	s_andn2_b64 vcc, s[62:63], exec
	s_and_b64 s[62:63], s[64:65], exec
	s_or_b64 s[62:63], vcc, s[62:63]
	s_andn2_b64 exec, exec, s[38:39]
	s_cbranch_execz .LBB6_652
.LBB6_648:                              ;   Parent Loop BB6_47 Depth=1
                                        ;     Parent Loop BB6_612 Depth=2
                                        ; =>    This Inner Loop Header: Depth=3
	s_add_i32 s46, s46, 1
	s_cmpk_lg_i32 s46, 0x2710
	s_cselect_b64 s[66:67], -1, 0
	s_and_b64 vcc, exec, s[66:67]
                                        ; implicit-def: $sgpr68_sgpr69
	s_cbranch_vccnz .LBB6_650
; %bb.649:                              ;   in Loop: Header=BB6_648 Depth=3
	s_trap 2
	ds_read_b64 v[4:5], v0
	s_andn2_b64 s[66:67], s[66:67], exec
	s_mov_b32 s46, 0
	s_mov_b64 s[68:69], -1
	s_waitcnt lgkmcnt(0)
	flat_load_dword v0, v[4:5] glc
	s_waitcnt vmcnt(0) lgkmcnt(0)
	buffer_invl2
	buffer_wbinvl1_vol
	v_cmp_eq_u32_e32 vcc, 0, v0
	s_and_b64 vcc, vcc, exec
	s_or_b64 s[66:67], s[66:67], vcc
.LBB6_650:                              ;   in Loop: Header=BB6_648 Depth=3
	s_andn2_b64 s[64:65], s[64:65], exec
	s_and_b64 s[68:69], s[68:69], exec
	s_mov_b64 vcc, -1
	s_or_b64 s[64:65], s[64:65], s[68:69]
	s_and_saveexec_b64 s[68:69], s[66:67]
	s_cbranch_execz .LBB6_647
; %bb.651:                              ;   in Loop: Header=BB6_648 Depth=3
	s_sleep 1
	s_trap 2
	ds_read_b64 v[4:5], v0
	s_andn2_b64 s[64:65], s[64:65], exec
	s_waitcnt lgkmcnt(0)
	v_cmp_ge_u64_e32 vcc, v[4:5], v[48:49]
	s_orn2_b64 vcc, vcc, exec
	s_branch .LBB6_647
.LBB6_652:                              ;   in Loop: Header=BB6_612 Depth=2
	s_or_b64 exec, exec, s[38:39]
	s_and_saveexec_b64 vcc, s[62:63]
	s_xor_b64 vcc, exec, vcc
	s_cbranch_execz .LBB6_654
; %bb.653:                              ;   in Loop: Header=BB6_612 Depth=2
	ds_write_b32 v0, v40
	s_trap 2
.LBB6_654:                              ;   in Loop: Header=BB6_612 Depth=2
	s_or_b64 exec, exec, s[36:37]
	;;#ASMSTART
	s_wakeup
	;;#ASMEND
.LBB6_655:                              ;   in Loop: Header=BB6_612 Depth=2
	s_or_b64 exec, exec, s[34:35]
.LBB6_656:                              ;   in Loop: Header=BB6_612 Depth=2
	s_andn2_saveexec_b64 vcc, s[30:31]
	s_cbranch_execz .LBB6_658
; %bb.657:                              ;   in Loop: Header=BB6_612 Depth=2
	s_waitcnt vmcnt(0) lgkmcnt(0)
	buffer_wbinvl1_vol
	s_barrier
.LBB6_658:                              ;   in Loop: Header=BB6_612 Depth=2
	s_or_b64 exec, exec, vcc
.LBB6_659:                              ;   in Loop: Header=BB6_612 Depth=2
	s_or_b64 exec, exec, s[28:29]
	s_trap 2
	ds_read_b32 v4, v0
	v_and_b32_e32 v0, 0x4000, v62
	v_cmp_ne_u32_e32 vcc, 0, v0
	s_xor_b64 s[28:29], s[6:7], -1
	s_and_b64 vcc, s[28:29], vcc
	s_and_saveexec_b64 s[28:29], vcc
	s_cbranch_execz .LBB6_678
; %bb.660:                              ;   in Loop: Header=BB6_612 Depth=2
	s_and_saveexec_b64 vcc, s[48:49]
	s_xor_b64 s[30:31], exec, vcc
	s_cbranch_execz .LBB6_675
; %bb.661:                              ;   in Loop: Header=BB6_612 Depth=2
	s_and_saveexec_b64 s[34:35], s[16:17]
	s_cbranch_execz .LBB6_674
; %bb.662:                              ;   in Loop: Header=BB6_612 Depth=2
	s_mov_b64 s[38:39], exec
	v_mbcnt_lo_u32_b32 v0, s38, 0
	v_mbcnt_hi_u32_b32 v0, s39, v0
	v_cmp_eq_u32_e32 vcc, 0, v0
	s_waitcnt vmcnt(0) lgkmcnt(0)
	buffer_wbinvl1_vol
	s_and_saveexec_b64 s[36:37], vcc
	s_cbranch_execz .LBB6_664
; %bb.663:                              ;   in Loop: Header=BB6_612 Depth=2
	s_bcnt1_i32_b64 vcc_lo, s[38:39]
	v_mov_b32_e32 v8, vcc_lo
	v_mov_b32_e32 v9, v52
	ds_add_u64 v0, v[8:9]
	s_trap 2
.LBB6_664:                              ;   in Loop: Header=BB6_612 Depth=2
	s_or_b64 exec, exec, s[36:37]
	s_trap 2
	ds_read_b64 v[8:9], v0
	v_add_co_u32_e32 v48, vcc, v48, v54
	v_addc_co_u32_e32 v49, vcc, 0, v49, vcc
	s_waitcnt lgkmcnt(0)
	v_cmp_lt_u64_e32 vcc, v[8:9], v[48:49]
	s_and_saveexec_b64 s[36:37], vcc
	s_cbranch_execz .LBB6_673
; %bb.665:                              ;   in Loop: Header=BB6_612 Depth=2
	s_mov_b32 s46, 0
	s_mov_b64 s[38:39], 0
                                        ; implicit-def: $sgpr62_sgpr63
                                        ; implicit-def: $sgpr64_sgpr65
	s_branch .LBB6_667
.LBB6_666:                              ;   in Loop: Header=BB6_667 Depth=3
	s_or_b64 exec, exec, s[68:69]
	s_and_b64 vcc, exec, vcc
	s_or_b64 s[38:39], vcc, s[38:39]
	s_andn2_b64 vcc, s[62:63], exec
	s_and_b64 s[62:63], s[64:65], exec
	s_or_b64 s[62:63], vcc, s[62:63]
	s_andn2_b64 exec, exec, s[38:39]
	s_cbranch_execz .LBB6_671
.LBB6_667:                              ;   Parent Loop BB6_47 Depth=1
                                        ;     Parent Loop BB6_612 Depth=2
                                        ; =>    This Inner Loop Header: Depth=3
	s_add_i32 s46, s46, 1
	s_cmpk_lg_i32 s46, 0x2710
	s_cselect_b64 s[66:67], -1, 0
	s_and_b64 vcc, exec, s[66:67]
                                        ; implicit-def: $sgpr68_sgpr69
	s_cbranch_vccnz .LBB6_669
; %bb.668:                              ;   in Loop: Header=BB6_667 Depth=3
	s_trap 2
	ds_read_b64 v[8:9], v0
	s_andn2_b64 s[66:67], s[66:67], exec
	s_mov_b32 s46, 0
	s_mov_b64 s[68:69], -1
	s_waitcnt lgkmcnt(0)
	flat_load_dword v0, v[8:9] glc
	s_waitcnt vmcnt(0) lgkmcnt(0)
	buffer_invl2
	buffer_wbinvl1_vol
	v_cmp_eq_u32_e32 vcc, 0, v0
	s_and_b64 vcc, vcc, exec
	s_or_b64 s[66:67], s[66:67], vcc
.LBB6_669:                              ;   in Loop: Header=BB6_667 Depth=3
	s_andn2_b64 s[64:65], s[64:65], exec
	s_and_b64 s[68:69], s[68:69], exec
	s_mov_b64 vcc, -1
	s_or_b64 s[64:65], s[64:65], s[68:69]
	s_and_saveexec_b64 s[68:69], s[66:67]
	s_cbranch_execz .LBB6_666
; %bb.670:                              ;   in Loop: Header=BB6_667 Depth=3
	s_sleep 1
	s_trap 2
	ds_read_b64 v[8:9], v0
	s_andn2_b64 s[64:65], s[64:65], exec
	s_waitcnt lgkmcnt(0)
	v_cmp_ge_u64_e32 vcc, v[8:9], v[48:49]
	s_orn2_b64 vcc, vcc, exec
	s_branch .LBB6_666
.LBB6_671:                              ;   in Loop: Header=BB6_612 Depth=2
	s_or_b64 exec, exec, s[38:39]
	s_and_saveexec_b64 vcc, s[62:63]
	s_xor_b64 vcc, exec, vcc
	s_cbranch_execz .LBB6_673
; %bb.672:                              ;   in Loop: Header=BB6_612 Depth=2
	ds_write_b32 v0, v40
	s_trap 2
.LBB6_673:                              ;   in Loop: Header=BB6_612 Depth=2
	s_or_b64 exec, exec, s[36:37]
	;;#ASMSTART
	s_wakeup
	;;#ASMEND
.LBB6_674:                              ;   in Loop: Header=BB6_612 Depth=2
	s_or_b64 exec, exec, s[34:35]
.LBB6_675:                              ;   in Loop: Header=BB6_612 Depth=2
	s_andn2_saveexec_b64 vcc, s[30:31]
	s_cbranch_execz .LBB6_677
; %bb.676:                              ;   in Loop: Header=BB6_612 Depth=2
	s_waitcnt vmcnt(0) lgkmcnt(0)
	buffer_wbinvl1_vol
	s_barrier
.LBB6_677:                              ;   in Loop: Header=BB6_612 Depth=2
	s_or_b64 exec, exec, vcc
.LBB6_678:                              ;   in Loop: Header=BB6_612 Depth=2
	s_or_b64 exec, exec, s[28:29]
	s_trap 2
	ds_read_b64 v[8:9], v0
	v_mov_b32_e32 v3, 0
	s_waitcnt lgkmcnt(0)
	v_readfirstlane_b32 s28, v8
	v_readfirstlane_b32 s29, v9
	s_cmp_eq_u64 s[28:29], 0
	s_cselect_b64 s[28:29], -1, 0
	s_or_b64 s[28:29], s[28:29], s[28:29]
	s_and_b64 vcc, exec, s[28:29]
	s_cbranch_vccnz .LBB6_687
; %bb.679:                              ;   in Loop: Header=BB6_612 Depth=2
	s_trap 2
	ds_read_b64 v[8:9], v0
	v_cmp_eq_u32_e32 vcc, 0, v4
	v_cndmask_b32_e32 v3, 0, v2, vcc
	v_lshlrev_b32_e32 v29, 1, v3
	s_waitcnt lgkmcnt(0)
	v_cmp_ne_u64_e32 vcc, 0, v[8:9]
	v_readfirstlane_b32 s91, v8
	s_cbranch_vccz .LBB6_699
; %bb.680:                              ;   in Loop: Header=BB6_612 Depth=2
	s_mov_b64 s[30:31], -1
	s_and_saveexec_b64 s[28:29], s[22:23]
	s_cbranch_execz .LBB6_682
; %bb.681:                              ;   in Loop: Header=BB6_612 Depth=2
	ds_read_b32 v0, v0 offset:720
	s_waitcnt lgkmcnt(0)
	v_and_b32_e32 v0, 15, v0
	v_cmp_eq_u32_e32 vcc, 0, v0
	s_orn2_b64 s[30:31], vcc, exec
.LBB6_682:                              ;   in Loop: Header=BB6_612 Depth=2
	s_or_b64 exec, exec, s[28:29]
	s_and_saveexec_b64 s[28:29], s[22:23]
	s_cbranch_execz .LBB6_684
; %bb.683:                              ;   in Loop: Header=BB6_612 Depth=2
	ds_read_b32 v0, v0 offset:784
	s_waitcnt lgkmcnt(0)
	v_and_b32_e32 v0, 15, v0
	v_cmp_eq_u32_e32 vcc, 0, v0
	s_and_b64 vcc, s[30:31], vcc
	s_andn2_b64 s[30:31], s[30:31], exec
	s_and_b64 vcc, vcc, exec
	s_or_b64 s[30:31], s[30:31], vcc
.LBB6_684:                              ;   in Loop: Header=BB6_612 Depth=2
	s_or_b64 exec, exec, s[28:29]
	s_xor_b64 vcc, s[30:31], -1
	v_cndmask_b32_e64 v0, 0, 1, vcc
	s_mov_b64 s[28:29], -1
	;;#ASMSTART
	;;#ASMEND
	v_cmp_ne_u32_e32 vcc, 0, v0
	v_mov_b32_e32 v14, 0
	v_mov_b32_e32 v15, v29
	;; [unrolled: 1-line block ×4, first 2 shown]
	s_cbranch_vccz .LBB6_700
; %bb.685:                              ;   in Loop: Header=BB6_612 Depth=2
	s_and_saveexec_b64 s[38:39], s[28:29]
	s_cbranch_execnz .LBB6_845
.LBB6_686:                              ;   in Loop: Header=BB6_612 Depth=2
	s_or_b64 exec, exec, s[38:39]
.LBB6_687:                              ;   in Loop: Header=BB6_612 Depth=2
	s_and_saveexec_b64 s[28:29], s[10:11]
	s_cbranch_execz .LBB6_774
.LBB6_688:                              ;   in Loop: Header=BB6_612 Depth=2
	s_and_saveexec_b64 vcc, s[48:49]
	s_xor_b64 s[30:31], exec, vcc
	s_cbranch_execz .LBB6_771
; %bb.689:                              ;   in Loop: Header=BB6_612 Depth=2
	s_and_saveexec_b64 s[34:35], s[16:17]
	s_cbranch_execz .LBB6_770
; %bb.690:                              ;   in Loop: Header=BB6_612 Depth=2
	s_mov_b64 s[38:39], exec
	v_mbcnt_lo_u32_b32 v0, s38, 0
	v_mbcnt_hi_u32_b32 v0, s39, v0
	v_cmp_eq_u32_e32 vcc, 0, v0
	s_waitcnt vmcnt(0) lgkmcnt(0)
	buffer_wbinvl1_vol
	s_and_saveexec_b64 s[36:37], vcc
	s_cbranch_execz .LBB6_692
; %bb.691:                              ;   in Loop: Header=BB6_612 Depth=2
	s_bcnt1_i32_b64 vcc_lo, s[38:39]
	v_mov_b32_e32 v4, vcc_lo
	v_mov_b32_e32 v5, v52
	ds_add_u64 v0, v[4:5]
	s_trap 2
.LBB6_692:                              ;   in Loop: Header=BB6_612 Depth=2
	s_or_b64 exec, exec, s[36:37]
	s_trap 2
	ds_read_b64 v[4:5], v0
	v_add_co_u32_e32 v48, vcc, v48, v54
	v_addc_co_u32_e32 v49, vcc, 0, v49, vcc
	s_waitcnt lgkmcnt(0)
	v_cmp_lt_u64_e32 vcc, v[4:5], v[48:49]
	s_and_saveexec_b64 s[36:37], vcc
	s_cbranch_execz .LBB6_769
; %bb.693:                              ;   in Loop: Header=BB6_612 Depth=2
	s_mov_b32 s46, 0
	s_mov_b64 s[38:39], 0
                                        ; implicit-def: $sgpr62_sgpr63
                                        ; implicit-def: $sgpr64_sgpr65
	s_branch .LBB6_695
.LBB6_694:                              ;   in Loop: Header=BB6_695 Depth=3
	s_or_b64 exec, exec, s[68:69]
	s_and_b64 vcc, exec, vcc
	s_or_b64 s[38:39], vcc, s[38:39]
	s_andn2_b64 vcc, s[62:63], exec
	s_and_b64 s[62:63], s[64:65], exec
	s_or_b64 s[62:63], vcc, s[62:63]
	s_andn2_b64 exec, exec, s[38:39]
	s_cbranch_execz .LBB6_767
.LBB6_695:                              ;   Parent Loop BB6_47 Depth=1
                                        ;     Parent Loop BB6_612 Depth=2
                                        ; =>    This Inner Loop Header: Depth=3
	s_add_i32 s46, s46, 1
	s_cmpk_lg_i32 s46, 0x2710
	s_cselect_b64 s[66:67], -1, 0
	s_and_b64 vcc, exec, s[66:67]
                                        ; implicit-def: $sgpr68_sgpr69
	s_cbranch_vccnz .LBB6_697
; %bb.696:                              ;   in Loop: Header=BB6_695 Depth=3
	s_trap 2
	ds_read_b64 v[4:5], v0
	s_andn2_b64 s[66:67], s[66:67], exec
	s_mov_b32 s46, 0
	s_mov_b64 s[68:69], -1
	s_waitcnt lgkmcnt(0)
	flat_load_dword v0, v[4:5] glc
	s_waitcnt vmcnt(0) lgkmcnt(0)
	buffer_invl2
	buffer_wbinvl1_vol
	v_cmp_eq_u32_e32 vcc, 0, v0
	s_and_b64 vcc, vcc, exec
	s_or_b64 s[66:67], s[66:67], vcc
.LBB6_697:                              ;   in Loop: Header=BB6_695 Depth=3
	s_andn2_b64 s[64:65], s[64:65], exec
	s_and_b64 s[68:69], s[68:69], exec
	s_mov_b64 vcc, -1
	s_or_b64 s[64:65], s[64:65], s[68:69]
	s_and_saveexec_b64 s[68:69], s[66:67]
	s_cbranch_execz .LBB6_694
; %bb.698:                              ;   in Loop: Header=BB6_695 Depth=3
	s_sleep 1
	s_trap 2
	ds_read_b64 v[4:5], v0
	s_andn2_b64 s[64:65], s[64:65], exec
	s_waitcnt lgkmcnt(0)
	v_cmp_ge_u64_e32 vcc, v[4:5], v[48:49]
	s_orn2_b64 vcc, vcc, exec
	s_branch .LBB6_694
.LBB6_699:                              ;   in Loop: Header=BB6_612 Depth=2
	s_cbranch_execnz .LBB6_876
	s_branch .LBB6_687
.LBB6_700:                              ;   in Loop: Header=BB6_612 Depth=2
	v_ashrrev_i32_e32 v0, 31, v29
	v_lshrrev_b32_e32 v0, 21, v0
	v_add_u32_e32 v0, v29, v0
	v_ashrrev_i32_e32 v38, 11, v0
	v_sub_u32_e32 v53, v38, v57
	v_cmp_lt_i32_e32 vcc, 0, v53
	s_and_saveexec_b64 s[30:31], vcc
	s_cbranch_execz .LBB6_802
; %bb.701:                              ;   in Loop: Header=BB6_612 Depth=2
	s_trap 2
	ds_read_b128 v[8:11], v0
	v_accvgpr_read_b32 v4, a22
	v_accvgpr_read_b32 v5, a23
	s_and_b32 s46, s91, 1
	s_cmp_eq_u64 s[46:47], 0
	s_waitcnt lgkmcnt(0)
	v_add_co_u32_e32 v40, vcc, v8, v4
	v_addc_co_u32_e32 v41, vcc, v9, v5, vcc
	v_add_co_u32_e32 v60, vcc, v10, v4
	v_addc_co_u32_e32 v61, vcc, v11, v5, vcc
	s_mov_b64 s[34:35], 0
	s_cselect_b64 vcc, -1, 0
	v_pk_mov_b32 v[56:57], v[40:41], v[40:41] op_sel:[0,1]
	v_pk_mov_b32 v[4:5], v[60:61], v[60:61] op_sel:[0,1]
	s_branch .LBB6_703
.LBB6_702:                              ;   in Loop: Header=BB6_703 Depth=3
	s_or_b64 exec, exec, s[36:37]
	v_lshrrev_b32_e32 v0, 16, v20
	v_and_or_b32 v17, v17, s89, v0
	v_lshrrev_b32_e32 v0, 16, v24
	v_and_or_b32 v16, v16, s89, v0
	v_lshrrev_b32_e32 v0, 16, v21
	v_and_or_b32 v18, v18, s89, v0
	v_lshrrev_b32_e32 v0, 16, v22
	v_and_or_b32 v19, v19, s89, v0
	v_lshrrev_b32_e32 v0, 16, v12
	v_add_co_u32_e64 v40, s[28:29], v40, v55
	v_and_or_b32 v9, v9, s89, v0
	v_lshrrev_b32_e32 v0, 16, v23
	v_addc_co_u32_e64 v41, s[28:29], v41, v31, s[28:29]
	v_and_or_b32 v8, v8, s89, v0
	v_lshrrev_b32_e32 v0, 16, v13
	v_add_co_u32_e64 v60, s[28:29], v60, v55
	v_and_or_b32 v10, v10, s89, v0
	v_lshrrev_b32_e32 v0, 16, v14
	v_addc_co_u32_e64 v61, s[28:29], v61, v31, s[28:29]
	v_and_or_b32 v11, v11, s89, v0
	global_store_dwordx4 v[56:57], v[16:19], off glc slc
	global_store_dwordx4 v[56:57], v[8:11], off offset:1024 glc slc
	global_store_dwordx4 v[4:5], v[16:19], off glc slc
	global_store_dwordx4 v[4:5], v[8:11], off offset:1024 glc slc
	v_add_co_u32_e64 v56, s[28:29], v56, v55
	v_addc_co_u32_e64 v57, s[28:29], v57, v31, s[28:29]
	v_sub_u32_e32 v53, v53, v54
	v_cmp_gt_i32_e64 s[28:29], 1, v53
	s_or_b64 s[34:35], s[28:29], s[34:35]
	v_add_co_u32_e64 v4, s[28:29], v4, v55
	v_addc_co_u32_e64 v5, s[28:29], v5, v31, s[28:29]
	s_andn2_b64 exec, exec, s[34:35]
	s_cbranch_execz .LBB6_801
.LBB6_703:                              ;   Parent Loop BB6_47 Depth=1
                                        ;     Parent Loop BB6_612 Depth=2
                                        ; =>    This Inner Loop Header: Depth=3
	global_load_dwordx4 v[16:19], v[40:41], off glc slc
	global_load_dwordx4 v[20:23], v[60:61], off glc slc
	global_load_dwordx4 v[8:11], v[40:41], off offset:1024 glc slc
	global_load_dwordx4 v[12:15], v[60:61], off offset:1024 glc slc
	s_waitcnt vmcnt(0)
	v_lshlrev_b32_e32 v0, 16, v16
	v_lshlrev_b32_e32 v24, 16, v20
	v_max_f32_e32 v24, v24, v24
	v_max_f32_e32 v0, v0, v0
	v_min_f32_e32 v25, v0, v24
	v_max_f32_e32 v0, v0, v24
	v_cndmask_b32_e32 v25, v0, v25, vcc
	v_and_b32_e32 v0, 0x7f800000, v25
	v_cmp_ne_u32_e64 s[28:29], s87, v0
                                        ; implicit-def: $vgpr24
	s_and_saveexec_b64 s[36:37], s[28:29]
	s_xor_b64 s[28:29], exec, s[36:37]
; %bb.704:                              ;   in Loop: Header=BB6_703 Depth=3
	v_bfe_u32 v0, v25, 16, 1
	v_add3_u32 v24, v25, v0, s88
                                        ; implicit-def: $vgpr25
; %bb.705:                              ;   in Loop: Header=BB6_703 Depth=3
	s_andn2_saveexec_b64 s[36:37], s[28:29]
; %bb.706:                              ;   in Loop: Header=BB6_703 Depth=3
	v_or_b32_e32 v0, 0x10000, v25
	v_cmp_eq_u32_sdwa s[28:29], v25, v52 src0_sel:WORD_0 src1_sel:DWORD
	v_cndmask_b32_e64 v24, v0, v25, s[28:29]
; %bb.707:                              ;   in Loop: Header=BB6_703 Depth=3
	s_or_b64 exec, exec, s[36:37]
	v_and_b32_e32 v0, 0xffff0000, v16
	v_and_b32_e32 v16, 0xffff0000, v20
	v_max_f32_e32 v16, v16, v16
	v_max_f32_e32 v0, v0, v0
	v_min_f32_e32 v20, v0, v16
	v_max_f32_e32 v0, v0, v16
	v_cndmask_b32_e32 v20, v0, v20, vcc
	v_and_b32_e32 v0, 0x7f800000, v20
	v_cmp_ne_u32_e64 s[28:29], s87, v0
                                        ; implicit-def: $vgpr16
	s_and_saveexec_b64 s[36:37], s[28:29]
	s_xor_b64 s[28:29], exec, s[36:37]
; %bb.708:                              ;   in Loop: Header=BB6_703 Depth=3
	v_bfe_u32 v0, v20, 16, 1
	v_add3_u32 v16, v20, v0, s88
                                        ; implicit-def: $vgpr20
; %bb.709:                              ;   in Loop: Header=BB6_703 Depth=3
	s_andn2_saveexec_b64 s[36:37], s[28:29]
; %bb.710:                              ;   in Loop: Header=BB6_703 Depth=3
	v_or_b32_e32 v0, 0x10000, v20
	v_cmp_eq_u32_sdwa s[28:29], v20, v52 src0_sel:WORD_0 src1_sel:DWORD
	v_cndmask_b32_e64 v16, v0, v20, s[28:29]
; %bb.711:                              ;   in Loop: Header=BB6_703 Depth=3
	s_or_b64 exec, exec, s[36:37]
	v_lshlrev_b32_e32 v0, 16, v17
	v_lshlrev_b32_e32 v20, 16, v21
	v_max_f32_e32 v20, v20, v20
	v_max_f32_e32 v0, v0, v0
	v_min_f32_e32 v25, v0, v20
	v_max_f32_e32 v0, v0, v20
	v_cndmask_b32_e32 v25, v0, v25, vcc
	v_and_b32_e32 v0, 0x7f800000, v25
	v_cmp_ne_u32_e64 s[28:29], s87, v0
                                        ; implicit-def: $vgpr20
	s_and_saveexec_b64 s[36:37], s[28:29]
	s_xor_b64 s[28:29], exec, s[36:37]
; %bb.712:                              ;   in Loop: Header=BB6_703 Depth=3
	v_bfe_u32 v0, v25, 16, 1
	v_add3_u32 v20, v25, v0, s88
                                        ; implicit-def: $vgpr25
; %bb.713:                              ;   in Loop: Header=BB6_703 Depth=3
	s_andn2_saveexec_b64 s[36:37], s[28:29]
; %bb.714:                              ;   in Loop: Header=BB6_703 Depth=3
	v_or_b32_e32 v0, 0x10000, v25
	v_cmp_eq_u32_sdwa s[28:29], v25, v52 src0_sel:WORD_0 src1_sel:DWORD
	v_cndmask_b32_e64 v20, v0, v25, s[28:29]
; %bb.715:                              ;   in Loop: Header=BB6_703 Depth=3
	s_or_b64 exec, exec, s[36:37]
	v_and_b32_e32 v0, 0xffff0000, v17
	v_and_b32_e32 v17, 0xffff0000, v21
	v_max_f32_e32 v17, v17, v17
	v_max_f32_e32 v0, v0, v0
	v_min_f32_e32 v21, v0, v17
	v_max_f32_e32 v0, v0, v17
	v_cndmask_b32_e32 v21, v0, v21, vcc
	v_and_b32_e32 v0, 0x7f800000, v21
	v_cmp_ne_u32_e64 s[28:29], s87, v0
                                        ; implicit-def: $vgpr17
	s_and_saveexec_b64 s[36:37], s[28:29]
	s_xor_b64 s[28:29], exec, s[36:37]
; %bb.716:                              ;   in Loop: Header=BB6_703 Depth=3
	v_bfe_u32 v0, v21, 16, 1
	v_add3_u32 v17, v21, v0, s88
                                        ; implicit-def: $vgpr21
; %bb.717:                              ;   in Loop: Header=BB6_703 Depth=3
	s_andn2_saveexec_b64 s[36:37], s[28:29]
; %bb.718:                              ;   in Loop: Header=BB6_703 Depth=3
	v_or_b32_e32 v0, 0x10000, v21
	v_cmp_eq_u32_sdwa s[28:29], v21, v52 src0_sel:WORD_0 src1_sel:DWORD
	v_cndmask_b32_e64 v17, v0, v21, s[28:29]
; %bb.719:                              ;   in Loop: Header=BB6_703 Depth=3
	s_or_b64 exec, exec, s[36:37]
	v_lshlrev_b32_e32 v0, 16, v18
	v_lshlrev_b32_e32 v21, 16, v22
	v_max_f32_e32 v21, v21, v21
	v_max_f32_e32 v0, v0, v0
	v_min_f32_e32 v25, v0, v21
	v_max_f32_e32 v0, v0, v21
	v_cndmask_b32_e32 v25, v0, v25, vcc
	v_and_b32_e32 v0, 0x7f800000, v25
	v_cmp_ne_u32_e64 s[28:29], s87, v0
                                        ; implicit-def: $vgpr21
	s_and_saveexec_b64 s[36:37], s[28:29]
	s_xor_b64 s[28:29], exec, s[36:37]
; %bb.720:                              ;   in Loop: Header=BB6_703 Depth=3
	v_bfe_u32 v0, v25, 16, 1
	v_add3_u32 v21, v25, v0, s88
                                        ; implicit-def: $vgpr25
; %bb.721:                              ;   in Loop: Header=BB6_703 Depth=3
	s_andn2_saveexec_b64 s[36:37], s[28:29]
; %bb.722:                              ;   in Loop: Header=BB6_703 Depth=3
	v_or_b32_e32 v0, 0x10000, v25
	v_cmp_eq_u32_sdwa s[28:29], v25, v52 src0_sel:WORD_0 src1_sel:DWORD
	v_cndmask_b32_e64 v21, v0, v25, s[28:29]
; %bb.723:                              ;   in Loop: Header=BB6_703 Depth=3
	s_or_b64 exec, exec, s[36:37]
	v_and_b32_e32 v0, 0xffff0000, v18
	v_and_b32_e32 v18, 0xffff0000, v22
	v_max_f32_e32 v18, v18, v18
	v_max_f32_e32 v0, v0, v0
	v_min_f32_e32 v22, v0, v18
	v_max_f32_e32 v0, v0, v18
	v_cndmask_b32_e32 v22, v0, v22, vcc
	v_and_b32_e32 v0, 0x7f800000, v22
	v_cmp_ne_u32_e64 s[28:29], s87, v0
                                        ; implicit-def: $vgpr18
	s_and_saveexec_b64 s[36:37], s[28:29]
	s_xor_b64 s[28:29], exec, s[36:37]
; %bb.724:                              ;   in Loop: Header=BB6_703 Depth=3
	v_bfe_u32 v0, v22, 16, 1
	v_add3_u32 v18, v22, v0, s88
                                        ; implicit-def: $vgpr22
; %bb.725:                              ;   in Loop: Header=BB6_703 Depth=3
	s_andn2_saveexec_b64 s[36:37], s[28:29]
; %bb.726:                              ;   in Loop: Header=BB6_703 Depth=3
	v_or_b32_e32 v0, 0x10000, v22
	v_cmp_eq_u32_sdwa s[28:29], v22, v52 src0_sel:WORD_0 src1_sel:DWORD
	v_cndmask_b32_e64 v18, v0, v22, s[28:29]
; %bb.727:                              ;   in Loop: Header=BB6_703 Depth=3
	s_or_b64 exec, exec, s[36:37]
	v_lshlrev_b32_e32 v0, 16, v19
	v_lshlrev_b32_e32 v22, 16, v23
	v_max_f32_e32 v22, v22, v22
	v_max_f32_e32 v0, v0, v0
	v_min_f32_e32 v25, v0, v22
	v_max_f32_e32 v0, v0, v22
	v_cndmask_b32_e32 v25, v0, v25, vcc
	v_and_b32_e32 v0, 0x7f800000, v25
	v_cmp_ne_u32_e64 s[28:29], s87, v0
                                        ; implicit-def: $vgpr22
	s_and_saveexec_b64 s[36:37], s[28:29]
	s_xor_b64 s[28:29], exec, s[36:37]
; %bb.728:                              ;   in Loop: Header=BB6_703 Depth=3
	v_bfe_u32 v0, v25, 16, 1
	v_add3_u32 v22, v25, v0, s88
                                        ; implicit-def: $vgpr25
; %bb.729:                              ;   in Loop: Header=BB6_703 Depth=3
	s_andn2_saveexec_b64 s[36:37], s[28:29]
; %bb.730:                              ;   in Loop: Header=BB6_703 Depth=3
	v_or_b32_e32 v0, 0x10000, v25
	v_cmp_eq_u32_sdwa s[28:29], v25, v52 src0_sel:WORD_0 src1_sel:DWORD
	v_cndmask_b32_e64 v22, v0, v25, s[28:29]
; %bb.731:                              ;   in Loop: Header=BB6_703 Depth=3
	s_or_b64 exec, exec, s[36:37]
	v_and_b32_e32 v0, 0xffff0000, v19
	v_and_b32_e32 v19, 0xffff0000, v23
	v_max_f32_e32 v19, v19, v19
	v_max_f32_e32 v0, v0, v0
	v_min_f32_e32 v23, v0, v19
	v_max_f32_e32 v0, v0, v19
	v_cndmask_b32_e32 v23, v0, v23, vcc
	v_and_b32_e32 v0, 0x7f800000, v23
	v_cmp_ne_u32_e64 s[28:29], s87, v0
                                        ; implicit-def: $vgpr19
	s_and_saveexec_b64 s[36:37], s[28:29]
	s_xor_b64 s[28:29], exec, s[36:37]
; %bb.732:                              ;   in Loop: Header=BB6_703 Depth=3
	v_bfe_u32 v0, v23, 16, 1
	v_add3_u32 v19, v23, v0, s88
                                        ; implicit-def: $vgpr23
; %bb.733:                              ;   in Loop: Header=BB6_703 Depth=3
	s_andn2_saveexec_b64 s[36:37], s[28:29]
; %bb.734:                              ;   in Loop: Header=BB6_703 Depth=3
	v_or_b32_e32 v0, 0x10000, v23
	v_cmp_eq_u32_sdwa s[28:29], v23, v52 src0_sel:WORD_0 src1_sel:DWORD
	v_cndmask_b32_e64 v19, v0, v23, s[28:29]
; %bb.735:                              ;   in Loop: Header=BB6_703 Depth=3
	s_or_b64 exec, exec, s[36:37]
	v_lshlrev_b32_e32 v0, 16, v8
	v_lshlrev_b32_e32 v23, 16, v12
	v_max_f32_e32 v23, v23, v23
	v_max_f32_e32 v0, v0, v0
	v_min_f32_e32 v25, v0, v23
	v_max_f32_e32 v0, v0, v23
	v_cndmask_b32_e32 v25, v0, v25, vcc
	v_and_b32_e32 v0, 0x7f800000, v25
	v_cmp_ne_u32_e64 s[28:29], s87, v0
                                        ; implicit-def: $vgpr23
	s_and_saveexec_b64 s[36:37], s[28:29]
	s_xor_b64 s[28:29], exec, s[36:37]
; %bb.736:                              ;   in Loop: Header=BB6_703 Depth=3
	v_bfe_u32 v0, v25, 16, 1
	v_add3_u32 v23, v25, v0, s88
                                        ; implicit-def: $vgpr25
; %bb.737:                              ;   in Loop: Header=BB6_703 Depth=3
	s_andn2_saveexec_b64 s[36:37], s[28:29]
; %bb.738:                              ;   in Loop: Header=BB6_703 Depth=3
	v_or_b32_e32 v0, 0x10000, v25
	v_cmp_eq_u32_sdwa s[28:29], v25, v52 src0_sel:WORD_0 src1_sel:DWORD
	v_cndmask_b32_e64 v23, v0, v25, s[28:29]
; %bb.739:                              ;   in Loop: Header=BB6_703 Depth=3
	s_or_b64 exec, exec, s[36:37]
	v_and_b32_e32 v0, 0xffff0000, v8
	v_and_b32_e32 v8, 0xffff0000, v12
	v_max_f32_e32 v8, v8, v8
	v_max_f32_e32 v0, v0, v0
	v_min_f32_e32 v12, v0, v8
	v_max_f32_e32 v0, v0, v8
	v_cndmask_b32_e32 v12, v0, v12, vcc
	v_and_b32_e32 v0, 0x7f800000, v12
	v_cmp_ne_u32_e64 s[28:29], s87, v0
                                        ; implicit-def: $vgpr8
	s_and_saveexec_b64 s[36:37], s[28:29]
	s_xor_b64 s[28:29], exec, s[36:37]
; %bb.740:                              ;   in Loop: Header=BB6_703 Depth=3
	v_bfe_u32 v0, v12, 16, 1
	v_add3_u32 v8, v12, v0, s88
                                        ; implicit-def: $vgpr12
; %bb.741:                              ;   in Loop: Header=BB6_703 Depth=3
	s_andn2_saveexec_b64 s[36:37], s[28:29]
; %bb.742:                              ;   in Loop: Header=BB6_703 Depth=3
	v_or_b32_e32 v0, 0x10000, v12
	v_cmp_eq_u32_sdwa s[28:29], v12, v52 src0_sel:WORD_0 src1_sel:DWORD
	v_cndmask_b32_e64 v8, v0, v12, s[28:29]
; %bb.743:                              ;   in Loop: Header=BB6_703 Depth=3
	s_or_b64 exec, exec, s[36:37]
	v_lshlrev_b32_e32 v0, 16, v9
	v_lshlrev_b32_e32 v12, 16, v13
	v_max_f32_e32 v12, v12, v12
	v_max_f32_e32 v0, v0, v0
	v_min_f32_e32 v25, v0, v12
	v_max_f32_e32 v0, v0, v12
	v_cndmask_b32_e32 v25, v0, v25, vcc
	v_and_b32_e32 v0, 0x7f800000, v25
	v_cmp_ne_u32_e64 s[28:29], s87, v0
                                        ; implicit-def: $vgpr12
	s_and_saveexec_b64 s[36:37], s[28:29]
	s_xor_b64 s[28:29], exec, s[36:37]
; %bb.744:                              ;   in Loop: Header=BB6_703 Depth=3
	v_bfe_u32 v0, v25, 16, 1
	v_add3_u32 v12, v25, v0, s88
                                        ; implicit-def: $vgpr25
; %bb.745:                              ;   in Loop: Header=BB6_703 Depth=3
	s_andn2_saveexec_b64 s[36:37], s[28:29]
; %bb.746:                              ;   in Loop: Header=BB6_703 Depth=3
	v_or_b32_e32 v0, 0x10000, v25
	v_cmp_eq_u32_sdwa s[28:29], v25, v52 src0_sel:WORD_0 src1_sel:DWORD
	v_cndmask_b32_e64 v12, v0, v25, s[28:29]
; %bb.747:                              ;   in Loop: Header=BB6_703 Depth=3
	s_or_b64 exec, exec, s[36:37]
	v_and_b32_e32 v0, 0xffff0000, v9
	v_and_b32_e32 v9, 0xffff0000, v13
	v_max_f32_e32 v9, v9, v9
	v_max_f32_e32 v0, v0, v0
	v_min_f32_e32 v13, v0, v9
	v_max_f32_e32 v0, v0, v9
	v_cndmask_b32_e32 v13, v0, v13, vcc
	v_and_b32_e32 v0, 0x7f800000, v13
	v_cmp_ne_u32_e64 s[28:29], s87, v0
                                        ; implicit-def: $vgpr9
	s_and_saveexec_b64 s[36:37], s[28:29]
	s_xor_b64 s[28:29], exec, s[36:37]
; %bb.748:                              ;   in Loop: Header=BB6_703 Depth=3
	v_bfe_u32 v0, v13, 16, 1
	v_add3_u32 v9, v13, v0, s88
                                        ; implicit-def: $vgpr13
; %bb.749:                              ;   in Loop: Header=BB6_703 Depth=3
	s_andn2_saveexec_b64 s[36:37], s[28:29]
; %bb.750:                              ;   in Loop: Header=BB6_703 Depth=3
	v_or_b32_e32 v0, 0x10000, v13
	v_cmp_eq_u32_sdwa s[28:29], v13, v52 src0_sel:WORD_0 src1_sel:DWORD
	v_cndmask_b32_e64 v9, v0, v13, s[28:29]
; %bb.751:                              ;   in Loop: Header=BB6_703 Depth=3
	s_or_b64 exec, exec, s[36:37]
	v_lshlrev_b32_e32 v0, 16, v10
	v_lshlrev_b32_e32 v13, 16, v14
	v_max_f32_e32 v13, v13, v13
	v_max_f32_e32 v0, v0, v0
	v_min_f32_e32 v25, v0, v13
	v_max_f32_e32 v0, v0, v13
	v_cndmask_b32_e32 v25, v0, v25, vcc
	v_and_b32_e32 v0, 0x7f800000, v25
	v_cmp_ne_u32_e64 s[28:29], s87, v0
                                        ; implicit-def: $vgpr13
	s_and_saveexec_b64 s[36:37], s[28:29]
	s_xor_b64 s[28:29], exec, s[36:37]
; %bb.752:                              ;   in Loop: Header=BB6_703 Depth=3
	v_bfe_u32 v0, v25, 16, 1
	v_add3_u32 v13, v25, v0, s88
                                        ; implicit-def: $vgpr25
; %bb.753:                              ;   in Loop: Header=BB6_703 Depth=3
	s_andn2_saveexec_b64 s[36:37], s[28:29]
; %bb.754:                              ;   in Loop: Header=BB6_703 Depth=3
	v_or_b32_e32 v0, 0x10000, v25
	v_cmp_eq_u32_sdwa s[28:29], v25, v52 src0_sel:WORD_0 src1_sel:DWORD
	v_cndmask_b32_e64 v13, v0, v25, s[28:29]
; %bb.755:                              ;   in Loop: Header=BB6_703 Depth=3
	s_or_b64 exec, exec, s[36:37]
	v_and_b32_e32 v0, 0xffff0000, v10
	v_and_b32_e32 v10, 0xffff0000, v14
	v_max_f32_e32 v10, v10, v10
	v_max_f32_e32 v0, v0, v0
	v_min_f32_e32 v14, v0, v10
	v_max_f32_e32 v0, v0, v10
	v_cndmask_b32_e32 v14, v0, v14, vcc
	v_and_b32_e32 v0, 0x7f800000, v14
	v_cmp_ne_u32_e64 s[28:29], s87, v0
                                        ; implicit-def: $vgpr10
	s_and_saveexec_b64 s[36:37], s[28:29]
	s_xor_b64 s[28:29], exec, s[36:37]
; %bb.756:                              ;   in Loop: Header=BB6_703 Depth=3
	v_bfe_u32 v0, v14, 16, 1
	v_add3_u32 v10, v14, v0, s88
                                        ; implicit-def: $vgpr14
; %bb.757:                              ;   in Loop: Header=BB6_703 Depth=3
	s_andn2_saveexec_b64 s[36:37], s[28:29]
; %bb.758:                              ;   in Loop: Header=BB6_703 Depth=3
	v_or_b32_e32 v0, 0x10000, v14
	v_cmp_eq_u32_sdwa s[28:29], v14, v52 src0_sel:WORD_0 src1_sel:DWORD
	v_cndmask_b32_e64 v10, v0, v14, s[28:29]
; %bb.759:                              ;   in Loop: Header=BB6_703 Depth=3
	s_or_b64 exec, exec, s[36:37]
	v_lshlrev_b32_e32 v0, 16, v11
	v_lshlrev_b32_e32 v14, 16, v15
	v_max_f32_e32 v14, v14, v14
	v_max_f32_e32 v0, v0, v0
	v_min_f32_e32 v25, v0, v14
	v_max_f32_e32 v0, v0, v14
	v_cndmask_b32_e32 v25, v0, v25, vcc
	v_and_b32_e32 v0, 0x7f800000, v25
	v_cmp_ne_u32_e64 s[28:29], s87, v0
                                        ; implicit-def: $vgpr14
	s_and_saveexec_b64 s[36:37], s[28:29]
	s_xor_b64 s[28:29], exec, s[36:37]
; %bb.760:                              ;   in Loop: Header=BB6_703 Depth=3
	v_bfe_u32 v0, v25, 16, 1
	v_add3_u32 v14, v25, v0, s88
                                        ; implicit-def: $vgpr25
; %bb.761:                              ;   in Loop: Header=BB6_703 Depth=3
	s_andn2_saveexec_b64 s[36:37], s[28:29]
; %bb.762:                              ;   in Loop: Header=BB6_703 Depth=3
	v_or_b32_e32 v0, 0x10000, v25
	v_cmp_eq_u32_sdwa s[28:29], v25, v52 src0_sel:WORD_0 src1_sel:DWORD
	v_cndmask_b32_e64 v14, v0, v25, s[28:29]
; %bb.763:                              ;   in Loop: Header=BB6_703 Depth=3
	s_or_b64 exec, exec, s[36:37]
	v_and_b32_e32 v0, 0xffff0000, v11
	v_and_b32_e32 v11, 0xffff0000, v15
	v_max_f32_e32 v11, v11, v11
	v_max_f32_e32 v0, v0, v0
	v_min_f32_e32 v15, v0, v11
	v_max_f32_e32 v0, v0, v11
	v_cndmask_b32_e32 v15, v0, v15, vcc
	v_and_b32_e32 v0, 0x7f800000, v15
	v_cmp_ne_u32_e64 s[28:29], s87, v0
                                        ; implicit-def: $vgpr11
	s_and_saveexec_b64 s[36:37], s[28:29]
	s_xor_b64 s[28:29], exec, s[36:37]
; %bb.764:                              ;   in Loop: Header=BB6_703 Depth=3
	v_bfe_u32 v0, v15, 16, 1
	v_add3_u32 v11, v15, v0, s88
                                        ; implicit-def: $vgpr15
; %bb.765:                              ;   in Loop: Header=BB6_703 Depth=3
	s_andn2_saveexec_b64 s[36:37], s[28:29]
	s_cbranch_execz .LBB6_702
; %bb.766:                              ;   in Loop: Header=BB6_703 Depth=3
	v_or_b32_e32 v0, 0x10000, v15
	v_cmp_eq_u32_sdwa s[28:29], v15, v52 src0_sel:WORD_0 src1_sel:DWORD
	v_cndmask_b32_e64 v11, v0, v15, s[28:29]
	s_branch .LBB6_702
.LBB6_767:                              ;   in Loop: Header=BB6_612 Depth=2
	s_or_b64 exec, exec, s[38:39]
	s_and_saveexec_b64 vcc, s[62:63]
	s_xor_b64 vcc, exec, vcc
	s_cbranch_execz .LBB6_769
; %bb.768:                              ;   in Loop: Header=BB6_612 Depth=2
	ds_write_b32 v0, v40
	s_trap 2
.LBB6_769:                              ;   in Loop: Header=BB6_612 Depth=2
	s_or_b64 exec, exec, s[36:37]
	;;#ASMSTART
	s_wakeup
	;;#ASMEND
.LBB6_770:                              ;   in Loop: Header=BB6_612 Depth=2
	s_or_b64 exec, exec, s[34:35]
.LBB6_771:                              ;   in Loop: Header=BB6_612 Depth=2
	s_andn2_saveexec_b64 vcc, s[30:31]
	s_cbranch_execz .LBB6_773
; %bb.772:                              ;   in Loop: Header=BB6_612 Depth=2
	s_waitcnt vmcnt(0) lgkmcnt(0)
	buffer_wbinvl1_vol
	s_barrier
.LBB6_773:                              ;   in Loop: Header=BB6_612 Depth=2
	s_or_b64 exec, exec, vcc
.LBB6_774:                              ;   in Loop: Header=BB6_612 Depth=2
	s_or_b64 exec, exec, s[28:29]
                                        ; implicit-def: $vgpr4
	s_and_saveexec_b64 s[28:29], s[24:25]
	s_xor_b64 s[30:31], exec, s[28:29]
	s_cbranch_execz .LBB6_778
; %bb.775:                              ;   in Loop: Header=BB6_612 Depth=2
	v_and_b32_e32 v0, 16, v62
	v_cmp_lt_i32_e32 vcc, 0, v3
	v_cmp_ne_u32_e64 s[28:29], 0, v0
	v_and_b32_e32 v4, 16, v62
	s_and_b64 vcc, s[28:29], vcc
	s_and_saveexec_b64 s[28:29], vcc
	s_cbranch_execz .LBB6_777
; %bb.776:                              ;   in Loop: Header=BB6_612 Depth=2
	v_mov_b32_e32 v4, 1
	s_waitcnt vmcnt(0) lgkmcnt(0)
	buffer_wbinvl1_vol
.LBB6_777:                              ;   in Loop: Header=BB6_612 Depth=2
	s_or_b64 exec, exec, s[28:29]
	s_andn2_saveexec_b64 s[28:29], s[30:31]
	s_cbranch_execz .LBB6_797
	s_branch .LBB6_779
.LBB6_778:                              ;   in Loop: Header=BB6_612 Depth=2
	s_andn2_saveexec_b64 s[28:29], s[30:31]
	s_cbranch_execz .LBB6_797
.LBB6_779:                              ;   in Loop: Header=BB6_612 Depth=2
	s_and_saveexec_b64 vcc, s[48:49]
	s_xor_b64 s[30:31], exec, vcc
	s_cbranch_execz .LBB6_794
; %bb.780:                              ;   in Loop: Header=BB6_612 Depth=2
	s_and_saveexec_b64 s[34:35], s[16:17]
	s_cbranch_execz .LBB6_793
; %bb.781:                              ;   in Loop: Header=BB6_612 Depth=2
	s_mov_b64 s[38:39], exec
	v_mbcnt_lo_u32_b32 v0, s38, 0
	v_mbcnt_hi_u32_b32 v0, s39, v0
	v_cmp_eq_u32_e32 vcc, 0, v0
	;;#ASMSTART
	s_waitcnt lgkmcnt(0) vmcnt(0)
	;;#ASMEND
	s_and_saveexec_b64 s[36:37], vcc
	s_cbranch_execz .LBB6_783
; %bb.782:                              ;   in Loop: Header=BB6_612 Depth=2
	s_bcnt1_i32_b64 vcc_lo, s[38:39]
	v_mov_b32_e32 v4, vcc_lo
	v_mov_b32_e32 v5, v52
	ds_add_u64 v0, v[4:5]
	s_trap 2
.LBB6_783:                              ;   in Loop: Header=BB6_612 Depth=2
	s_or_b64 exec, exec, s[36:37]
	s_trap 2
	ds_read_b64 v[4:5], v0
	v_add_co_u32_e32 v48, vcc, v48, v54
	v_addc_co_u32_e32 v49, vcc, 0, v49, vcc
	s_waitcnt lgkmcnt(0)
	v_cmp_lt_u64_e32 vcc, v[4:5], v[48:49]
	s_and_saveexec_b64 s[36:37], vcc
	s_cbranch_execz .LBB6_792
; %bb.784:                              ;   in Loop: Header=BB6_612 Depth=2
	s_mov_b32 s46, 0
	s_mov_b64 s[38:39], 0
                                        ; implicit-def: $sgpr62_sgpr63
                                        ; implicit-def: $sgpr64_sgpr65
	s_branch .LBB6_786
.LBB6_785:                              ;   in Loop: Header=BB6_786 Depth=3
	s_or_b64 exec, exec, s[68:69]
	s_and_b64 vcc, exec, vcc
	s_or_b64 s[38:39], vcc, s[38:39]
	s_andn2_b64 vcc, s[62:63], exec
	s_and_b64 s[62:63], s[64:65], exec
	s_or_b64 s[62:63], vcc, s[62:63]
	s_andn2_b64 exec, exec, s[38:39]
	s_cbranch_execz .LBB6_790
.LBB6_786:                              ;   Parent Loop BB6_47 Depth=1
                                        ;     Parent Loop BB6_612 Depth=2
                                        ; =>    This Inner Loop Header: Depth=3
	s_add_i32 s46, s46, 1
	s_cmpk_lg_i32 s46, 0x2710
	s_cselect_b64 s[66:67], -1, 0
	s_and_b64 vcc, exec, s[66:67]
                                        ; implicit-def: $sgpr68_sgpr69
	s_cbranch_vccnz .LBB6_788
; %bb.787:                              ;   in Loop: Header=BB6_786 Depth=3
	s_trap 2
	ds_read_b64 v[4:5], v0
	s_andn2_b64 s[66:67], s[66:67], exec
	s_mov_b32 s46, 0
	s_mov_b64 s[68:69], -1
	s_waitcnt vmcnt(0) lgkmcnt(0)
	flat_load_dword v0, v[4:5] glc
	s_waitcnt vmcnt(0) lgkmcnt(0)
	buffer_invl2
	buffer_wbinvl1_vol
	v_cmp_eq_u32_e32 vcc, 0, v0
	s_and_b64 vcc, vcc, exec
	s_or_b64 s[66:67], s[66:67], vcc
.LBB6_788:                              ;   in Loop: Header=BB6_786 Depth=3
	s_andn2_b64 s[64:65], s[64:65], exec
	s_and_b64 s[68:69], s[68:69], exec
	s_mov_b64 vcc, -1
	s_or_b64 s[64:65], s[64:65], s[68:69]
	s_and_saveexec_b64 s[68:69], s[66:67]
	s_cbranch_execz .LBB6_785
; %bb.789:                              ;   in Loop: Header=BB6_786 Depth=3
	s_sleep 1
	s_trap 2
	ds_read_b64 v[4:5], v0
	s_andn2_b64 s[64:65], s[64:65], exec
	s_waitcnt lgkmcnt(0)
	v_cmp_ge_u64_e32 vcc, v[4:5], v[48:49]
	s_orn2_b64 vcc, vcc, exec
	s_branch .LBB6_785
.LBB6_790:                              ;   in Loop: Header=BB6_612 Depth=2
	s_or_b64 exec, exec, s[38:39]
	s_and_saveexec_b64 vcc, s[62:63]
	s_xor_b64 vcc, exec, vcc
	s_cbranch_execz .LBB6_792
; %bb.791:                              ;   in Loop: Header=BB6_612 Depth=2
	ds_write_b32 v0, v40
	s_trap 2
.LBB6_792:                              ;   in Loop: Header=BB6_612 Depth=2
	s_or_b64 exec, exec, s[36:37]
	;;#ASMSTART
	s_wakeup
	;;#ASMEND
.LBB6_793:                              ;   in Loop: Header=BB6_612 Depth=2
	s_or_b64 exec, exec, s[34:35]
.LBB6_794:                              ;   in Loop: Header=BB6_612 Depth=2
	s_andn2_saveexec_b64 vcc, s[30:31]
	s_cbranch_execz .LBB6_796
; %bb.795:                              ;   in Loop: Header=BB6_612 Depth=2
	;;#ASMSTART
	s_waitcnt lgkmcnt(0) vmcnt(0)
	;;#ASMEND
	s_barrier
.LBB6_796:                              ;   in Loop: Header=BB6_612 Depth=2
	s_or_b64 exec, exec, vcc
	v_and_b32_e32 v4, 16, v62
.LBB6_797:                              ;   in Loop: Header=BB6_612 Depth=2
	s_or_b64 exec, exec, s[28:29]
	v_cmp_ne_u32_e32 vcc, 0, v4
	s_xor_b64 s[28:29], s[12:13], -1
	s_and_b64 vcc, vcc, s[28:29]
	s_and_saveexec_b64 s[28:29], vcc
	s_cbranch_execz .LBB6_799
; %bb.798:                              ;   in Loop: Header=BB6_612 Depth=2
	flat_store_dword v[44:45], v40
.LBB6_799:                              ;   in Loop: Header=BB6_612 Depth=2
	s_or_b64 exec, exec, s[28:29]
	v_and_b32_e32 v0, 48, v62
	v_cmp_ne_u32_e32 vcc, 0, v0
	s_and_saveexec_b64 s[28:29], vcc
	s_cbranch_execz .LBB6_611
; %bb.800:                              ;   in Loop: Header=BB6_612 Depth=2
	v_add_co_u32_e32 v32, vcc, 2, v32
	v_addc_co_u32_e32 v33, vcc, 0, v33, vcc
	flat_store_dwordx2 v[34:35], v[32:33]
	s_branch .LBB6_611
.LBB6_801:                              ;   in Loop: Header=BB6_612 Depth=2
	s_or_b64 exec, exec, s[34:35]
	v_accvgpr_read_b32 v61, a15
	v_accvgpr_read_b32 v56, a3
	;; [unrolled: 1-line block ×5, first 2 shown]
	v_mov_b32_e32 v40, 1
.LBB6_802:                              ;   in Loop: Header=BB6_612 Depth=2
	s_or_b64 exec, exec, s[30:31]
	v_lshlrev_b32_e32 v22, 11, v38
	v_cmp_ne_u32_e32 vcc, v29, v22
	s_mov_b64 s[28:29], 0
	v_mov_b32_e32 v14, 0
                                        ; implicit-def: $vgpr15
                                        ; implicit-def: $vgpr16
                                        ; implicit-def: $vgpr4
	s_and_saveexec_b64 s[62:63], vcc
	s_cbranch_execz .LBB6_844
; %bb.803:                              ;   in Loop: Header=BB6_612 Depth=2
	v_lshlrev_b32_e32 v0, 6, v53
	v_accvgpr_read_b32 v5, a18
	v_sub_u32_e32 v0, v5, v0
	v_ashrrev_i32_e32 v5, 31, v0
	v_lshrrev_b32_e32 v5, 26, v5
	v_add_u32_e32 v5, v0, v5
	v_sub_u32_e32 v4, v29, v22
	v_ashrrev_i32_e32 v8, 6, v5
	v_and_b32_e32 v5, 0xffffffc0, v5
	v_sub_u32_e32 v23, v0, v5
	v_ashrrev_i32_e32 v5, 31, v4
	v_lshrrev_b32_e32 v5, 22, v5
	v_add_u32_e32 v5, v4, v5
	v_and_b32_e32 v24, 0xfffffc00, v5
	v_lshlrev_b32_e32 v0, 4, v23
	v_sub_u32_e32 v53, v4, v24
	v_lshl_add_u32 v0, v8, 10, v0
	v_ashrrev_i32_e32 v9, 10, v5
	v_cmp_lt_i32_e64 s[28:29], 15, v53
	v_sub_u32_e32 v40, v4, v0
	v_addc_co_u32_e64 v4, vcc, 0, v9, s[28:29]
	v_sub_u32_e32 v25, v4, v8
	v_cmp_lt_i32_e32 vcc, 15, v40
	s_and_saveexec_b64 s[64:65], vcc
	s_cbranch_execz .LBB6_841
; %bb.804:                              ;   in Loop: Header=BB6_612 Depth=2
	s_trap 2
	ds_read_b128 v[8:11], v0
	v_add_u32_e32 v0, v0, v22
	v_ashrrev_i32_e32 v12, 31, v0
	s_and_b32 s46, s91, 1
	s_cmp_eq_u64 s[46:47], 0
	s_waitcnt lgkmcnt(0)
	v_add_co_u32_e32 v4, vcc, v8, v0
	v_addc_co_u32_e32 v5, vcc, v9, v12, vcc
	v_add_co_u32_e32 v16, vcc, v10, v0
	v_addc_co_u32_e32 v17, vcc, v11, v12, vcc
	v_accvgpr_write_b32 a20, v43
	s_mov_b64 s[66:67], 0
	s_cselect_b64 s[30:31], -1, 0
	v_pk_mov_b32 v[18:19], v[4:5], v[4:5] op_sel:[0,1]
	v_pk_mov_b32 v[20:21], v[16:17], v[16:17] op_sel:[0,1]
.LBB6_805:                              ;   Parent Loop BB6_47 Depth=1
                                        ;     Parent Loop BB6_612 Depth=2
                                        ; =>    This Loop Header: Depth=3
                                        ;         Child Loop BB6_838 Depth 4
	global_load_dwordx4 v[8:11], v[18:19], off glc slc
	global_load_dwordx4 v[12:15], v[20:21], off glc slc
                                        ; implicit-def: $vgpr41
	s_waitcnt vmcnt(0)
	v_lshlrev_b32_e32 v0, 16, v8
	v_lshlrev_b32_e32 v38, 16, v12
	v_max_f32_e32 v38, v38, v38
	v_max_f32_e32 v0, v0, v0
	v_min_f32_e32 v39, v0, v38
	v_max_f32_e32 v0, v0, v38
	v_cndmask_b32_e64 v43, v0, v39, s[30:31]
	v_and_b32_e32 v0, 0x7f800000, v43
	v_cmp_ne_u32_e32 vcc, s87, v0
	s_and_saveexec_b64 s[34:35], vcc
	s_xor_b64 vcc, exec, s[34:35]
; %bb.806:                              ;   in Loop: Header=BB6_805 Depth=3
	v_bfe_u32 v0, v43, 16, 1
	v_add3_u32 v41, v43, v0, s88
                                        ; implicit-def: $vgpr43
; %bb.807:                              ;   in Loop: Header=BB6_805 Depth=3
	s_andn2_saveexec_b64 s[34:35], vcc
; %bb.808:                              ;   in Loop: Header=BB6_805 Depth=3
	v_or_b32_e32 v0, 0x10000, v43
	v_cmp_eq_u32_sdwa vcc, v43, v52 src0_sel:WORD_0 src1_sel:DWORD
	v_cndmask_b32_e32 v41, v0, v43, vcc
; %bb.809:                              ;   in Loop: Header=BB6_805 Depth=3
	s_or_b64 exec, exec, s[34:35]
	v_and_b32_e32 v0, 0xffff0000, v8
	v_and_b32_e32 v8, 0xffff0000, v12
	v_max_f32_e32 v8, v8, v8
	v_max_f32_e32 v0, v0, v0
	v_min_f32_e32 v12, v0, v8
	v_max_f32_e32 v0, v0, v8
	v_cndmask_b32_e64 v12, v0, v12, s[30:31]
	v_and_b32_e32 v0, 0x7f800000, v12
	v_cmp_ne_u32_e32 vcc, s87, v0
                                        ; implicit-def: $vgpr8
	s_and_saveexec_b64 s[34:35], vcc
	s_xor_b64 vcc, exec, s[34:35]
; %bb.810:                              ;   in Loop: Header=BB6_805 Depth=3
	v_bfe_u32 v0, v12, 16, 1
	v_add3_u32 v8, v12, v0, s88
                                        ; implicit-def: $vgpr12
; %bb.811:                              ;   in Loop: Header=BB6_805 Depth=3
	s_andn2_saveexec_b64 s[34:35], vcc
; %bb.812:                              ;   in Loop: Header=BB6_805 Depth=3
	v_or_b32_e32 v0, 0x10000, v12
	v_cmp_eq_u32_sdwa vcc, v12, v52 src0_sel:WORD_0 src1_sel:DWORD
	v_cndmask_b32_e32 v8, v0, v12, vcc
; %bb.813:                              ;   in Loop: Header=BB6_805 Depth=3
	s_or_b64 exec, exec, s[34:35]
	v_lshlrev_b32_e32 v0, 16, v9
	v_lshlrev_b32_e32 v12, 16, v13
	v_max_f32_e32 v12, v12, v12
	v_max_f32_e32 v0, v0, v0
	v_min_f32_e32 v38, v0, v12
	v_max_f32_e32 v0, v0, v12
	v_cndmask_b32_e64 v43, v0, v38, s[30:31]
	v_and_b32_e32 v0, 0x7f800000, v43
	v_cmp_ne_u32_e32 vcc, s87, v0
                                        ; implicit-def: $vgpr12
	s_and_saveexec_b64 s[34:35], vcc
	s_xor_b64 vcc, exec, s[34:35]
; %bb.814:                              ;   in Loop: Header=BB6_805 Depth=3
	v_bfe_u32 v0, v43, 16, 1
	v_add3_u32 v12, v43, v0, s88
                                        ; implicit-def: $vgpr43
; %bb.815:                              ;   in Loop: Header=BB6_805 Depth=3
	s_andn2_saveexec_b64 s[34:35], vcc
; %bb.816:                              ;   in Loop: Header=BB6_805 Depth=3
	v_or_b32_e32 v0, 0x10000, v43
	v_cmp_eq_u32_sdwa vcc, v43, v52 src0_sel:WORD_0 src1_sel:DWORD
	v_cndmask_b32_e32 v12, v0, v43, vcc
; %bb.817:                              ;   in Loop: Header=BB6_805 Depth=3
	s_or_b64 exec, exec, s[34:35]
	v_and_b32_e32 v0, 0xffff0000, v9
	v_and_b32_e32 v9, 0xffff0000, v13
	v_max_f32_e32 v9, v9, v9
	v_max_f32_e32 v0, v0, v0
	v_min_f32_e32 v13, v0, v9
	v_max_f32_e32 v0, v0, v9
	v_cndmask_b32_e64 v13, v0, v13, s[30:31]
	v_and_b32_e32 v0, 0x7f800000, v13
	v_cmp_ne_u32_e32 vcc, s87, v0
                                        ; implicit-def: $vgpr9
	s_and_saveexec_b64 s[34:35], vcc
	s_xor_b64 vcc, exec, s[34:35]
; %bb.818:                              ;   in Loop: Header=BB6_805 Depth=3
	v_bfe_u32 v0, v13, 16, 1
	v_add3_u32 v9, v13, v0, s88
                                        ; implicit-def: $vgpr13
; %bb.819:                              ;   in Loop: Header=BB6_805 Depth=3
	s_andn2_saveexec_b64 s[34:35], vcc
; %bb.820:                              ;   in Loop: Header=BB6_805 Depth=3
	v_or_b32_e32 v0, 0x10000, v13
	v_cmp_eq_u32_sdwa vcc, v13, v52 src0_sel:WORD_0 src1_sel:DWORD
	v_cndmask_b32_e32 v9, v0, v13, vcc
; %bb.821:                              ;   in Loop: Header=BB6_805 Depth=3
	s_or_b64 exec, exec, s[34:35]
	v_lshlrev_b32_e32 v0, 16, v10
	v_lshlrev_b32_e32 v13, 16, v14
	v_max_f32_e32 v13, v13, v13
	v_max_f32_e32 v0, v0, v0
	v_min_f32_e32 v38, v0, v13
	v_max_f32_e32 v0, v0, v13
	v_cndmask_b32_e64 v43, v0, v38, s[30:31]
	v_and_b32_e32 v0, 0x7f800000, v43
	v_cmp_ne_u32_e32 vcc, s87, v0
                                        ; implicit-def: $vgpr13
	s_and_saveexec_b64 s[34:35], vcc
	s_xor_b64 vcc, exec, s[34:35]
; %bb.822:                              ;   in Loop: Header=BB6_805 Depth=3
	v_bfe_u32 v0, v43, 16, 1
	v_add3_u32 v13, v43, v0, s88
                                        ; implicit-def: $vgpr43
; %bb.823:                              ;   in Loop: Header=BB6_805 Depth=3
	s_andn2_saveexec_b64 s[34:35], vcc
; %bb.824:                              ;   in Loop: Header=BB6_805 Depth=3
	v_or_b32_e32 v0, 0x10000, v43
	v_cmp_eq_u32_sdwa vcc, v43, v52 src0_sel:WORD_0 src1_sel:DWORD
	v_cndmask_b32_e32 v13, v0, v43, vcc
; %bb.825:                              ;   in Loop: Header=BB6_805 Depth=3
	s_or_b64 exec, exec, s[34:35]
	v_and_b32_e32 v0, 0xffff0000, v10
	v_and_b32_e32 v10, 0xffff0000, v14
	v_max_f32_e32 v10, v10, v10
	v_max_f32_e32 v0, v0, v0
	v_min_f32_e32 v14, v0, v10
	v_max_f32_e32 v0, v0, v10
	v_cndmask_b32_e64 v14, v0, v14, s[30:31]
	v_and_b32_e32 v0, 0x7f800000, v14
	v_cmp_ne_u32_e32 vcc, s87, v0
                                        ; implicit-def: $vgpr10
	s_and_saveexec_b64 s[34:35], vcc
	s_xor_b64 vcc, exec, s[34:35]
; %bb.826:                              ;   in Loop: Header=BB6_805 Depth=3
	v_bfe_u32 v0, v14, 16, 1
	v_add3_u32 v10, v14, v0, s88
                                        ; implicit-def: $vgpr14
; %bb.827:                              ;   in Loop: Header=BB6_805 Depth=3
	s_andn2_saveexec_b64 s[34:35], vcc
; %bb.828:                              ;   in Loop: Header=BB6_805 Depth=3
	v_or_b32_e32 v0, 0x10000, v14
	v_cmp_eq_u32_sdwa vcc, v14, v52 src0_sel:WORD_0 src1_sel:DWORD
	v_cndmask_b32_e32 v10, v0, v14, vcc
; %bb.829:                              ;   in Loop: Header=BB6_805 Depth=3
	s_or_b64 exec, exec, s[34:35]
	v_lshlrev_b32_e32 v0, 16, v11
	v_lshlrev_b32_e32 v14, 16, v15
	v_max_f32_e32 v14, v14, v14
	v_max_f32_e32 v0, v0, v0
	v_min_f32_e32 v38, v0, v14
	v_max_f32_e32 v0, v0, v14
	v_cndmask_b32_e64 v43, v0, v38, s[30:31]
	v_and_b32_e32 v0, 0x7f800000, v43
	v_cmp_ne_u32_e32 vcc, s87, v0
                                        ; implicit-def: $vgpr14
	s_and_saveexec_b64 s[34:35], vcc
	s_xor_b64 vcc, exec, s[34:35]
; %bb.830:                              ;   in Loop: Header=BB6_805 Depth=3
	v_bfe_u32 v0, v43, 16, 1
	v_add3_u32 v14, v43, v0, s88
                                        ; implicit-def: $vgpr43
; %bb.831:                              ;   in Loop: Header=BB6_805 Depth=3
	s_andn2_saveexec_b64 s[34:35], vcc
; %bb.832:                              ;   in Loop: Header=BB6_805 Depth=3
	v_or_b32_e32 v0, 0x10000, v43
	v_cmp_eq_u32_sdwa vcc, v43, v52 src0_sel:WORD_0 src1_sel:DWORD
	v_cndmask_b32_e32 v14, v0, v43, vcc
; %bb.833:                              ;   in Loop: Header=BB6_805 Depth=3
	s_or_b64 exec, exec, s[34:35]
	v_and_b32_e32 v0, 0xffff0000, v11
	v_and_b32_e32 v11, 0xffff0000, v15
	v_max_f32_e32 v11, v11, v11
	v_max_f32_e32 v0, v0, v0
	v_min_f32_e32 v15, v0, v11
	v_max_f32_e32 v0, v0, v11
	v_cndmask_b32_e64 v15, v0, v15, s[30:31]
	v_and_b32_e32 v0, 0x7f800000, v15
	v_cmp_ne_u32_e32 vcc, s87, v0
                                        ; implicit-def: $vgpr11
	s_and_saveexec_b64 s[34:35], vcc
	s_xor_b64 vcc, exec, s[34:35]
; %bb.834:                              ;   in Loop: Header=BB6_805 Depth=3
	v_bfe_u32 v0, v15, 16, 1
	v_add3_u32 v11, v15, v0, s88
                                        ; implicit-def: $vgpr15
; %bb.835:                              ;   in Loop: Header=BB6_805 Depth=3
	s_andn2_saveexec_b64 s[34:35], vcc
; %bb.836:                              ;   in Loop: Header=BB6_805 Depth=3
	v_or_b32_e32 v0, 0x10000, v15
	v_cmp_eq_u32_sdwa vcc, v15, v52 src0_sel:WORD_0 src1_sel:DWORD
	v_cndmask_b32_e32 v11, v0, v15, vcc
; %bb.837:                              ;   in Loop: Header=BB6_805 Depth=3
	s_or_b64 exec, exec, s[34:35]
	v_lshrrev_b32_e32 v0, 16, v12
	v_and_or_b32 v9, v9, s89, v0
	v_lshrrev_b32_e32 v0, 16, v41
	v_and_or_b32 v8, v8, s89, v0
	;; [unrolled: 2-line block ×4, first 2 shown]
	s_mov_b64 s[68:69], 0
	s_mov_b64 s[70:71], -1
.LBB6_838:                              ;   Parent Loop BB6_47 Depth=1
                                        ;     Parent Loop BB6_612 Depth=2
                                        ;       Parent Loop BB6_805 Depth=3
                                        ; =>      This Inner Loop Header: Depth=4
	s_cmp_eq_u32 s68, 0
	s_cselect_b64 s[34:35], -1, 0
	s_cmp_eq_u32 s68, 1
	s_cselect_b64 s[38:39], -1, 0
	v_cndmask_b32_e64 v0, 0, 1, s[70:71]
	v_cndmask_b32_e64 v12, v4, v16, s[38:39]
	v_cmp_ne_u32_e64 s[36:37], 1, v0
	v_cndmask_b32_e64 v13, v5, v17, s[38:39]
	v_add_co_u32_e32 v0, vcc, 0x400, v12
	global_store_dwordx4 v[12:13], v[8:11], off glc slc
	v_addc_co_u32_e32 v12, vcc, 0, v13, vcc
	s_mov_b64 s[70:71], 0
	s_mov_b64 s[68:69], 1
	v_cndmask_b32_e64 v16, v16, v0, s[38:39]
	s_and_b64 vcc, exec, s[36:37]
	v_cndmask_b32_e64 v17, v17, v12, s[38:39]
	v_cndmask_b32_e64 v5, v5, v12, s[34:35]
	;; [unrolled: 1-line block ×3, first 2 shown]
	s_cbranch_vccz .LBB6_838
; %bb.839:                              ;   in Loop: Header=BB6_805 Depth=3
	v_add_co_u32_e32 v18, vcc, v18, v1
	v_addc_co_u32_e32 v19, vcc, v19, v58, vcc
	v_add_co_u32_e32 v20, vcc, v20, v1
	v_addc_co_u32_e32 v21, vcc, v21, v58, vcc
	v_accvgpr_read_b32 v0, a12
	v_add_co_u32_e32 v4, vcc, v4, v0
	v_accvgpr_read_b32 v9, a19
	v_addc_co_u32_e32 v5, vcc, v5, v9, vcc
	v_add_co_u32_e32 v16, vcc, v16, v0
	v_addc_co_u32_e32 v17, vcc, v17, v9, vcc
	v_sub_u32_e32 v40, v40, v46
	v_cmp_gt_i32_e32 vcc, 16, v40
	s_or_b64 s[66:67], vcc, s[66:67]
	v_sub_u32_e32 v25, v25, v54
	s_andn2_b64 exec, exec, s[66:67]
	s_cbranch_execnz .LBB6_805
; %bb.840:                              ;   in Loop: Header=BB6_612 Depth=2
	s_or_b64 exec, exec, s[66:67]
	v_accvgpr_read_b32 v39, a21
	v_accvgpr_read_b32 v43, a20
.LBB6_841:                              ;   in Loop: Header=BB6_612 Depth=2
	s_or_b64 exec, exec, s[64:65]
	v_and_b32_e32 v0, 14, v29
	v_cndmask_b32_e64 v15, v53, v0, s[28:29]
	s_mov_b64 s[30:31], 0
	v_mov_b32_e32 v14, 0
	v_cmp_ne_u32_e32 vcc, 0, v15
                                        ; implicit-def: $vgpr16
                                        ; implicit-def: $vgpr4
	s_mov_b64 s[34:35], exec
	s_and_b64 vcc, s[34:35], vcc
	v_accvgpr_read_b32 v41, a13
	v_mov_b32_e32 v40, 1
	s_mov_b64 exec, vcc
	s_cbranch_execz .LBB6_843
; %bb.842:                              ;   in Loop: Header=BB6_612 Depth=2
	v_sub_u32_e32 v0, v53, v0
	v_cndmask_b32_e64 v0, 0, v0, s[28:29]
	v_cmp_lt_i32_e32 vcc, 0, v25
	v_add3_u32 v14, v24, v22, v0
	v_cndmask_b32_e32 v0, 0, v54, vcc
	v_sub_u32_e32 v0, v0, v25
	v_lshl_add_u32 v16, v0, 6, v23
	v_ashrrev_i32_e32 v0, 31, v16
	v_lshrrev_b32_e32 v0, 26, v0
	v_add_u32_e32 v0, v16, v0
	s_mov_b64 s[30:31], exec
	v_ashrrev_i32_e32 v4, 6, v0
.LBB6_843:                              ;   in Loop: Header=BB6_612 Depth=2
	s_or_b64 exec, exec, s[34:35]
	s_and_b64 s[28:29], s[30:31], exec
.LBB6_844:                              ;   in Loop: Header=BB6_612 Depth=2
	s_or_b64 exec, exec, s[62:63]
	s_and_saveexec_b64 s[38:39], s[28:29]
	s_cbranch_execz .LBB6_686
.LBB6_845:                              ;   in Loop: Header=BB6_612 Depth=2
	v_ashrrev_i32_e32 v0, 31, v15
	v_lshrrev_b32_e32 v0, 23, v0
	v_add_u32_e32 v0, v15, v0
	v_ashrrev_i32_e32 v19, 9, v0
	v_sub_u32_e32 v17, v19, v4
	v_ashrrev_i32_e32 v0, 31, v16
	v_cmp_lt_i32_e32 vcc, 0, v17
	v_lshrrev_b32_e32 v18, 26, v0
	s_and_saveexec_b64 s[30:31], vcc
	s_cbranch_execz .LBB6_865
; %bb.846:                              ;   in Loop: Header=BB6_612 Depth=2
	v_add_u32_e32 v0, v16, v18
	v_and_b32_e32 v0, 0x7fffffc0, v0
	v_sub_u32_e32 v0, v16, v0
	v_lshlrev_b32_e32 v0, 1, v0
	s_trap 2
	ds_read_b128 v[8:11], v0
	v_lshlrev_b32_e32 v4, 9, v4
	v_add3_u32 v0, v0, v14, v4
	v_ashrrev_i32_e32 v12, 31, v0
	s_and_b32 s46, s91, 1
	s_waitcnt lgkmcnt(0)
	v_add_co_u32_e32 v4, vcc, v8, v0
	v_addc_co_u32_e32 v5, vcc, v9, v12, vcc
	v_add_co_u32_e32 v8, vcc, v10, v0
	v_addc_co_u32_e32 v9, vcc, v11, v12, vcc
	s_cmp_eq_u64 s[46:47], 0
	s_mov_b64 s[34:35], 0
	s_cselect_b64 vcc, -1, 0
	v_pk_mov_b32 v[10:11], v[4:5], v[4:5] op_sel:[0,1]
	v_pk_mov_b32 v[12:13], v[8:9], v[8:9] op_sel:[0,1]
	s_branch .LBB6_848
.LBB6_847:                              ;   in Loop: Header=BB6_848 Depth=3
	s_or_b64 exec, exec, s[36:37]
	v_add_co_u32_e64 v4, s[28:29], v4, v27
	v_addc_co_u32_e64 v5, s[28:29], v5, v42, s[28:29]
	v_add_co_u32_e64 v8, s[28:29], v8, v27
	v_lshrrev_b32_e32 v20, 16, v20
	v_addc_co_u32_e64 v9, s[28:29], v9, v42, s[28:29]
	v_lshrrev_b32_e32 v0, 16, v24
	v_lshrrev_b32_e32 v22, 16, v23
	;; [unrolled: 1-line block ×3, first 2 shown]
	flat_store_short v[10:11], v20 glc slc
	flat_store_short v[10:11], v22 offset:128 glc slc
	flat_store_short v[10:11], v0 offset:256 glc slc
	;; [unrolled: 1-line block ×3, first 2 shown]
	flat_store_short v[12:13], v20 glc slc
	flat_store_short v[12:13], v22 offset:128 glc slc
	flat_store_short v[12:13], v0 offset:256 glc slc
	flat_store_short v[12:13], v21 offset:384 glc slc
	v_add_co_u32_e64 v10, s[28:29], v10, v27
	v_addc_co_u32_e64 v11, s[28:29], v11, v42, s[28:29]
	v_sub_u32_e32 v17, v17, v54
	v_cmp_gt_i32_e64 s[28:29], 1, v17
	s_or_b64 s[34:35], s[28:29], s[34:35]
	v_add_co_u32_e64 v12, s[28:29], v12, v27
	v_addc_co_u32_e64 v13, s[28:29], v13, v42, s[28:29]
	s_andn2_b64 exec, exec, s[34:35]
	s_cbranch_execz .LBB6_864
.LBB6_848:                              ;   Parent Loop BB6_47 Depth=1
                                        ;     Parent Loop BB6_612 Depth=2
                                        ; =>    This Inner Loop Header: Depth=3
	flat_load_ushort v24, v[4:5] offset:256 glc slc
	flat_load_ushort v21, v[4:5] offset:384 glc slc
	;; [unrolled: 1-line block ×4, first 2 shown]
	flat_load_ushort v0, v[4:5] glc slc
	flat_load_ushort v20, v[8:9] glc slc
	flat_load_ushort v23, v[4:5] offset:128 glc slc
	flat_load_ushort v53, v[8:9] offset:128 glc slc
	s_waitcnt vmcnt(0) lgkmcnt(0)
	v_lshlrev_b32_e32 v0, 16, v0
	v_lshlrev_b32_e32 v20, 16, v20
	v_max_f32_e32 v20, v20, v20
	v_max_f32_e32 v0, v0, v0
	v_min_f32_e32 v38, v0, v20
	v_max_f32_e32 v0, v0, v20
	v_cndmask_b32_e32 v40, v0, v38, vcc
	v_and_b32_e32 v0, 0x7f800000, v40
	v_cmp_ne_u32_e64 s[28:29], s87, v0
                                        ; implicit-def: $vgpr20
	s_and_saveexec_b64 s[36:37], s[28:29]
	s_xor_b64 s[28:29], exec, s[36:37]
; %bb.849:                              ;   in Loop: Header=BB6_848 Depth=3
	v_bfe_u32 v0, v40, 16, 1
	v_add3_u32 v20, v40, v0, s88
                                        ; implicit-def: $vgpr40
; %bb.850:                              ;   in Loop: Header=BB6_848 Depth=3
	s_andn2_saveexec_b64 s[36:37], s[28:29]
; %bb.851:                              ;   in Loop: Header=BB6_848 Depth=3
	v_or_b32_e32 v0, 0x10000, v40
	v_cmp_eq_u32_sdwa s[28:29], v40, v52 src0_sel:WORD_0 src1_sel:DWORD
	v_cndmask_b32_e64 v20, v0, v40, s[28:29]
; %bb.852:                              ;   in Loop: Header=BB6_848 Depth=3
	s_or_b64 exec, exec, s[36:37]
	v_lshlrev_b32_e32 v0, 16, v23
	v_lshlrev_b32_e32 v23, 16, v53
	v_max_f32_e32 v23, v23, v23
	v_max_f32_e32 v0, v0, v0
	v_min_f32_e32 v38, v0, v23
	v_max_f32_e32 v0, v0, v23
	v_cndmask_b32_e32 v53, v0, v38, vcc
	v_and_b32_e32 v0, 0x7f800000, v53
	v_cmp_ne_u32_e64 s[28:29], s87, v0
                                        ; implicit-def: $vgpr23
	s_and_saveexec_b64 s[36:37], s[28:29]
	s_xor_b64 s[28:29], exec, s[36:37]
; %bb.853:                              ;   in Loop: Header=BB6_848 Depth=3
	v_bfe_u32 v0, v53, 16, 1
	v_add3_u32 v23, v53, v0, s88
                                        ; implicit-def: $vgpr53
; %bb.854:                              ;   in Loop: Header=BB6_848 Depth=3
	s_andn2_saveexec_b64 s[36:37], s[28:29]
; %bb.855:                              ;   in Loop: Header=BB6_848 Depth=3
	v_or_b32_e32 v0, 0x10000, v53
	v_cmp_eq_u32_sdwa s[28:29], v53, v52 src0_sel:WORD_0 src1_sel:DWORD
	v_cndmask_b32_e64 v23, v0, v53, s[28:29]
; %bb.856:                              ;   in Loop: Header=BB6_848 Depth=3
	s_or_b64 exec, exec, s[36:37]
	v_lshlrev_b32_e32 v0, 16, v24
	v_lshlrev_b32_e32 v24, 16, v25
	v_max_f32_e32 v24, v24, v24
	v_max_f32_e32 v0, v0, v0
	v_min_f32_e32 v25, v0, v24
	v_max_f32_e32 v0, v0, v24
	v_cndmask_b32_e32 v25, v0, v25, vcc
	v_and_b32_e32 v0, 0x7f800000, v25
	v_cmp_ne_u32_e64 s[28:29], s87, v0
                                        ; implicit-def: $vgpr24
	s_and_saveexec_b64 s[36:37], s[28:29]
	s_xor_b64 s[28:29], exec, s[36:37]
; %bb.857:                              ;   in Loop: Header=BB6_848 Depth=3
	v_bfe_u32 v0, v25, 16, 1
	v_add3_u32 v24, v25, v0, s88
                                        ; implicit-def: $vgpr25
; %bb.858:                              ;   in Loop: Header=BB6_848 Depth=3
	s_andn2_saveexec_b64 s[36:37], s[28:29]
; %bb.859:                              ;   in Loop: Header=BB6_848 Depth=3
	v_or_b32_e32 v0, 0x10000, v25
	v_cmp_eq_u32_sdwa s[28:29], v25, v52 src0_sel:WORD_0 src1_sel:DWORD
	v_cndmask_b32_e64 v24, v0, v25, s[28:29]
; %bb.860:                              ;   in Loop: Header=BB6_848 Depth=3
	s_or_b64 exec, exec, s[36:37]
	v_lshlrev_b32_e32 v0, 16, v21
	v_lshlrev_b32_e32 v21, 16, v22
	v_max_f32_e32 v21, v21, v21
	v_max_f32_e32 v0, v0, v0
	v_min_f32_e32 v22, v0, v21
	v_max_f32_e32 v0, v0, v21
	v_cndmask_b32_e32 v22, v0, v22, vcc
	v_and_b32_e32 v0, 0x7f800000, v22
	v_cmp_ne_u32_e64 s[28:29], s87, v0
                                        ; implicit-def: $vgpr21
	s_and_saveexec_b64 s[36:37], s[28:29]
	s_xor_b64 s[28:29], exec, s[36:37]
; %bb.861:                              ;   in Loop: Header=BB6_848 Depth=3
	v_bfe_u32 v0, v22, 16, 1
	v_add3_u32 v21, v22, v0, s88
                                        ; implicit-def: $vgpr22
; %bb.862:                              ;   in Loop: Header=BB6_848 Depth=3
	s_andn2_saveexec_b64 s[36:37], s[28:29]
	s_cbranch_execz .LBB6_847
; %bb.863:                              ;   in Loop: Header=BB6_848 Depth=3
	v_or_b32_e32 v0, 0x10000, v22
	v_cmp_eq_u32_sdwa s[28:29], v22, v52 src0_sel:WORD_0 src1_sel:DWORD
	v_cndmask_b32_e64 v21, v0, v22, s[28:29]
	s_branch .LBB6_847
.LBB6_864:                              ;   in Loop: Header=BB6_612 Depth=2
	s_or_b64 exec, exec, s[34:35]
	v_accvgpr_read_b32 v41, a13
	v_accvgpr_read_b32 v39, a21
	v_mov_b32_e32 v40, 1
.LBB6_865:                              ;   in Loop: Header=BB6_612 Depth=2
	s_or_b64 exec, exec, s[30:31]
	v_lshlrev_b32_e32 v0, 9, v19
	v_cmp_ne_u32_e32 vcc, v15, v0
	s_and_saveexec_b64 s[62:63], vcc
	s_cbranch_execz .LBB6_875
; %bb.866:                              ;   in Loop: Header=BB6_612 Depth=2
	v_add_u32_e32 v4, v16, v18
	v_and_b32_e32 v4, 0xffffffc0, v4
	v_sub_u32_e32 v4, v16, v4
	v_lshlrev_b32_e32 v5, 6, v17
	v_sub_u32_e32 v4, v4, v5
	v_ashrrev_i32_e32 v5, 31, v4
	v_lshrrev_b32_e32 v5, 26, v5
	v_add_u32_e32 v5, v4, v5
	v_and_b32_e32 v8, 0x7fffffc0, v5
	v_sub_u32_e32 v4, v4, v8
	v_lshlrev_b32_e32 v5, 1, v5
	v_and_b32_e32 v5, 0xffffff80, v5
	v_lshlrev_b32_e32 v4, 1, v4
	v_add3_u32 v0, v5, v4, v0
	v_sub_u32_e32 v15, v15, v0
	v_cmp_lt_i32_e32 vcc, 1, v15
	s_and_b64 exec, exec, vcc
	s_cbranch_execz .LBB6_875
; %bb.867:                              ;   in Loop: Header=BB6_612 Depth=2
	s_trap 2
	ds_read_b128 v[8:11], v0
	v_add_u32_e32 v0, v0, v14
	v_ashrrev_i32_e32 v12, 31, v0
	s_and_b32 s46, s91, 1
	s_cmp_eq_u64 s[46:47], 0
	s_waitcnt lgkmcnt(0)
	v_add_co_u32_e32 v4, vcc, v8, v0
	v_addc_co_u32_e32 v5, vcc, v9, v12, vcc
	v_add_co_u32_e32 v8, vcc, v10, v0
	v_addc_co_u32_e32 v9, vcc, v11, v12, vcc
	s_mov_b64 s[64:65], 0
	s_cselect_b64 s[28:29], -1, 0
	v_pk_mov_b32 v[10:11], v[4:5], v[4:5] op_sel:[0,1]
	v_pk_mov_b32 v[12:13], v[8:9], v[8:9] op_sel:[0,1]
.LBB6_868:                              ;   Parent Loop BB6_47 Depth=1
                                        ;     Parent Loop BB6_612 Depth=2
                                        ; =>    This Loop Header: Depth=3
                                        ;         Child Loop BB6_873 Depth 4
	flat_load_ushort v0, v[10:11] glc slc
	flat_load_ushort v14, v[12:13] glc slc
	s_waitcnt vmcnt(0) lgkmcnt(0)
	v_lshlrev_b32_e32 v0, 16, v0
	v_lshlrev_b32_e32 v14, 16, v14
	v_max_f32_e32 v14, v14, v14
	v_max_f32_e32 v0, v0, v0
	v_min_f32_e32 v16, v0, v14
	v_max_f32_e32 v0, v0, v14
	v_cndmask_b32_e64 v14, v0, v16, s[28:29]
	v_and_b32_e32 v0, 0x7f800000, v14
	v_cmp_ne_u32_e32 vcc, s87, v0
                                        ; implicit-def: $vgpr0
	s_and_saveexec_b64 s[30:31], vcc
	s_xor_b64 vcc, exec, s[30:31]
; %bb.869:                              ;   in Loop: Header=BB6_868 Depth=3
	v_bfe_u32 v0, v14, 16, 1
	v_add3_u32 v0, v14, v0, s88
                                        ; implicit-def: $vgpr14
; %bb.870:                              ;   in Loop: Header=BB6_868 Depth=3
	s_andn2_saveexec_b64 s[30:31], vcc
; %bb.871:                              ;   in Loop: Header=BB6_868 Depth=3
	v_or_b32_e32 v0, 0x10000, v14
	v_cmp_eq_u32_sdwa vcc, v14, v52 src0_sel:WORD_0 src1_sel:DWORD
	v_cndmask_b32_e32 v0, v0, v14, vcc
; %bb.872:                              ;   in Loop: Header=BB6_868 Depth=3
	s_or_b64 exec, exec, s[30:31]
	v_lshrrev_b32_e32 v14, 16, v0
	s_mov_b64 s[66:67], 0
	s_mov_b64 s[68:69], -1
.LBB6_873:                              ;   Parent Loop BB6_47 Depth=1
                                        ;     Parent Loop BB6_612 Depth=2
                                        ;       Parent Loop BB6_868 Depth=3
                                        ; =>      This Inner Loop Header: Depth=4
	s_cmp_eq_u32 s66, 0
	s_cselect_b64 s[30:31], -1, 0
	s_cmp_eq_u32 s66, 1
	s_cselect_b64 s[36:37], -1, 0
	v_cndmask_b32_e64 v0, 0, 1, s[68:69]
	v_cndmask_b32_e64 v16, v4, v8, s[36:37]
	v_cmp_ne_u32_e64 s[34:35], 1, v0
	v_cndmask_b32_e64 v17, v5, v9, s[36:37]
	v_add_co_u32_e32 v0, vcc, 0x80, v16
	flat_store_short v[16:17], v14 glc slc
	v_addc_co_u32_e32 v16, vcc, 0, v17, vcc
	s_mov_b64 s[68:69], 0
	s_mov_b64 s[66:67], 1
	v_cndmask_b32_e64 v8, v8, v0, s[36:37]
	s_and_b64 vcc, exec, s[34:35]
	v_cndmask_b32_e64 v9, v9, v16, s[36:37]
	v_cndmask_b32_e64 v5, v5, v16, s[30:31]
	;; [unrolled: 1-line block ×3, first 2 shown]
	s_cbranch_vccz .LBB6_873
; %bb.874:                              ;   in Loop: Header=BB6_868 Depth=3
	v_add_co_u32_e32 v10, vcc, v10, v59
	v_addc_co_u32_e32 v11, vcc, v11, v26, vcc
	v_add_co_u32_e32 v12, vcc, v12, v59
	v_addc_co_u32_e32 v13, vcc, v13, v26, vcc
	v_accvgpr_read_b32 v0, a16
	v_add_co_u32_e32 v4, vcc, v4, v0
	v_addc_co_u32_e32 v5, vcc, v5, v39, vcc
	v_sub_u32_e32 v15, v15, v47
	v_cmp_gt_i32_e32 vcc, 2, v15
	s_or_b64 s[64:65], vcc, s[64:65]
	v_add_co_u32_e32 v8, vcc, v8, v0
	v_addc_co_u32_e32 v9, vcc, v9, v39, vcc
	s_andn2_b64 exec, exec, s[64:65]
	s_cbranch_execnz .LBB6_868
.LBB6_875:                              ;   in Loop: Header=BB6_612 Depth=2
	s_or_b64 exec, exec, s[62:63]
	s_or_b64 exec, exec, s[38:39]
	s_branch .LBB6_687
.LBB6_876:                              ;   in Loop: Header=BB6_612 Depth=2
	s_mov_b64 s[30:31], -1
	s_and_saveexec_b64 s[28:29], s[22:23]
	s_cbranch_execz .LBB6_878
; %bb.877:                              ;   in Loop: Header=BB6_612 Depth=2
	ds_read_b32 v0, v0 offset:720
	s_waitcnt lgkmcnt(0)
	v_and_b32_e32 v0, 15, v0
	v_cmp_eq_u32_e32 vcc, 0, v0
	s_orn2_b64 s[30:31], vcc, exec
.LBB6_878:                              ;   in Loop: Header=BB6_612 Depth=2
	s_or_b64 exec, exec, s[28:29]
	s_and_saveexec_b64 s[28:29], s[18:19]
	s_cbranch_execz .LBB6_880
; %bb.879:                              ;   in Loop: Header=BB6_612 Depth=2
	ds_read_b32 v0, v0 offset:784
	s_waitcnt lgkmcnt(0)
	v_and_b32_e32 v0, 15, v0
	v_cmp_eq_u32_e32 vcc, 0, v0
	s_and_b64 vcc, s[30:31], vcc
	s_andn2_b64 s[30:31], s[30:31], exec
	s_and_b64 vcc, vcc, exec
	s_or_b64 s[30:31], s[30:31], vcc
.LBB6_880:                              ;   in Loop: Header=BB6_612 Depth=2
	s_or_b64 exec, exec, s[28:29]
	s_xor_b64 vcc, s[30:31], -1
	v_cndmask_b32_e64 v0, 0, 1, vcc
	s_mov_b64 s[28:29], -1
	;;#ASMSTART
	;;#ASMEND
	v_cmp_ne_u32_e32 vcc, 0, v0
	v_mov_b32_e32 v12, 0
	s_cbranch_vccz .LBB6_883
; %bb.881:                              ;   in Loop: Header=BB6_612 Depth=2
	v_mov_b32_e32 v13, v56
	v_mov_b32_e32 v4, v57
	s_and_saveexec_b64 s[30:31], s[28:29]
	s_cbranch_execnz .LBB6_992
.LBB6_882:                              ;   in Loop: Header=BB6_612 Depth=2
	s_or_b64 exec, exec, s[30:31]
	s_and_saveexec_b64 s[28:29], s[10:11]
	s_cbranch_execnz .LBB6_688
	s_branch .LBB6_774
.LBB6_883:                              ;   in Loop: Header=BB6_612 Depth=2
	v_ashrrev_i32_e32 v0, 31, v29
	v_lshrrev_b32_e32 v0, 21, v0
	v_add_u32_e32 v0, v29, v0
	v_ashrrev_i32_e32 v60, 11, v0
	v_sub_u32_e32 v53, v60, v57
	v_cmp_lt_i32_e32 vcc, 0, v53
	s_and_saveexec_b64 s[30:31], vcc
	s_cbranch_execz .LBB6_951
; %bb.884:                              ;   in Loop: Header=BB6_612 Depth=2
	s_trap 2
	ds_read_b128 v[8:11], v0
	ds_read_b64 v[12:13], v0
	v_accvgpr_read_b32 v14, a22
	v_accvgpr_read_b32 v15, a23
	s_and_b32 s46, s91, 1
	s_waitcnt lgkmcnt(0)
	v_add_co_u32_e32 v4, vcc, v8, v14
	v_addc_co_u32_e32 v5, vcc, v9, v15, vcc
	v_add_co_u32_e32 v40, vcc, v10, v14
	v_addc_co_u32_e32 v41, vcc, v11, v15, vcc
	;; [unrolled: 2-line block ×3, first 2 shown]
	s_cmp_eq_u64 s[46:47], 0
	s_mov_b64 s[34:35], 0
	s_cselect_b64 vcc, -1, 0
	s_branch .LBB6_886
.LBB6_885:                              ;   in Loop: Header=BB6_886 Depth=3
	s_or_b64 exec, exec, s[36:37]
	v_lshrrev_b32_e32 v0, 16, v20
	v_and_or_b32 v17, v17, s89, v0
	v_lshrrev_b32_e32 v0, 16, v61
	v_and_or_b32 v16, v16, s89, v0
	;; [unrolled: 2-line block ×3, first 2 shown]
	v_lshrrev_b32_e32 v0, 16, v22
	v_add_co_u32_e64 v4, s[28:29], v4, v55
	v_and_or_b32 v19, v19, s89, v0
	v_lshrrev_b32_e32 v0, 16, v12
	v_addc_co_u32_e64 v5, s[28:29], v5, v31, s[28:29]
	v_and_or_b32 v9, v9, s89, v0
	v_lshrrev_b32_e32 v0, 16, v23
	v_add_co_u32_e64 v40, s[28:29], v40, v55
	v_and_or_b32 v8, v8, s89, v0
	v_lshrrev_b32_e32 v0, 16, v13
	v_addc_co_u32_e64 v41, s[28:29], v41, v31, s[28:29]
	v_sub_u32_e32 v53, v53, v54
	v_and_or_b32 v10, v10, s89, v0
	v_lshrrev_b32_e32 v0, 16, v14
	v_cmp_gt_i32_e64 s[28:29], 1, v53
	v_and_or_b32 v11, v11, s89, v0
	global_store_dwordx4 v[56:57], v[16:19], off glc slc
	global_store_dwordx4 v[56:57], v[8:11], off offset:1024 glc slc
	s_or_b64 s[34:35], s[28:29], s[34:35]
	v_add_co_u32_e64 v56, s[28:29], v56, v55
	v_addc_co_u32_e64 v57, s[28:29], v57, v31, s[28:29]
	s_andn2_b64 exec, exec, s[34:35]
	s_cbranch_execz .LBB6_950
.LBB6_886:                              ;   Parent Loop BB6_47 Depth=1
                                        ;     Parent Loop BB6_612 Depth=2
                                        ; =>    This Inner Loop Header: Depth=3
	global_load_dwordx4 v[16:19], v[4:5], off glc slc
	global_load_dwordx4 v[20:23], v[40:41], off glc slc
	global_load_dwordx4 v[8:11], v[4:5], off offset:1024 glc slc
	global_load_dwordx4 v[12:15], v[40:41], off offset:1024 glc slc
                                        ; implicit-def: $vgpr61
	s_waitcnt vmcnt(0)
	v_lshlrev_b32_e32 v0, 16, v16
	v_lshlrev_b32_e32 v24, 16, v20
	v_max_f32_e32 v24, v24, v24
	v_max_f32_e32 v0, v0, v0
	v_min_f32_e32 v25, v0, v24
	v_max_f32_e32 v0, v0, v24
	v_cndmask_b32_e32 v24, v0, v25, vcc
	v_and_b32_e32 v0, 0x7f800000, v24
	v_cmp_ne_u32_e64 s[28:29], s87, v0
	s_and_saveexec_b64 s[36:37], s[28:29]
	s_xor_b64 s[28:29], exec, s[36:37]
; %bb.887:                              ;   in Loop: Header=BB6_886 Depth=3
	v_bfe_u32 v0, v24, 16, 1
	v_add3_u32 v61, v24, v0, s88
                                        ; implicit-def: $vgpr24
; %bb.888:                              ;   in Loop: Header=BB6_886 Depth=3
	s_andn2_saveexec_b64 s[36:37], s[28:29]
; %bb.889:                              ;   in Loop: Header=BB6_886 Depth=3
	v_or_b32_e32 v0, 0x10000, v24
	v_cmp_eq_u32_sdwa s[28:29], v24, v52 src0_sel:WORD_0 src1_sel:DWORD
	v_cndmask_b32_e64 v61, v0, v24, s[28:29]
; %bb.890:                              ;   in Loop: Header=BB6_886 Depth=3
	s_or_b64 exec, exec, s[36:37]
	v_and_b32_e32 v0, 0xffff0000, v16
	v_and_b32_e32 v16, 0xffff0000, v20
	v_max_f32_e32 v16, v16, v16
	v_max_f32_e32 v0, v0, v0
	v_min_f32_e32 v20, v0, v16
	v_max_f32_e32 v0, v0, v16
	v_cndmask_b32_e32 v20, v0, v20, vcc
	v_and_b32_e32 v0, 0x7f800000, v20
	v_cmp_ne_u32_e64 s[28:29], s87, v0
                                        ; implicit-def: $vgpr16
	s_and_saveexec_b64 s[36:37], s[28:29]
	s_xor_b64 s[28:29], exec, s[36:37]
; %bb.891:                              ;   in Loop: Header=BB6_886 Depth=3
	v_bfe_u32 v0, v20, 16, 1
	v_add3_u32 v16, v20, v0, s88
                                        ; implicit-def: $vgpr20
; %bb.892:                              ;   in Loop: Header=BB6_886 Depth=3
	s_andn2_saveexec_b64 s[36:37], s[28:29]
; %bb.893:                              ;   in Loop: Header=BB6_886 Depth=3
	v_or_b32_e32 v0, 0x10000, v20
	v_cmp_eq_u32_sdwa s[28:29], v20, v52 src0_sel:WORD_0 src1_sel:DWORD
	v_cndmask_b32_e64 v16, v0, v20, s[28:29]
; %bb.894:                              ;   in Loop: Header=BB6_886 Depth=3
	s_or_b64 exec, exec, s[36:37]
	v_lshlrev_b32_e32 v0, 16, v17
	v_lshlrev_b32_e32 v20, 16, v21
	v_max_f32_e32 v20, v20, v20
	v_max_f32_e32 v0, v0, v0
	v_min_f32_e32 v24, v0, v20
	v_max_f32_e32 v0, v0, v20
	v_cndmask_b32_e32 v24, v0, v24, vcc
	v_and_b32_e32 v0, 0x7f800000, v24
	v_cmp_ne_u32_e64 s[28:29], s87, v0
                                        ; implicit-def: $vgpr20
	s_and_saveexec_b64 s[36:37], s[28:29]
	s_xor_b64 s[28:29], exec, s[36:37]
; %bb.895:                              ;   in Loop: Header=BB6_886 Depth=3
	v_bfe_u32 v0, v24, 16, 1
	v_add3_u32 v20, v24, v0, s88
                                        ; implicit-def: $vgpr24
; %bb.896:                              ;   in Loop: Header=BB6_886 Depth=3
	s_andn2_saveexec_b64 s[36:37], s[28:29]
; %bb.897:                              ;   in Loop: Header=BB6_886 Depth=3
	v_or_b32_e32 v0, 0x10000, v24
	v_cmp_eq_u32_sdwa s[28:29], v24, v52 src0_sel:WORD_0 src1_sel:DWORD
	v_cndmask_b32_e64 v20, v0, v24, s[28:29]
; %bb.898:                              ;   in Loop: Header=BB6_886 Depth=3
	s_or_b64 exec, exec, s[36:37]
	v_and_b32_e32 v0, 0xffff0000, v17
	v_and_b32_e32 v17, 0xffff0000, v21
	v_max_f32_e32 v17, v17, v17
	v_max_f32_e32 v0, v0, v0
	v_min_f32_e32 v21, v0, v17
	v_max_f32_e32 v0, v0, v17
	v_cndmask_b32_e32 v21, v0, v21, vcc
	v_and_b32_e32 v0, 0x7f800000, v21
	v_cmp_ne_u32_e64 s[28:29], s87, v0
                                        ; implicit-def: $vgpr17
	s_and_saveexec_b64 s[36:37], s[28:29]
	s_xor_b64 s[28:29], exec, s[36:37]
; %bb.899:                              ;   in Loop: Header=BB6_886 Depth=3
	v_bfe_u32 v0, v21, 16, 1
	v_add3_u32 v17, v21, v0, s88
                                        ; implicit-def: $vgpr21
; %bb.900:                              ;   in Loop: Header=BB6_886 Depth=3
	s_andn2_saveexec_b64 s[36:37], s[28:29]
; %bb.901:                              ;   in Loop: Header=BB6_886 Depth=3
	v_or_b32_e32 v0, 0x10000, v21
	v_cmp_eq_u32_sdwa s[28:29], v21, v52 src0_sel:WORD_0 src1_sel:DWORD
	v_cndmask_b32_e64 v17, v0, v21, s[28:29]
; %bb.902:                              ;   in Loop: Header=BB6_886 Depth=3
	s_or_b64 exec, exec, s[36:37]
	v_lshlrev_b32_e32 v0, 16, v18
	v_lshlrev_b32_e32 v21, 16, v22
	v_max_f32_e32 v21, v21, v21
	v_max_f32_e32 v0, v0, v0
	v_min_f32_e32 v24, v0, v21
	v_max_f32_e32 v0, v0, v21
	v_cndmask_b32_e32 v24, v0, v24, vcc
	v_and_b32_e32 v0, 0x7f800000, v24
	v_cmp_ne_u32_e64 s[28:29], s87, v0
                                        ; implicit-def: $vgpr21
	s_and_saveexec_b64 s[36:37], s[28:29]
	s_xor_b64 s[28:29], exec, s[36:37]
; %bb.903:                              ;   in Loop: Header=BB6_886 Depth=3
	v_bfe_u32 v0, v24, 16, 1
	v_add3_u32 v21, v24, v0, s88
                                        ; implicit-def: $vgpr24
; %bb.904:                              ;   in Loop: Header=BB6_886 Depth=3
	s_andn2_saveexec_b64 s[36:37], s[28:29]
; %bb.905:                              ;   in Loop: Header=BB6_886 Depth=3
	v_or_b32_e32 v0, 0x10000, v24
	v_cmp_eq_u32_sdwa s[28:29], v24, v52 src0_sel:WORD_0 src1_sel:DWORD
	v_cndmask_b32_e64 v21, v0, v24, s[28:29]
; %bb.906:                              ;   in Loop: Header=BB6_886 Depth=3
	s_or_b64 exec, exec, s[36:37]
	v_and_b32_e32 v0, 0xffff0000, v18
	v_and_b32_e32 v18, 0xffff0000, v22
	v_max_f32_e32 v18, v18, v18
	v_max_f32_e32 v0, v0, v0
	v_min_f32_e32 v22, v0, v18
	v_max_f32_e32 v0, v0, v18
	v_cndmask_b32_e32 v22, v0, v22, vcc
	v_and_b32_e32 v0, 0x7f800000, v22
	v_cmp_ne_u32_e64 s[28:29], s87, v0
                                        ; implicit-def: $vgpr18
	s_and_saveexec_b64 s[36:37], s[28:29]
	s_xor_b64 s[28:29], exec, s[36:37]
; %bb.907:                              ;   in Loop: Header=BB6_886 Depth=3
	v_bfe_u32 v0, v22, 16, 1
	v_add3_u32 v18, v22, v0, s88
                                        ; implicit-def: $vgpr22
; %bb.908:                              ;   in Loop: Header=BB6_886 Depth=3
	s_andn2_saveexec_b64 s[36:37], s[28:29]
; %bb.909:                              ;   in Loop: Header=BB6_886 Depth=3
	v_or_b32_e32 v0, 0x10000, v22
	v_cmp_eq_u32_sdwa s[28:29], v22, v52 src0_sel:WORD_0 src1_sel:DWORD
	v_cndmask_b32_e64 v18, v0, v22, s[28:29]
; %bb.910:                              ;   in Loop: Header=BB6_886 Depth=3
	s_or_b64 exec, exec, s[36:37]
	v_lshlrev_b32_e32 v0, 16, v19
	v_lshlrev_b32_e32 v22, 16, v23
	v_max_f32_e32 v22, v22, v22
	v_max_f32_e32 v0, v0, v0
	v_min_f32_e32 v24, v0, v22
	v_max_f32_e32 v0, v0, v22
	v_cndmask_b32_e32 v24, v0, v24, vcc
	v_and_b32_e32 v0, 0x7f800000, v24
	v_cmp_ne_u32_e64 s[28:29], s87, v0
                                        ; implicit-def: $vgpr22
	s_and_saveexec_b64 s[36:37], s[28:29]
	s_xor_b64 s[28:29], exec, s[36:37]
; %bb.911:                              ;   in Loop: Header=BB6_886 Depth=3
	v_bfe_u32 v0, v24, 16, 1
	v_add3_u32 v22, v24, v0, s88
                                        ; implicit-def: $vgpr24
; %bb.912:                              ;   in Loop: Header=BB6_886 Depth=3
	s_andn2_saveexec_b64 s[36:37], s[28:29]
; %bb.913:                              ;   in Loop: Header=BB6_886 Depth=3
	v_or_b32_e32 v0, 0x10000, v24
	v_cmp_eq_u32_sdwa s[28:29], v24, v52 src0_sel:WORD_0 src1_sel:DWORD
	v_cndmask_b32_e64 v22, v0, v24, s[28:29]
; %bb.914:                              ;   in Loop: Header=BB6_886 Depth=3
	s_or_b64 exec, exec, s[36:37]
	v_and_b32_e32 v0, 0xffff0000, v19
	v_and_b32_e32 v19, 0xffff0000, v23
	v_max_f32_e32 v19, v19, v19
	v_max_f32_e32 v0, v0, v0
	v_min_f32_e32 v23, v0, v19
	v_max_f32_e32 v0, v0, v19
	v_cndmask_b32_e32 v23, v0, v23, vcc
	v_and_b32_e32 v0, 0x7f800000, v23
	v_cmp_ne_u32_e64 s[28:29], s87, v0
                                        ; implicit-def: $vgpr19
	s_and_saveexec_b64 s[36:37], s[28:29]
	s_xor_b64 s[28:29], exec, s[36:37]
; %bb.915:                              ;   in Loop: Header=BB6_886 Depth=3
	v_bfe_u32 v0, v23, 16, 1
	v_add3_u32 v19, v23, v0, s88
                                        ; implicit-def: $vgpr23
; %bb.916:                              ;   in Loop: Header=BB6_886 Depth=3
	s_andn2_saveexec_b64 s[36:37], s[28:29]
; %bb.917:                              ;   in Loop: Header=BB6_886 Depth=3
	v_or_b32_e32 v0, 0x10000, v23
	v_cmp_eq_u32_sdwa s[28:29], v23, v52 src0_sel:WORD_0 src1_sel:DWORD
	v_cndmask_b32_e64 v19, v0, v23, s[28:29]
; %bb.918:                              ;   in Loop: Header=BB6_886 Depth=3
	s_or_b64 exec, exec, s[36:37]
	v_lshlrev_b32_e32 v0, 16, v8
	v_lshlrev_b32_e32 v23, 16, v12
	v_max_f32_e32 v23, v23, v23
	v_max_f32_e32 v0, v0, v0
	v_min_f32_e32 v24, v0, v23
	v_max_f32_e32 v0, v0, v23
	v_cndmask_b32_e32 v24, v0, v24, vcc
	v_and_b32_e32 v0, 0x7f800000, v24
	v_cmp_ne_u32_e64 s[28:29], s87, v0
                                        ; implicit-def: $vgpr23
	s_and_saveexec_b64 s[36:37], s[28:29]
	s_xor_b64 s[28:29], exec, s[36:37]
; %bb.919:                              ;   in Loop: Header=BB6_886 Depth=3
	v_bfe_u32 v0, v24, 16, 1
	v_add3_u32 v23, v24, v0, s88
                                        ; implicit-def: $vgpr24
; %bb.920:                              ;   in Loop: Header=BB6_886 Depth=3
	s_andn2_saveexec_b64 s[36:37], s[28:29]
; %bb.921:                              ;   in Loop: Header=BB6_886 Depth=3
	v_or_b32_e32 v0, 0x10000, v24
	v_cmp_eq_u32_sdwa s[28:29], v24, v52 src0_sel:WORD_0 src1_sel:DWORD
	v_cndmask_b32_e64 v23, v0, v24, s[28:29]
; %bb.922:                              ;   in Loop: Header=BB6_886 Depth=3
	s_or_b64 exec, exec, s[36:37]
	v_and_b32_e32 v0, 0xffff0000, v8
	v_and_b32_e32 v8, 0xffff0000, v12
	v_max_f32_e32 v8, v8, v8
	v_max_f32_e32 v0, v0, v0
	v_min_f32_e32 v12, v0, v8
	v_max_f32_e32 v0, v0, v8
	v_cndmask_b32_e32 v12, v0, v12, vcc
	v_and_b32_e32 v0, 0x7f800000, v12
	v_cmp_ne_u32_e64 s[28:29], s87, v0
                                        ; implicit-def: $vgpr8
	s_and_saveexec_b64 s[36:37], s[28:29]
	s_xor_b64 s[28:29], exec, s[36:37]
; %bb.923:                              ;   in Loop: Header=BB6_886 Depth=3
	v_bfe_u32 v0, v12, 16, 1
	v_add3_u32 v8, v12, v0, s88
                                        ; implicit-def: $vgpr12
; %bb.924:                              ;   in Loop: Header=BB6_886 Depth=3
	s_andn2_saveexec_b64 s[36:37], s[28:29]
; %bb.925:                              ;   in Loop: Header=BB6_886 Depth=3
	v_or_b32_e32 v0, 0x10000, v12
	v_cmp_eq_u32_sdwa s[28:29], v12, v52 src0_sel:WORD_0 src1_sel:DWORD
	v_cndmask_b32_e64 v8, v0, v12, s[28:29]
; %bb.926:                              ;   in Loop: Header=BB6_886 Depth=3
	s_or_b64 exec, exec, s[36:37]
	v_lshlrev_b32_e32 v0, 16, v9
	v_lshlrev_b32_e32 v12, 16, v13
	v_max_f32_e32 v12, v12, v12
	v_max_f32_e32 v0, v0, v0
	v_min_f32_e32 v24, v0, v12
	v_max_f32_e32 v0, v0, v12
	v_cndmask_b32_e32 v24, v0, v24, vcc
	v_and_b32_e32 v0, 0x7f800000, v24
	v_cmp_ne_u32_e64 s[28:29], s87, v0
                                        ; implicit-def: $vgpr12
	s_and_saveexec_b64 s[36:37], s[28:29]
	s_xor_b64 s[28:29], exec, s[36:37]
; %bb.927:                              ;   in Loop: Header=BB6_886 Depth=3
	v_bfe_u32 v0, v24, 16, 1
	v_add3_u32 v12, v24, v0, s88
                                        ; implicit-def: $vgpr24
; %bb.928:                              ;   in Loop: Header=BB6_886 Depth=3
	s_andn2_saveexec_b64 s[36:37], s[28:29]
; %bb.929:                              ;   in Loop: Header=BB6_886 Depth=3
	v_or_b32_e32 v0, 0x10000, v24
	v_cmp_eq_u32_sdwa s[28:29], v24, v52 src0_sel:WORD_0 src1_sel:DWORD
	v_cndmask_b32_e64 v12, v0, v24, s[28:29]
; %bb.930:                              ;   in Loop: Header=BB6_886 Depth=3
	s_or_b64 exec, exec, s[36:37]
	v_and_b32_e32 v0, 0xffff0000, v9
	v_and_b32_e32 v9, 0xffff0000, v13
	v_max_f32_e32 v9, v9, v9
	v_max_f32_e32 v0, v0, v0
	v_min_f32_e32 v13, v0, v9
	v_max_f32_e32 v0, v0, v9
	v_cndmask_b32_e32 v13, v0, v13, vcc
	v_and_b32_e32 v0, 0x7f800000, v13
	v_cmp_ne_u32_e64 s[28:29], s87, v0
                                        ; implicit-def: $vgpr9
	s_and_saveexec_b64 s[36:37], s[28:29]
	s_xor_b64 s[28:29], exec, s[36:37]
; %bb.931:                              ;   in Loop: Header=BB6_886 Depth=3
	v_bfe_u32 v0, v13, 16, 1
	v_add3_u32 v9, v13, v0, s88
                                        ; implicit-def: $vgpr13
; %bb.932:                              ;   in Loop: Header=BB6_886 Depth=3
	s_andn2_saveexec_b64 s[36:37], s[28:29]
; %bb.933:                              ;   in Loop: Header=BB6_886 Depth=3
	v_or_b32_e32 v0, 0x10000, v13
	v_cmp_eq_u32_sdwa s[28:29], v13, v52 src0_sel:WORD_0 src1_sel:DWORD
	v_cndmask_b32_e64 v9, v0, v13, s[28:29]
; %bb.934:                              ;   in Loop: Header=BB6_886 Depth=3
	s_or_b64 exec, exec, s[36:37]
	v_lshlrev_b32_e32 v0, 16, v10
	v_lshlrev_b32_e32 v13, 16, v14
	v_max_f32_e32 v13, v13, v13
	v_max_f32_e32 v0, v0, v0
	v_min_f32_e32 v24, v0, v13
	v_max_f32_e32 v0, v0, v13
	v_cndmask_b32_e32 v24, v0, v24, vcc
	v_and_b32_e32 v0, 0x7f800000, v24
	v_cmp_ne_u32_e64 s[28:29], s87, v0
                                        ; implicit-def: $vgpr13
	s_and_saveexec_b64 s[36:37], s[28:29]
	s_xor_b64 s[28:29], exec, s[36:37]
; %bb.935:                              ;   in Loop: Header=BB6_886 Depth=3
	v_bfe_u32 v0, v24, 16, 1
	v_add3_u32 v13, v24, v0, s88
                                        ; implicit-def: $vgpr24
; %bb.936:                              ;   in Loop: Header=BB6_886 Depth=3
	s_andn2_saveexec_b64 s[36:37], s[28:29]
; %bb.937:                              ;   in Loop: Header=BB6_886 Depth=3
	v_or_b32_e32 v0, 0x10000, v24
	v_cmp_eq_u32_sdwa s[28:29], v24, v52 src0_sel:WORD_0 src1_sel:DWORD
	v_cndmask_b32_e64 v13, v0, v24, s[28:29]
; %bb.938:                              ;   in Loop: Header=BB6_886 Depth=3
	s_or_b64 exec, exec, s[36:37]
	v_and_b32_e32 v0, 0xffff0000, v10
	v_and_b32_e32 v10, 0xffff0000, v14
	v_max_f32_e32 v10, v10, v10
	v_max_f32_e32 v0, v0, v0
	v_min_f32_e32 v14, v0, v10
	v_max_f32_e32 v0, v0, v10
	v_cndmask_b32_e32 v14, v0, v14, vcc
	v_and_b32_e32 v0, 0x7f800000, v14
	v_cmp_ne_u32_e64 s[28:29], s87, v0
                                        ; implicit-def: $vgpr10
	s_and_saveexec_b64 s[36:37], s[28:29]
	s_xor_b64 s[28:29], exec, s[36:37]
; %bb.939:                              ;   in Loop: Header=BB6_886 Depth=3
	v_bfe_u32 v0, v14, 16, 1
	v_add3_u32 v10, v14, v0, s88
                                        ; implicit-def: $vgpr14
; %bb.940:                              ;   in Loop: Header=BB6_886 Depth=3
	s_andn2_saveexec_b64 s[36:37], s[28:29]
; %bb.941:                              ;   in Loop: Header=BB6_886 Depth=3
	v_or_b32_e32 v0, 0x10000, v14
	v_cmp_eq_u32_sdwa s[28:29], v14, v52 src0_sel:WORD_0 src1_sel:DWORD
	v_cndmask_b32_e64 v10, v0, v14, s[28:29]
; %bb.942:                              ;   in Loop: Header=BB6_886 Depth=3
	s_or_b64 exec, exec, s[36:37]
	v_lshlrev_b32_e32 v0, 16, v11
	v_lshlrev_b32_e32 v14, 16, v15
	v_max_f32_e32 v14, v14, v14
	v_max_f32_e32 v0, v0, v0
	v_min_f32_e32 v24, v0, v14
	v_max_f32_e32 v0, v0, v14
	v_cndmask_b32_e32 v24, v0, v24, vcc
	v_and_b32_e32 v0, 0x7f800000, v24
	v_cmp_ne_u32_e64 s[28:29], s87, v0
                                        ; implicit-def: $vgpr14
	s_and_saveexec_b64 s[36:37], s[28:29]
	s_xor_b64 s[28:29], exec, s[36:37]
; %bb.943:                              ;   in Loop: Header=BB6_886 Depth=3
	v_bfe_u32 v0, v24, 16, 1
	v_add3_u32 v14, v24, v0, s88
                                        ; implicit-def: $vgpr24
; %bb.944:                              ;   in Loop: Header=BB6_886 Depth=3
	s_andn2_saveexec_b64 s[36:37], s[28:29]
; %bb.945:                              ;   in Loop: Header=BB6_886 Depth=3
	v_or_b32_e32 v0, 0x10000, v24
	v_cmp_eq_u32_sdwa s[28:29], v24, v52 src0_sel:WORD_0 src1_sel:DWORD
	v_cndmask_b32_e64 v14, v0, v24, s[28:29]
; %bb.946:                              ;   in Loop: Header=BB6_886 Depth=3
	s_or_b64 exec, exec, s[36:37]
	v_and_b32_e32 v0, 0xffff0000, v11
	v_and_b32_e32 v11, 0xffff0000, v15
	v_max_f32_e32 v11, v11, v11
	v_max_f32_e32 v0, v0, v0
	v_min_f32_e32 v15, v0, v11
	v_max_f32_e32 v0, v0, v11
	v_cndmask_b32_e32 v15, v0, v15, vcc
	v_and_b32_e32 v0, 0x7f800000, v15
	v_cmp_ne_u32_e64 s[28:29], s87, v0
                                        ; implicit-def: $vgpr11
	s_and_saveexec_b64 s[36:37], s[28:29]
	s_xor_b64 s[28:29], exec, s[36:37]
; %bb.947:                              ;   in Loop: Header=BB6_886 Depth=3
	v_bfe_u32 v0, v15, 16, 1
	v_add3_u32 v11, v15, v0, s88
                                        ; implicit-def: $vgpr15
; %bb.948:                              ;   in Loop: Header=BB6_886 Depth=3
	s_andn2_saveexec_b64 s[36:37], s[28:29]
	s_cbranch_execz .LBB6_885
; %bb.949:                              ;   in Loop: Header=BB6_886 Depth=3
	v_or_b32_e32 v0, 0x10000, v15
	v_cmp_eq_u32_sdwa s[28:29], v15, v52 src0_sel:WORD_0 src1_sel:DWORD
	v_cndmask_b32_e64 v11, v0, v15, s[28:29]
	s_branch .LBB6_885
.LBB6_950:                              ;   in Loop: Header=BB6_612 Depth=2
	s_or_b64 exec, exec, s[34:35]
	v_accvgpr_read_b32 v56, a3
	v_accvgpr_read_b32 v41, a13
	;; [unrolled: 1-line block ×3, first 2 shown]
	v_mov_b32_e32 v40, 1
.LBB6_951:                              ;   in Loop: Header=BB6_612 Depth=2
	s_or_b64 exec, exec, s[30:31]
	v_lshlrev_b32_e32 v20, 11, v60
	s_mov_b64 s[28:29], 0
	v_mov_b32_e32 v12, 0
	v_cmp_ne_u32_e32 vcc, v29, v20
                                        ; implicit-def: $vgpr13
                                        ; implicit-def: $vgpr4
	s_mov_b64 s[34:35], exec
	v_accvgpr_read_b32 v61, a15
	s_and_b64 vcc, s[34:35], vcc
	v_accvgpr_read_b32 v60, a14
	s_mov_b64 exec, vcc
	s_cbranch_execz .LBB6_991
; %bb.952:                              ;   in Loop: Header=BB6_612 Depth=2
	v_lshlrev_b32_e32 v0, 6, v53
	v_accvgpr_read_b32 v5, a18
	v_sub_u32_e32 v0, v5, v0
	v_ashrrev_i32_e32 v5, 31, v0
	v_lshrrev_b32_e32 v5, 26, v5
	v_add_u32_e32 v5, v0, v5
	v_sub_u32_e32 v4, v29, v20
	v_ashrrev_i32_e32 v8, 6, v5
	v_and_b32_e32 v5, 0xffffffc0, v5
	v_sub_u32_e32 v21, v0, v5
	v_ashrrev_i32_e32 v5, 31, v4
	v_lshrrev_b32_e32 v5, 22, v5
	v_add_u32_e32 v5, v4, v5
	v_and_b32_e32 v22, 0xfffffc00, v5
	v_lshlrev_b32_e32 v0, 4, v21
	v_sub_u32_e32 v24, v4, v22
	v_lshl_add_u32 v0, v8, 10, v0
	v_ashrrev_i32_e32 v9, 10, v5
	v_cmp_lt_i32_e32 vcc, 15, v24
	v_sub_u32_e32 v25, v4, v0
	v_addc_co_u32_e64 v4, s[28:29], 0, v9, vcc
	v_sub_u32_e32 v23, v4, v8
	v_cmp_lt_i32_e64 s[28:29], 15, v25
	s_and_saveexec_b64 s[36:37], s[28:29]
	s_cbranch_execz .LBB6_988
; %bb.953:                              ;   in Loop: Header=BB6_612 Depth=2
	s_trap 2
	ds_read_b128 v[8:11], v0
	v_add_u32_e32 v0, v0, v20
	ds_read_b64 v[12:13], v0
	v_ashrrev_i32_e32 v14, 31, v0
	s_and_b32 s46, s91, 1
	s_waitcnt lgkmcnt(0)
	v_add_co_u32_e64 v4, s[28:29], v8, v0
	v_addc_co_u32_e64 v5, s[28:29], v9, v14, s[28:29]
	v_add_co_u32_e64 v16, s[28:29], v10, v0
	v_addc_co_u32_e64 v17, s[28:29], v11, v14, s[28:29]
	;; [unrolled: 2-line block ×3, first 2 shown]
	s_cmp_eq_u64 s[46:47], 0
	s_mov_b64 s[38:39], 0
	s_cselect_b64 s[28:29], -1, 0
	s_branch .LBB6_955
.LBB6_954:                              ;   in Loop: Header=BB6_955 Depth=3
	s_or_b64 exec, exec, s[62:63]
	v_lshrrev_b32_e32 v0, 16, v12
	v_and_or_b32 v9, v9, s89, v0
	v_lshrrev_b32_e32 v0, 16, v53
	v_add_co_u32_e64 v4, s[30:31], v4, v1
	v_and_or_b32 v8, v8, s89, v0
	v_lshrrev_b32_e32 v0, 16, v13
	v_addc_co_u32_e64 v5, s[30:31], v5, v58, s[30:31]
	v_and_or_b32 v10, v10, s89, v0
	v_lshrrev_b32_e32 v0, 16, v14
	v_add_co_u32_e64 v16, s[30:31], v16, v1
	v_and_or_b32 v11, v11, s89, v0
	v_addc_co_u32_e64 v17, s[30:31], v17, v58, s[30:31]
	global_store_dwordx4 v[18:19], v[8:11], off glc slc
	v_add_co_u32_e64 v18, s[30:31], v18, v1
	v_addc_co_u32_e64 v19, s[30:31], v19, v58, s[30:31]
	v_sub_u32_e32 v25, v25, v46
	v_cmp_gt_i32_e64 s[30:31], 16, v25
	s_or_b64 s[38:39], s[30:31], s[38:39]
	v_sub_u32_e32 v23, v23, v54
	s_andn2_b64 exec, exec, s[38:39]
	s_cbranch_execz .LBB6_987
.LBB6_955:                              ;   Parent Loop BB6_47 Depth=1
                                        ;     Parent Loop BB6_612 Depth=2
                                        ; =>    This Inner Loop Header: Depth=3
	global_load_dwordx4 v[8:11], v[4:5], off glc slc
	global_load_dwordx4 v[12:15], v[16:17], off glc slc
                                        ; implicit-def: $vgpr53
	s_waitcnt vmcnt(0)
	v_lshlrev_b32_e32 v0, 16, v8
	v_lshlrev_b32_e32 v38, 16, v12
	v_max_f32_e32 v38, v38, v38
	v_max_f32_e32 v0, v0, v0
	v_min_f32_e32 v39, v0, v38
	v_max_f32_e32 v0, v0, v38
	v_cndmask_b32_e64 v40, v0, v39, s[28:29]
	v_and_b32_e32 v0, 0x7f800000, v40
	v_cmp_ne_u32_e64 s[30:31], s87, v0
	s_and_saveexec_b64 s[62:63], s[30:31]
	s_xor_b64 s[30:31], exec, s[62:63]
; %bb.956:                              ;   in Loop: Header=BB6_955 Depth=3
	v_bfe_u32 v0, v40, 16, 1
	v_add3_u32 v53, v40, v0, s88
                                        ; implicit-def: $vgpr40
; %bb.957:                              ;   in Loop: Header=BB6_955 Depth=3
	s_andn2_saveexec_b64 s[62:63], s[30:31]
; %bb.958:                              ;   in Loop: Header=BB6_955 Depth=3
	v_or_b32_e32 v0, 0x10000, v40
	v_cmp_eq_u32_sdwa s[30:31], v40, v52 src0_sel:WORD_0 src1_sel:DWORD
	v_cndmask_b32_e64 v53, v0, v40, s[30:31]
; %bb.959:                              ;   in Loop: Header=BB6_955 Depth=3
	s_or_b64 exec, exec, s[62:63]
	v_and_b32_e32 v0, 0xffff0000, v8
	v_and_b32_e32 v8, 0xffff0000, v12
	v_max_f32_e32 v8, v8, v8
	v_max_f32_e32 v0, v0, v0
	v_min_f32_e32 v12, v0, v8
	v_max_f32_e32 v0, v0, v8
	v_cndmask_b32_e64 v12, v0, v12, s[28:29]
	v_and_b32_e32 v0, 0x7f800000, v12
	v_cmp_ne_u32_e64 s[30:31], s87, v0
                                        ; implicit-def: $vgpr8
	s_and_saveexec_b64 s[62:63], s[30:31]
	s_xor_b64 s[30:31], exec, s[62:63]
; %bb.960:                              ;   in Loop: Header=BB6_955 Depth=3
	v_bfe_u32 v0, v12, 16, 1
	v_add3_u32 v8, v12, v0, s88
                                        ; implicit-def: $vgpr12
; %bb.961:                              ;   in Loop: Header=BB6_955 Depth=3
	s_andn2_saveexec_b64 s[62:63], s[30:31]
; %bb.962:                              ;   in Loop: Header=BB6_955 Depth=3
	v_or_b32_e32 v0, 0x10000, v12
	v_cmp_eq_u32_sdwa s[30:31], v12, v52 src0_sel:WORD_0 src1_sel:DWORD
	v_cndmask_b32_e64 v8, v0, v12, s[30:31]
; %bb.963:                              ;   in Loop: Header=BB6_955 Depth=3
	s_or_b64 exec, exec, s[62:63]
	v_lshlrev_b32_e32 v0, 16, v9
	v_lshlrev_b32_e32 v12, 16, v13
	v_max_f32_e32 v12, v12, v12
	v_max_f32_e32 v0, v0, v0
	v_min_f32_e32 v38, v0, v12
	v_max_f32_e32 v0, v0, v12
	v_cndmask_b32_e64 v40, v0, v38, s[28:29]
	v_and_b32_e32 v0, 0x7f800000, v40
	v_cmp_ne_u32_e64 s[30:31], s87, v0
                                        ; implicit-def: $vgpr12
	s_and_saveexec_b64 s[62:63], s[30:31]
	s_xor_b64 s[30:31], exec, s[62:63]
; %bb.964:                              ;   in Loop: Header=BB6_955 Depth=3
	v_bfe_u32 v0, v40, 16, 1
	v_add3_u32 v12, v40, v0, s88
                                        ; implicit-def: $vgpr40
; %bb.965:                              ;   in Loop: Header=BB6_955 Depth=3
	s_andn2_saveexec_b64 s[62:63], s[30:31]
; %bb.966:                              ;   in Loop: Header=BB6_955 Depth=3
	v_or_b32_e32 v0, 0x10000, v40
	v_cmp_eq_u32_sdwa s[30:31], v40, v52 src0_sel:WORD_0 src1_sel:DWORD
	v_cndmask_b32_e64 v12, v0, v40, s[30:31]
; %bb.967:                              ;   in Loop: Header=BB6_955 Depth=3
	s_or_b64 exec, exec, s[62:63]
	v_and_b32_e32 v0, 0xffff0000, v9
	v_and_b32_e32 v9, 0xffff0000, v13
	v_max_f32_e32 v9, v9, v9
	v_max_f32_e32 v0, v0, v0
	v_min_f32_e32 v13, v0, v9
	v_max_f32_e32 v0, v0, v9
	v_cndmask_b32_e64 v13, v0, v13, s[28:29]
	v_and_b32_e32 v0, 0x7f800000, v13
	v_cmp_ne_u32_e64 s[30:31], s87, v0
                                        ; implicit-def: $vgpr9
	s_and_saveexec_b64 s[62:63], s[30:31]
	s_xor_b64 s[30:31], exec, s[62:63]
; %bb.968:                              ;   in Loop: Header=BB6_955 Depth=3
	v_bfe_u32 v0, v13, 16, 1
	v_add3_u32 v9, v13, v0, s88
                                        ; implicit-def: $vgpr13
; %bb.969:                              ;   in Loop: Header=BB6_955 Depth=3
	s_andn2_saveexec_b64 s[62:63], s[30:31]
; %bb.970:                              ;   in Loop: Header=BB6_955 Depth=3
	v_or_b32_e32 v0, 0x10000, v13
	v_cmp_eq_u32_sdwa s[30:31], v13, v52 src0_sel:WORD_0 src1_sel:DWORD
	v_cndmask_b32_e64 v9, v0, v13, s[30:31]
; %bb.971:                              ;   in Loop: Header=BB6_955 Depth=3
	s_or_b64 exec, exec, s[62:63]
	v_lshlrev_b32_e32 v0, 16, v10
	v_lshlrev_b32_e32 v13, 16, v14
	v_max_f32_e32 v13, v13, v13
	v_max_f32_e32 v0, v0, v0
	v_min_f32_e32 v38, v0, v13
	v_max_f32_e32 v0, v0, v13
	v_cndmask_b32_e64 v40, v0, v38, s[28:29]
	v_and_b32_e32 v0, 0x7f800000, v40
	v_cmp_ne_u32_e64 s[30:31], s87, v0
                                        ; implicit-def: $vgpr13
	s_and_saveexec_b64 s[62:63], s[30:31]
	s_xor_b64 s[30:31], exec, s[62:63]
; %bb.972:                              ;   in Loop: Header=BB6_955 Depth=3
	v_bfe_u32 v0, v40, 16, 1
	v_add3_u32 v13, v40, v0, s88
                                        ; implicit-def: $vgpr40
; %bb.973:                              ;   in Loop: Header=BB6_955 Depth=3
	s_andn2_saveexec_b64 s[62:63], s[30:31]
; %bb.974:                              ;   in Loop: Header=BB6_955 Depth=3
	v_or_b32_e32 v0, 0x10000, v40
	v_cmp_eq_u32_sdwa s[30:31], v40, v52 src0_sel:WORD_0 src1_sel:DWORD
	v_cndmask_b32_e64 v13, v0, v40, s[30:31]
; %bb.975:                              ;   in Loop: Header=BB6_955 Depth=3
	s_or_b64 exec, exec, s[62:63]
	v_and_b32_e32 v0, 0xffff0000, v10
	v_and_b32_e32 v10, 0xffff0000, v14
	v_max_f32_e32 v10, v10, v10
	v_max_f32_e32 v0, v0, v0
	v_min_f32_e32 v14, v0, v10
	v_max_f32_e32 v0, v0, v10
	v_cndmask_b32_e64 v14, v0, v14, s[28:29]
	v_and_b32_e32 v0, 0x7f800000, v14
	v_cmp_ne_u32_e64 s[30:31], s87, v0
                                        ; implicit-def: $vgpr10
	s_and_saveexec_b64 s[62:63], s[30:31]
	s_xor_b64 s[30:31], exec, s[62:63]
; %bb.976:                              ;   in Loop: Header=BB6_955 Depth=3
	v_bfe_u32 v0, v14, 16, 1
	v_add3_u32 v10, v14, v0, s88
                                        ; implicit-def: $vgpr14
; %bb.977:                              ;   in Loop: Header=BB6_955 Depth=3
	s_andn2_saveexec_b64 s[62:63], s[30:31]
; %bb.978:                              ;   in Loop: Header=BB6_955 Depth=3
	v_or_b32_e32 v0, 0x10000, v14
	v_cmp_eq_u32_sdwa s[30:31], v14, v52 src0_sel:WORD_0 src1_sel:DWORD
	v_cndmask_b32_e64 v10, v0, v14, s[30:31]
; %bb.979:                              ;   in Loop: Header=BB6_955 Depth=3
	s_or_b64 exec, exec, s[62:63]
	v_lshlrev_b32_e32 v0, 16, v11
	v_lshlrev_b32_e32 v14, 16, v15
	v_max_f32_e32 v14, v14, v14
	v_max_f32_e32 v0, v0, v0
	v_min_f32_e32 v38, v0, v14
	v_max_f32_e32 v0, v0, v14
	v_cndmask_b32_e64 v40, v0, v38, s[28:29]
	v_and_b32_e32 v0, 0x7f800000, v40
	v_cmp_ne_u32_e64 s[30:31], s87, v0
                                        ; implicit-def: $vgpr14
	s_and_saveexec_b64 s[62:63], s[30:31]
	s_xor_b64 s[30:31], exec, s[62:63]
; %bb.980:                              ;   in Loop: Header=BB6_955 Depth=3
	v_bfe_u32 v0, v40, 16, 1
	v_add3_u32 v14, v40, v0, s88
                                        ; implicit-def: $vgpr40
; %bb.981:                              ;   in Loop: Header=BB6_955 Depth=3
	s_andn2_saveexec_b64 s[62:63], s[30:31]
; %bb.982:                              ;   in Loop: Header=BB6_955 Depth=3
	v_or_b32_e32 v0, 0x10000, v40
	v_cmp_eq_u32_sdwa s[30:31], v40, v52 src0_sel:WORD_0 src1_sel:DWORD
	v_cndmask_b32_e64 v14, v0, v40, s[30:31]
; %bb.983:                              ;   in Loop: Header=BB6_955 Depth=3
	s_or_b64 exec, exec, s[62:63]
	v_and_b32_e32 v0, 0xffff0000, v11
	v_and_b32_e32 v11, 0xffff0000, v15
	v_max_f32_e32 v11, v11, v11
	v_max_f32_e32 v0, v0, v0
	v_min_f32_e32 v15, v0, v11
	v_max_f32_e32 v0, v0, v11
	v_cndmask_b32_e64 v15, v0, v15, s[28:29]
	v_and_b32_e32 v0, 0x7f800000, v15
	v_cmp_ne_u32_e64 s[30:31], s87, v0
                                        ; implicit-def: $vgpr11
	s_and_saveexec_b64 s[62:63], s[30:31]
	s_xor_b64 s[30:31], exec, s[62:63]
; %bb.984:                              ;   in Loop: Header=BB6_955 Depth=3
	v_bfe_u32 v0, v15, 16, 1
	v_add3_u32 v11, v15, v0, s88
                                        ; implicit-def: $vgpr15
; %bb.985:                              ;   in Loop: Header=BB6_955 Depth=3
	s_andn2_saveexec_b64 s[62:63], s[30:31]
	s_cbranch_execz .LBB6_954
; %bb.986:                              ;   in Loop: Header=BB6_955 Depth=3
	v_or_b32_e32 v0, 0x10000, v15
	v_cmp_eq_u32_sdwa s[30:31], v15, v52 src0_sel:WORD_0 src1_sel:DWORD
	v_cndmask_b32_e64 v11, v0, v15, s[30:31]
	s_branch .LBB6_954
.LBB6_987:                              ;   in Loop: Header=BB6_612 Depth=2
	s_or_b64 exec, exec, s[38:39]
	v_accvgpr_read_b32 v41, a13
	v_accvgpr_read_b32 v39, a21
	v_mov_b32_e32 v40, 1
.LBB6_988:                              ;   in Loop: Header=BB6_612 Depth=2
	s_or_b64 exec, exec, s[36:37]
	v_and_b32_e32 v0, 14, v29
	v_cndmask_b32_e32 v29, v24, v0, vcc
	v_cmp_ne_u32_e64 s[28:29], 0, v29
	s_mov_b64 s[30:31], 0
	v_mov_b32_e32 v12, 0
                                        ; implicit-def: $vgpr13
                                        ; implicit-def: $vgpr4
	s_and_saveexec_b64 s[36:37], s[28:29]
	s_cbranch_execz .LBB6_990
; %bb.989:                              ;   in Loop: Header=BB6_612 Depth=2
	v_sub_u32_e32 v0, v24, v0
	v_cndmask_b32_e32 v0, 0, v0, vcc
	v_cmp_lt_i32_e32 vcc, 0, v23
	v_add3_u32 v12, v22, v20, v0
	v_cndmask_b32_e32 v0, 0, v54, vcc
	v_sub_u32_e32 v0, v0, v23
	v_lshl_add_u32 v13, v0, 6, v21
	v_ashrrev_i32_e32 v0, 31, v13
	v_lshrrev_b32_e32 v0, 26, v0
	v_add_u32_e32 v0, v13, v0
	s_mov_b64 s[30:31], exec
	v_ashrrev_i32_e32 v4, 6, v0
.LBB6_990:                              ;   in Loop: Header=BB6_612 Depth=2
	s_or_b64 exec, exec, s[36:37]
	s_and_b64 s[28:29], s[30:31], exec
.LBB6_991:                              ;   in Loop: Header=BB6_612 Depth=2
	s_or_b64 exec, exec, s[34:35]
	s_and_saveexec_b64 s[30:31], s[28:29]
	s_cbranch_execz .LBB6_882
.LBB6_992:                              ;   in Loop: Header=BB6_612 Depth=2
	v_ashrrev_i32_e32 v0, 31, v29
	v_lshrrev_b32_e32 v0, 23, v0
	v_add_u32_e32 v0, v29, v0
	v_ashrrev_i32_e32 v15, 9, v0
	v_sub_u32_e32 v14, v15, v4
	v_cmp_lt_i32_e32 vcc, 0, v14
	s_and_saveexec_b64 s[34:35], vcc
	s_cbranch_execz .LBB6_1012
; %bb.993:                              ;   in Loop: Header=BB6_612 Depth=2
	v_ashrrev_i32_e32 v0, 31, v13
	v_lshrrev_b32_e32 v0, 26, v0
	v_add_u32_e32 v0, v13, v0
	v_and_b32_e32 v0, 0x7fffffc0, v0
	v_sub_u32_e32 v0, v13, v0
	v_lshlrev_b32_e32 v0, 1, v0
	s_trap 2
	ds_read_b128 v[8:11], v0
	v_lshlrev_b32_e32 v4, 9, v4
	v_add3_u32 v0, v0, v12, v4
	ds_read_b64 v[16:17], v0
	v_ashrrev_i32_e32 v18, 31, v0
	s_waitcnt lgkmcnt(0)
	v_add_co_u32_e32 v4, vcc, v8, v0
	v_addc_co_u32_e32 v5, vcc, v9, v18, vcc
	v_add_co_u32_e32 v8, vcc, v10, v0
	v_addc_co_u32_e32 v9, vcc, v11, v18, vcc
	v_add_co_u32_e32 v10, vcc, v16, v0
	s_and_b32 s46, s91, 1
	v_addc_co_u32_e32 v11, vcc, v17, v18, vcc
	s_cmp_eq_u64 s[46:47], 0
	s_mov_b64 s[36:37], 0
	s_cselect_b64 vcc, -1, 0
	s_branch .LBB6_995
.LBB6_994:                              ;   in Loop: Header=BB6_995 Depth=3
	s_or_b64 exec, exec, s[38:39]
	v_add_co_u32_e64 v4, s[28:29], v4, v27
	v_addc_co_u32_e64 v5, s[28:29], v5, v42, s[28:29]
	v_add_co_u32_e64 v8, s[28:29], v8, v27
	v_addc_co_u32_e64 v9, s[28:29], v9, v42, s[28:29]
	v_sub_u32_e32 v14, v14, v54
	v_cmp_gt_i32_e64 s[28:29], 1, v14
	flat_store_short_d16_hi v[10:11], v16 glc slc
	flat_store_short_d16_hi v[10:11], v19 offset:128 glc slc
	flat_store_short_d16_hi v[10:11], v20 offset:256 glc slc
	;; [unrolled: 1-line block ×3, first 2 shown]
	s_or_b64 s[36:37], s[28:29], s[36:37]
	v_add_co_u32_e64 v10, s[28:29], v10, v27
	v_addc_co_u32_e64 v11, s[28:29], v11, v42, s[28:29]
	s_andn2_b64 exec, exec, s[36:37]
	s_cbranch_execz .LBB6_1011
.LBB6_995:                              ;   Parent Loop BB6_47 Depth=1
                                        ;     Parent Loop BB6_612 Depth=2
                                        ; =>    This Inner Loop Header: Depth=3
	flat_load_ushort v20, v[4:5] offset:256 glc slc
	flat_load_ushort v17, v[4:5] offset:384 glc slc
	;; [unrolled: 1-line block ×4, first 2 shown]
	flat_load_ushort v0, v[4:5] glc slc
	flat_load_ushort v16, v[8:9] glc slc
	flat_load_ushort v19, v[4:5] offset:128 glc slc
	flat_load_ushort v22, v[8:9] offset:128 glc slc
	s_waitcnt vmcnt(0) lgkmcnt(0)
	v_lshlrev_b32_e32 v0, 16, v0
	v_lshlrev_b32_e32 v16, 16, v16
	v_max_f32_e32 v16, v16, v16
	v_max_f32_e32 v0, v0, v0
	v_min_f32_e32 v23, v0, v16
	v_max_f32_e32 v0, v0, v16
	v_cndmask_b32_e32 v23, v0, v23, vcc
	v_and_b32_e32 v0, 0x7f800000, v23
	v_cmp_ne_u32_e64 s[28:29], s87, v0
                                        ; implicit-def: $vgpr16
	s_and_saveexec_b64 s[38:39], s[28:29]
	s_xor_b64 s[28:29], exec, s[38:39]
; %bb.996:                              ;   in Loop: Header=BB6_995 Depth=3
	v_bfe_u32 v0, v23, 16, 1
	v_add3_u32 v16, v23, v0, s88
                                        ; implicit-def: $vgpr23
; %bb.997:                              ;   in Loop: Header=BB6_995 Depth=3
	s_andn2_saveexec_b64 s[38:39], s[28:29]
; %bb.998:                              ;   in Loop: Header=BB6_995 Depth=3
	v_or_b32_e32 v0, 0x10000, v23
	v_cmp_eq_u32_sdwa s[28:29], v23, v52 src0_sel:WORD_0 src1_sel:DWORD
	v_cndmask_b32_e64 v16, v0, v23, s[28:29]
; %bb.999:                              ;   in Loop: Header=BB6_995 Depth=3
	s_or_b64 exec, exec, s[38:39]
	v_lshlrev_b32_e32 v0, 16, v19
	v_lshlrev_b32_e32 v19, 16, v22
	v_max_f32_e32 v19, v19, v19
	v_max_f32_e32 v0, v0, v0
	v_min_f32_e32 v22, v0, v19
	v_max_f32_e32 v0, v0, v19
	v_cndmask_b32_e32 v22, v0, v22, vcc
	v_and_b32_e32 v0, 0x7f800000, v22
	v_cmp_ne_u32_e64 s[28:29], s87, v0
                                        ; implicit-def: $vgpr19
	s_and_saveexec_b64 s[38:39], s[28:29]
	s_xor_b64 s[28:29], exec, s[38:39]
; %bb.1000:                             ;   in Loop: Header=BB6_995 Depth=3
	v_bfe_u32 v0, v22, 16, 1
	v_add3_u32 v19, v22, v0, s88
                                        ; implicit-def: $vgpr22
; %bb.1001:                             ;   in Loop: Header=BB6_995 Depth=3
	s_andn2_saveexec_b64 s[38:39], s[28:29]
; %bb.1002:                             ;   in Loop: Header=BB6_995 Depth=3
	v_or_b32_e32 v0, 0x10000, v22
	v_cmp_eq_u32_sdwa s[28:29], v22, v52 src0_sel:WORD_0 src1_sel:DWORD
	v_cndmask_b32_e64 v19, v0, v22, s[28:29]
; %bb.1003:                             ;   in Loop: Header=BB6_995 Depth=3
	s_or_b64 exec, exec, s[38:39]
	v_lshlrev_b32_e32 v0, 16, v20
	v_lshlrev_b32_e32 v20, 16, v21
	v_max_f32_e32 v20, v20, v20
	v_max_f32_e32 v0, v0, v0
	v_min_f32_e32 v21, v0, v20
	v_max_f32_e32 v0, v0, v20
	v_cndmask_b32_e32 v21, v0, v21, vcc
	v_and_b32_e32 v0, 0x7f800000, v21
	v_cmp_ne_u32_e64 s[28:29], s87, v0
                                        ; implicit-def: $vgpr20
	s_and_saveexec_b64 s[38:39], s[28:29]
	s_xor_b64 s[28:29], exec, s[38:39]
; %bb.1004:                             ;   in Loop: Header=BB6_995 Depth=3
	v_bfe_u32 v0, v21, 16, 1
	v_add3_u32 v20, v21, v0, s88
                                        ; implicit-def: $vgpr21
; %bb.1005:                             ;   in Loop: Header=BB6_995 Depth=3
	s_andn2_saveexec_b64 s[38:39], s[28:29]
; %bb.1006:                             ;   in Loop: Header=BB6_995 Depth=3
	v_or_b32_e32 v0, 0x10000, v21
	v_cmp_eq_u32_sdwa s[28:29], v21, v52 src0_sel:WORD_0 src1_sel:DWORD
	v_cndmask_b32_e64 v20, v0, v21, s[28:29]
; %bb.1007:                             ;   in Loop: Header=BB6_995 Depth=3
	s_or_b64 exec, exec, s[38:39]
	v_lshlrev_b32_e32 v0, 16, v17
	v_lshlrev_b32_e32 v17, 16, v18
	v_max_f32_e32 v17, v17, v17
	v_max_f32_e32 v0, v0, v0
	v_min_f32_e32 v18, v0, v17
	v_max_f32_e32 v0, v0, v17
	v_cndmask_b32_e32 v18, v0, v18, vcc
	v_and_b32_e32 v0, 0x7f800000, v18
	v_cmp_ne_u32_e64 s[28:29], s87, v0
                                        ; implicit-def: $vgpr17
	s_and_saveexec_b64 s[38:39], s[28:29]
	s_xor_b64 s[28:29], exec, s[38:39]
; %bb.1008:                             ;   in Loop: Header=BB6_995 Depth=3
	v_bfe_u32 v0, v18, 16, 1
	v_add3_u32 v17, v18, v0, s88
                                        ; implicit-def: $vgpr18
; %bb.1009:                             ;   in Loop: Header=BB6_995 Depth=3
	s_andn2_saveexec_b64 s[38:39], s[28:29]
	s_cbranch_execz .LBB6_994
; %bb.1010:                             ;   in Loop: Header=BB6_995 Depth=3
	v_or_b32_e32 v0, 0x10000, v18
	v_cmp_eq_u32_sdwa s[28:29], v18, v52 src0_sel:WORD_0 src1_sel:DWORD
	v_cndmask_b32_e64 v17, v0, v18, s[28:29]
	s_branch .LBB6_994
.LBB6_1011:                             ;   in Loop: Header=BB6_612 Depth=2
	s_or_b64 exec, exec, s[36:37]
.LBB6_1012:                             ;   in Loop: Header=BB6_612 Depth=2
	s_or_b64 exec, exec, s[34:35]
	v_lshlrev_b32_e32 v0, 9, v15
	v_cmp_ne_u32_e32 vcc, v29, v0
	s_and_saveexec_b64 s[34:35], vcc
	s_cbranch_execz .LBB6_1020
; %bb.1013:                             ;   in Loop: Header=BB6_612 Depth=2
	v_ashrrev_i32_e32 v4, 31, v13
	v_lshrrev_b32_e32 v4, 26, v4
	v_add_u32_e32 v4, v13, v4
	v_and_b32_e32 v4, 0xffffffc0, v4
	v_sub_u32_e32 v4, v13, v4
	v_lshlrev_b32_e32 v5, 6, v14
	v_sub_u32_e32 v4, v4, v5
	v_ashrrev_i32_e32 v5, 31, v4
	v_lshrrev_b32_e32 v5, 26, v5
	v_add_u32_e32 v5, v4, v5
	v_and_b32_e32 v8, 0x7fffffc0, v5
	v_sub_u32_e32 v4, v4, v8
	v_lshlrev_b32_e32 v5, 1, v5
	v_and_b32_e32 v5, 0xffffff80, v5
	v_lshlrev_b32_e32 v4, 1, v4
	v_add3_u32 v0, v5, v4, v0
	v_sub_u32_e32 v13, v29, v0
	v_cmp_lt_i32_e32 vcc, 1, v13
	s_and_b64 exec, exec, vcc
	s_cbranch_execz .LBB6_1020
; %bb.1014:                             ;   in Loop: Header=BB6_612 Depth=2
	s_trap 2
	ds_read_b128 v[8:11], v0
	v_add_u32_e32 v0, v0, v12
	ds_read_b64 v[14:15], v0
	v_ashrrev_i32_e32 v12, 31, v0
	s_and_b32 s46, s91, 1
	s_waitcnt lgkmcnt(0)
	v_add_co_u32_e32 v4, vcc, v8, v0
	v_addc_co_u32_e32 v5, vcc, v9, v12, vcc
	v_add_co_u32_e32 v8, vcc, v10, v0
	v_addc_co_u32_e32 v9, vcc, v11, v12, vcc
	;; [unrolled: 2-line block ×3, first 2 shown]
	s_cmp_eq_u64 s[46:47], 0
	s_mov_b64 s[36:37], 0
	s_cselect_b64 vcc, -1, 0
	s_branch .LBB6_1016
.LBB6_1015:                             ;   in Loop: Header=BB6_1016 Depth=3
	s_or_b64 exec, exec, s[38:39]
	v_add_co_u32_e64 v4, s[28:29], v4, v59
	v_addc_co_u32_e64 v5, s[28:29], v5, v26, s[28:29]
	v_add_co_u32_e64 v8, s[28:29], v8, v59
	v_addc_co_u32_e64 v9, s[28:29], v9, v26, s[28:29]
	v_sub_u32_e32 v13, v13, v47
	v_cmp_gt_i32_e64 s[28:29], 2, v13
	flat_store_short_d16_hi v[10:11], v0 glc slc
	s_or_b64 s[36:37], s[28:29], s[36:37]
	v_add_co_u32_e64 v10, s[28:29], v10, v59
	v_addc_co_u32_e64 v11, s[28:29], v11, v26, s[28:29]
	s_andn2_b64 exec, exec, s[36:37]
	s_cbranch_execz .LBB6_1020
.LBB6_1016:                             ;   Parent Loop BB6_47 Depth=1
                                        ;     Parent Loop BB6_612 Depth=2
                                        ; =>    This Inner Loop Header: Depth=3
	flat_load_ushort v0, v[4:5] glc slc
	flat_load_ushort v12, v[8:9] glc slc
	s_waitcnt vmcnt(0) lgkmcnt(0)
	v_lshlrev_b32_e32 v0, 16, v0
	v_lshlrev_b32_e32 v12, 16, v12
	v_max_f32_e32 v12, v12, v12
	v_max_f32_e32 v0, v0, v0
	v_min_f32_e32 v14, v0, v12
	v_max_f32_e32 v0, v0, v12
	v_cndmask_b32_e32 v12, v0, v14, vcc
	v_and_b32_e32 v0, 0x7f800000, v12
	v_cmp_ne_u32_e64 s[28:29], s87, v0
                                        ; implicit-def: $vgpr0
	s_and_saveexec_b64 s[38:39], s[28:29]
	s_xor_b64 s[28:29], exec, s[38:39]
; %bb.1017:                             ;   in Loop: Header=BB6_1016 Depth=3
	v_bfe_u32 v0, v12, 16, 1
	v_add3_u32 v0, v12, v0, s88
                                        ; implicit-def: $vgpr12
; %bb.1018:                             ;   in Loop: Header=BB6_1016 Depth=3
	s_andn2_saveexec_b64 s[38:39], s[28:29]
	s_cbranch_execz .LBB6_1015
; %bb.1019:                             ;   in Loop: Header=BB6_1016 Depth=3
	v_or_b32_e32 v0, 0x10000, v12
	v_cmp_eq_u32_sdwa s[28:29], v12, v52 src0_sel:WORD_0 src1_sel:DWORD
	v_cndmask_b32_e64 v0, v0, v12, s[28:29]
	s_branch .LBB6_1015
.LBB6_1020:                             ;   in Loop: Header=BB6_612 Depth=2
	s_or_b64 exec, exec, s[34:35]
	s_or_b64 exec, exec, s[30:31]
	s_and_saveexec_b64 s[28:29], s[10:11]
	s_cbranch_execnz .LBB6_688
	s_branch .LBB6_774
.LBB6_1021:                             ;   in Loop: Header=BB6_47 Depth=1
	s_or_b64 exec, exec, s[56:57]
	v_cmp_gt_i32_e32 vcc, 2, v3
	s_and_saveexec_b64 s[30:31], vcc
	s_cbranch_execz .LBB6_1097
.LBB6_1022:                             ;   in Loop: Header=BB6_47 Depth=1
	v_cmp_eq_u32_e64 s[28:29], 0, v3
	s_mov_b64 s[34:35], 0
	s_branch .LBB6_1024
.LBB6_1023:                             ;   in Loop: Header=BB6_1024 Depth=2
	s_or_b64 exec, exec, s[28:29]
	v_add_u32_e32 v28, v2, v28
	s_mov_b64 s[28:29], 0
	s_andn2_b64 exec, exec, s[34:35]
	s_cbranch_execz .LBB6_1098
.LBB6_1024:                             ;   Parent Loop BB6_47 Depth=1
                                        ; =>  This Loop Header: Depth=2
                                        ;       Child Loop BB6_1030 Depth 3
                                        ;       Child Loop BB6_1062 Depth 3
	;; [unrolled: 1-line block ×3, first 2 shown]
	v_and_b32_e32 v0, 12, v62
	s_mov_b64 s[38:39], -1
	v_cmp_ne_u32_e32 vcc, 0, v0
	s_and_saveexec_b64 s[36:37], vcc
	s_cbranch_execz .LBB6_1036
; %bb.1025:                             ;   in Loop: Header=BB6_1024 Depth=2
	v_and_b32_e32 v4, 8, v62
	v_add_co_u32_e32 v10, vcc, v50, v4
	v_addc_co_u32_e32 v11, vcc, 0, v51, vcc
	v_add_co_u32_e32 v8, vcc, 2, v32
	v_addc_co_u32_e32 v9, vcc, 0, v33, vcc
	v_cmp_lt_u64_e32 vcc, v[10:11], v[8:9]
	v_mov_b32_e32 v0, 1
	s_and_saveexec_b64 s[38:39], vcc
	s_cbranch_execz .LBB6_1035
; %bb.1026:                             ;   in Loop: Header=BB6_1024 Depth=2
	s_mov_b64 s[56:57], 0
	v_mov_b32_e32 v3, 0
                                        ; implicit-def: $sgpr58_sgpr59
	s_branch .LBB6_1030
.LBB6_1027:                             ;   in Loop: Header=BB6_1030 Depth=3
	s_or_b64 exec, exec, s[66:67]
	v_mov_b32_e32 v0, 0
	s_orn2_b64 s[64:65], s[64:65], exec
.LBB6_1028:                             ;   in Loop: Header=BB6_1030 Depth=3
	s_or_b64 exec, exec, s[62:63]
	s_andn2_b64 vcc, s[58:59], exec
	s_and_b64 s[58:59], s[64:65], exec
	s_or_b64 s[58:59], vcc, s[58:59]
	v_mov_b32_e32 v3, v0
.LBB6_1029:                             ;   in Loop: Header=BB6_1030 Depth=3
	s_or_b64 exec, exec, s[60:61]
	s_waitcnt vmcnt(0) lgkmcnt(0)
	v_add_co_u32_e32 v10, vcc, v50, v4
	v_addc_co_u32_e32 v11, vcc, 0, v51, vcc
	v_cmp_ge_u64_e32 vcc, v[10:11], v[8:9]
	s_xor_b64 s[60:61], s[58:59], -1
	s_or_b64 vcc, s[60:61], vcc
	s_and_b64 vcc, exec, vcc
	s_or_b64 s[56:57], vcc, s[56:57]
	s_andn2_b64 exec, exec, s[56:57]
	s_cbranch_execz .LBB6_1034
.LBB6_1030:                             ;   Parent Loop BB6_47 Depth=1
                                        ;     Parent Loop BB6_1024 Depth=2
                                        ; =>    This Inner Loop Header: Depth=3
	s_sleep 1
	flat_load_dwordx2 v[50:51], v[34:35] glc
	v_and_b32_e32 v0, 64, v62
	v_cmp_eq_u32_e32 vcc, 0, v0
	s_andn2_b64 s[58:59], s[58:59], exec
	s_and_saveexec_b64 s[60:61], vcc
	s_cbranch_execz .LBB6_1029
; %bb.1031:                             ;   in Loop: Header=BB6_1030 Depth=3
	v_add_u32_e32 v0, 1, v3
	v_cmp_lt_i32_e32 vcc, s85, v3
	s_mov_b64 s[64:65], -1
	s_and_saveexec_b64 s[62:63], vcc
	s_cbranch_execz .LBB6_1028
; %bb.1032:                             ;   in Loop: Header=BB6_1030 Depth=3
	s_trap 2
	ds_read_b64 v[10:11], v0
	s_waitcnt vmcnt(0) lgkmcnt(0)
	flat_load_dword v0, v[10:11] glc
	s_waitcnt vmcnt(0) lgkmcnt(0)
	buffer_invl2
	buffer_wbinvl1_vol
	v_cmp_ne_u32_e32 vcc, 0, v0
	s_and_saveexec_b64 s[66:67], vcc
	s_cbranch_execz .LBB6_1027
; %bb.1033:                             ;   in Loop: Header=BB6_1030 Depth=3
	v_or_b32_e32 v62, 64, v62
	s_xor_b64 s[64:65], exec, -1
	ds_write_b32 v0, v0
	s_trap 2
	s_branch .LBB6_1027
.LBB6_1034:                             ;   in Loop: Header=BB6_1024 Depth=2
	s_or_b64 exec, exec, s[56:57]
	v_and_b32_e32 v0, 12, v62
.LBB6_1035:                             ;   in Loop: Header=BB6_1024 Depth=2
	s_or_b64 exec, exec, s[38:39]
	v_cmp_eq_u32_e32 vcc, 0, v0
	s_orn2_b64 s[38:39], vcc, exec
	;;#ASMSTART
	s_wakeup
	;;#ASMEND
.LBB6_1036:                             ;   in Loop: Header=BB6_1024 Depth=2
	s_or_b64 exec, exec, s[36:37]
	s_xor_b64 s[28:29], s[28:29], -1
	s_and_b64 s[28:29], exec, s[28:29]
	s_or_b64 s[34:35], s[28:29], s[34:35]
	v_sub_u32_e32 v0, v43, v28
	s_xor_b64 s[28:29], s[38:39], -1
	v_min_i32_e32 v2, v2, v0
	s_and_saveexec_b64 s[36:37], s[28:29]
	s_cbranch_execz .LBB6_1054
; %bb.1037:                             ;   in Loop: Header=BB6_1024 Depth=2
	v_and_b32_e32 v0, 0x108, v62
	v_cmp_ne_u32_e32 vcc, s86, v0
	v_and_b32_e32 v4, 7, v32
	s_and_saveexec_b64 s[28:29], vcc
	s_xor_b64 s[28:29], exec, s[28:29]
                                        ; implicit-def: $vgpr8_vgpr9
; %bb.1038:                             ;   in Loop: Header=BB6_1024 Depth=2
	v_mov_b32_e32 v9, v52
; %bb.1039:                             ;   in Loop: Header=BB6_1024 Depth=2
	s_andn2_saveexec_b64 s[28:29], s[28:29]
	s_cbranch_execz .LBB6_1041
; %bb.1040:                             ;   in Loop: Header=BB6_1024 Depth=2
	v_ashrrev_i32_e32 v3, 31, v2
	v_mov_b32_e32 v9, v52
	v_mad_u64_u32 v[10:11], vcc, v4, 24, v[6:7]
	v_lshlrev_b64 v[12:13], 1, v[2:3]
	flat_store_dwordx2 v[10:11], v[12:13] offset:8
.LBB6_1041:                             ;   in Loop: Header=BB6_1024 Depth=2
	s_or_b64 exec, exec, s[28:29]
	v_and_b32_e32 v0, 0x100, v62
	v_cmp_ne_u32_e32 vcc, 0, v0
	s_mov_b64 s[28:29], -1
                                        ; implicit-def: $vgpr10_vgpr11
	s_and_saveexec_b64 s[38:39], vcc
	s_cbranch_execz .LBB6_1045
; %bb.1042:                             ;   in Loop: Header=BB6_1024 Depth=2
	v_mad_u64_u32 v[12:13], s[28:29], v4, 24, v[6:7]
	v_mov_b32_e32 v0, v13
	v_mad_u64_u32 v[10:11], s[28:29], v9, 24, v[0:1]
	v_mov_b32_e32 v13, v10
	flat_load_dword v0, v[12:13]
                                        ; implicit-def: $vgpr10_vgpr11
	s_waitcnt vmcnt(0) lgkmcnt(0)
	v_cmp_ne_u32_e32 vcc, 1, v0
	v_cmp_eq_u32_e64 s[28:29], 1, v0
	s_and_saveexec_b64 s[56:57], s[28:29]
	s_cbranch_execz .LBB6_1044
; %bb.1043:                             ;   in Loop: Header=BB6_1024 Depth=2
	flat_load_dword v10, v[12:13] offset:4 glc
	s_waitcnt vmcnt(0) lgkmcnt(0)
	v_ashrrev_i32_e32 v11, 31, v10
	v_lshrrev_b64 v[10:11], 1, v[10:11]
.LBB6_1044:                             ;   in Loop: Header=BB6_1024 Depth=2
	s_or_b64 exec, exec, s[56:57]
	s_orn2_b64 s[28:29], vcc, exec
.LBB6_1045:                             ;   in Loop: Header=BB6_1024 Depth=2
	s_or_b64 exec, exec, s[38:39]
	s_and_saveexec_b64 vcc, s[28:29]
; %bb.1046:                             ;   in Loop: Header=BB6_1024 Depth=2
	v_mul_lo_u32 v0, v9, v30
	v_mul_lo_u32 v3, v4, v41
	v_mad_u64_u32 v[10:11], s[28:29], v4, v30, 0
	v_add3_u32 v11, v11, v3, v0
; %bb.1047:                             ;   in Loop: Header=BB6_1024 Depth=2
	s_or_b64 exec, exec, vcc
	v_lshlrev_b64 v[4:5], 1, v[10:11]
	v_add_co_u32_e32 v4, vcc, v36, v4
	v_addc_co_u32_e32 v5, vcc, v37, v5, vcc
	s_trap 2
	ds_write_b64 v0, v[4:5]
	v_and_b32_e32 v0, 0x2000, v62
	v_cmp_ne_u32_e32 vcc, 0, v0
	s_and_saveexec_b64 s[28:29], vcc
	s_cbranch_execz .LBB6_1049
; %bb.1048:                             ;   in Loop: Header=BB6_1024 Depth=2
	ds_read_b64 v[4:5], v0 offset:584
	s_waitcnt lgkmcnt(0)
	v_add_co_u32_e32 v4, vcc, 1, v4
	v_addc_co_u32_e32 v5, vcc, 0, v5, vcc
	ds_write_b64 v0, v[4:5] offset:584
.LBB6_1049:                             ;   in Loop: Header=BB6_1024 Depth=2
	s_or_b64 exec, exec, s[28:29]
	v_add_co_u32_e32 v32, vcc, 2, v32
	v_addc_co_u32_e32 v33, vcc, 0, v33, vcc
	s_or_b64 exec, exec, s[36:37]
	s_and_saveexec_b64 s[28:29], s[10:11]
	s_cbranch_execnz .LBB6_1055
.LBB6_1050:                             ;   in Loop: Header=BB6_1024 Depth=2
	s_or_b64 exec, exec, s[28:29]
                                        ; implicit-def: $vgpr3
	s_and_saveexec_b64 s[28:29], s[24:25]
	s_xor_b64 s[28:29], exec, s[28:29]
	s_cbranch_execz .LBB6_1073
.LBB6_1051:                             ;   in Loop: Header=BB6_1024 Depth=2
	s_trap 2
	ds_read_b32 v0, v0
	v_cmp_lt_i32_e32 vcc, 0, v2
	v_and_b32_e32 v4, 16, v62
	v_and_b32_e32 v3, 16, v62
	s_waitcnt lgkmcnt(0)
	v_readfirstlane_b32 s36, v0
	s_cmp_eq_u32 s36, 0
	s_cselect_b64 s[36:37], -1, 0
	s_and_b64 s[36:37], vcc, s[36:37]
	v_cmp_ne_u32_e32 vcc, 0, v4
	s_and_b64 s[36:37], vcc, s[36:37]
	s_and_saveexec_b64 vcc, s[36:37]
	s_cbranch_execz .LBB6_1053
; %bb.1052:                             ;   in Loop: Header=BB6_1024 Depth=2
	v_mov_b32_e32 v3, 1
	s_waitcnt vmcnt(0)
	buffer_wbinvl1_vol
.LBB6_1053:                             ;   in Loop: Header=BB6_1024 Depth=2
	s_or_b64 exec, exec, vcc
	s_andn2_saveexec_b64 s[28:29], s[28:29]
	s_cbranch_execz .LBB6_1092
	s_branch .LBB6_1074
.LBB6_1054:                             ;   in Loop: Header=BB6_1024 Depth=2
	s_or_b64 exec, exec, s[36:37]
	s_and_saveexec_b64 s[28:29], s[10:11]
	s_cbranch_execz .LBB6_1050
.LBB6_1055:                             ;   in Loop: Header=BB6_1024 Depth=2
	s_and_saveexec_b64 vcc, s[48:49]
	s_xor_b64 s[36:37], exec, vcc
	s_cbranch_execz .LBB6_1070
; %bb.1056:                             ;   in Loop: Header=BB6_1024 Depth=2
	s_and_saveexec_b64 s[38:39], s[16:17]
	s_cbranch_execz .LBB6_1069
; %bb.1057:                             ;   in Loop: Header=BB6_1024 Depth=2
	s_mov_b64 s[58:59], exec
	v_mbcnt_lo_u32_b32 v0, s58, 0
	v_mbcnt_hi_u32_b32 v0, s59, v0
	v_cmp_eq_u32_e32 vcc, 0, v0
	s_waitcnt vmcnt(0) lgkmcnt(0)
	buffer_wbinvl1_vol
	s_and_saveexec_b64 s[56:57], vcc
	s_cbranch_execz .LBB6_1059
; %bb.1058:                             ;   in Loop: Header=BB6_1024 Depth=2
	s_bcnt1_i32_b64 vcc_lo, s[58:59]
	v_mov_b32_e32 v4, vcc_lo
	v_mov_b32_e32 v5, v52
	ds_add_u64 v0, v[4:5]
	s_trap 2
.LBB6_1059:                             ;   in Loop: Header=BB6_1024 Depth=2
	s_or_b64 exec, exec, s[56:57]
	s_trap 2
	ds_read_b64 v[4:5], v0
	v_add_co_u32_e32 v48, vcc, v48, v54
	v_addc_co_u32_e32 v49, vcc, 0, v49, vcc
	s_waitcnt lgkmcnt(0)
	v_cmp_lt_u64_e32 vcc, v[4:5], v[48:49]
	s_and_saveexec_b64 s[56:57], vcc
	s_cbranch_execz .LBB6_1068
; %bb.1060:                             ;   in Loop: Header=BB6_1024 Depth=2
	s_mov_b32 s46, 0
	s_mov_b64 s[58:59], 0
                                        ; implicit-def: $sgpr60_sgpr61
                                        ; implicit-def: $sgpr62_sgpr63
	s_branch .LBB6_1062
.LBB6_1061:                             ;   in Loop: Header=BB6_1062 Depth=3
	s_or_b64 exec, exec, s[66:67]
	s_and_b64 vcc, exec, vcc
	s_or_b64 s[58:59], vcc, s[58:59]
	s_andn2_b64 vcc, s[60:61], exec
	s_and_b64 s[60:61], s[62:63], exec
	s_or_b64 s[60:61], vcc, s[60:61]
	s_andn2_b64 exec, exec, s[58:59]
	s_cbranch_execz .LBB6_1066
.LBB6_1062:                             ;   Parent Loop BB6_47 Depth=1
                                        ;     Parent Loop BB6_1024 Depth=2
                                        ; =>    This Inner Loop Header: Depth=3
	s_add_i32 s46, s46, 1
	s_cmpk_lg_i32 s46, 0x2710
	s_cselect_b64 s[64:65], -1, 0
	s_and_b64 vcc, exec, s[64:65]
                                        ; implicit-def: $sgpr66_sgpr67
	s_cbranch_vccnz .LBB6_1064
; %bb.1063:                             ;   in Loop: Header=BB6_1062 Depth=3
	s_trap 2
	ds_read_b64 v[4:5], v0
	s_andn2_b64 s[64:65], s[64:65], exec
	s_mov_b32 s46, 0
	s_mov_b64 s[66:67], -1
	s_waitcnt lgkmcnt(0)
	flat_load_dword v0, v[4:5] glc
	s_waitcnt vmcnt(0) lgkmcnt(0)
	buffer_invl2
	buffer_wbinvl1_vol
	v_cmp_eq_u32_e32 vcc, 0, v0
	s_and_b64 vcc, vcc, exec
	s_or_b64 s[64:65], s[64:65], vcc
.LBB6_1064:                             ;   in Loop: Header=BB6_1062 Depth=3
	s_andn2_b64 s[62:63], s[62:63], exec
	s_and_b64 s[66:67], s[66:67], exec
	s_mov_b64 vcc, -1
	s_or_b64 s[62:63], s[62:63], s[66:67]
	s_and_saveexec_b64 s[66:67], s[64:65]
	s_cbranch_execz .LBB6_1061
; %bb.1065:                             ;   in Loop: Header=BB6_1062 Depth=3
	s_sleep 1
	s_trap 2
	ds_read_b64 v[4:5], v0
	s_andn2_b64 s[62:63], s[62:63], exec
	s_waitcnt lgkmcnt(0)
	v_cmp_ge_u64_e32 vcc, v[4:5], v[48:49]
	s_orn2_b64 vcc, vcc, exec
	s_branch .LBB6_1061
.LBB6_1066:                             ;   in Loop: Header=BB6_1024 Depth=2
	s_or_b64 exec, exec, s[58:59]
	s_and_saveexec_b64 vcc, s[60:61]
	s_xor_b64 vcc, exec, vcc
	s_cbranch_execz .LBB6_1068
; %bb.1067:                             ;   in Loop: Header=BB6_1024 Depth=2
	ds_write_b32 v0, v40
	s_trap 2
.LBB6_1068:                             ;   in Loop: Header=BB6_1024 Depth=2
	s_or_b64 exec, exec, s[56:57]
	;;#ASMSTART
	s_wakeup
	;;#ASMEND
.LBB6_1069:                             ;   in Loop: Header=BB6_1024 Depth=2
	s_or_b64 exec, exec, s[38:39]
.LBB6_1070:                             ;   in Loop: Header=BB6_1024 Depth=2
	s_andn2_saveexec_b64 vcc, s[36:37]
	s_cbranch_execz .LBB6_1072
; %bb.1071:                             ;   in Loop: Header=BB6_1024 Depth=2
	s_waitcnt vmcnt(0) lgkmcnt(0)
	buffer_wbinvl1_vol
	s_barrier
.LBB6_1072:                             ;   in Loop: Header=BB6_1024 Depth=2
	s_or_b64 exec, exec, vcc
	s_or_b64 exec, exec, s[28:29]
                                        ; implicit-def: $vgpr3
	s_and_saveexec_b64 s[28:29], s[24:25]
	s_xor_b64 s[28:29], exec, s[28:29]
	s_cbranch_execnz .LBB6_1051
.LBB6_1073:                             ;   in Loop: Header=BB6_1024 Depth=2
	s_andn2_saveexec_b64 s[28:29], s[28:29]
	s_cbranch_execz .LBB6_1092
.LBB6_1074:                             ;   in Loop: Header=BB6_1024 Depth=2
	s_and_saveexec_b64 vcc, s[48:49]
	s_xor_b64 s[36:37], exec, vcc
	s_cbranch_execz .LBB6_1089
; %bb.1075:                             ;   in Loop: Header=BB6_1024 Depth=2
	s_and_saveexec_b64 s[38:39], s[16:17]
	s_cbranch_execz .LBB6_1088
; %bb.1076:                             ;   in Loop: Header=BB6_1024 Depth=2
	s_mov_b64 s[58:59], exec
	v_mbcnt_lo_u32_b32 v0, s58, 0
	v_mbcnt_hi_u32_b32 v0, s59, v0
	v_cmp_eq_u32_e32 vcc, 0, v0
	;;#ASMSTART
	s_waitcnt lgkmcnt(0) vmcnt(0)
	;;#ASMEND
	s_and_saveexec_b64 s[56:57], vcc
	s_cbranch_execz .LBB6_1078
; %bb.1077:                             ;   in Loop: Header=BB6_1024 Depth=2
	s_bcnt1_i32_b64 vcc_lo, s[58:59]
	v_mov_b32_e32 v4, vcc_lo
	v_mov_b32_e32 v5, v52
	ds_add_u64 v0, v[4:5]
	s_trap 2
.LBB6_1078:                             ;   in Loop: Header=BB6_1024 Depth=2
	s_or_b64 exec, exec, s[56:57]
	s_trap 2
	ds_read_b64 v[4:5], v0
	v_add_co_u32_e32 v48, vcc, v48, v54
	v_addc_co_u32_e32 v49, vcc, 0, v49, vcc
	s_waitcnt lgkmcnt(0)
	v_cmp_lt_u64_e32 vcc, v[4:5], v[48:49]
	s_and_saveexec_b64 s[56:57], vcc
	s_cbranch_execz .LBB6_1087
; %bb.1079:                             ;   in Loop: Header=BB6_1024 Depth=2
	s_mov_b32 s46, 0
	s_mov_b64 s[58:59], 0
                                        ; implicit-def: $sgpr60_sgpr61
                                        ; implicit-def: $sgpr62_sgpr63
	s_branch .LBB6_1081
.LBB6_1080:                             ;   in Loop: Header=BB6_1081 Depth=3
	s_or_b64 exec, exec, s[66:67]
	s_and_b64 vcc, exec, vcc
	s_or_b64 s[58:59], vcc, s[58:59]
	s_andn2_b64 vcc, s[60:61], exec
	s_and_b64 s[60:61], s[62:63], exec
	s_or_b64 s[60:61], vcc, s[60:61]
	s_andn2_b64 exec, exec, s[58:59]
	s_cbranch_execz .LBB6_1085
.LBB6_1081:                             ;   Parent Loop BB6_47 Depth=1
                                        ;     Parent Loop BB6_1024 Depth=2
                                        ; =>    This Inner Loop Header: Depth=3
	s_add_i32 s46, s46, 1
	s_cmpk_lg_i32 s46, 0x2710
	s_cselect_b64 s[64:65], -1, 0
	s_and_b64 vcc, exec, s[64:65]
                                        ; implicit-def: $sgpr66_sgpr67
	s_cbranch_vccnz .LBB6_1083
; %bb.1082:                             ;   in Loop: Header=BB6_1081 Depth=3
	s_trap 2
	ds_read_b64 v[4:5], v0
	s_andn2_b64 s[64:65], s[64:65], exec
	s_mov_b32 s46, 0
	s_mov_b64 s[66:67], -1
	s_waitcnt vmcnt(0) lgkmcnt(0)
	flat_load_dword v0, v[4:5] glc
	s_waitcnt vmcnt(0) lgkmcnt(0)
	buffer_invl2
	buffer_wbinvl1_vol
	v_cmp_eq_u32_e32 vcc, 0, v0
	s_and_b64 vcc, vcc, exec
	s_or_b64 s[64:65], s[64:65], vcc
.LBB6_1083:                             ;   in Loop: Header=BB6_1081 Depth=3
	s_andn2_b64 s[62:63], s[62:63], exec
	s_and_b64 s[66:67], s[66:67], exec
	s_mov_b64 vcc, -1
	s_or_b64 s[62:63], s[62:63], s[66:67]
	s_and_saveexec_b64 s[66:67], s[64:65]
	s_cbranch_execz .LBB6_1080
; %bb.1084:                             ;   in Loop: Header=BB6_1081 Depth=3
	s_sleep 1
	s_trap 2
	ds_read_b64 v[4:5], v0
	s_andn2_b64 s[62:63], s[62:63], exec
	s_waitcnt lgkmcnt(0)
	v_cmp_ge_u64_e32 vcc, v[4:5], v[48:49]
	s_orn2_b64 vcc, vcc, exec
	s_branch .LBB6_1080
.LBB6_1085:                             ;   in Loop: Header=BB6_1024 Depth=2
	s_or_b64 exec, exec, s[58:59]
	s_and_saveexec_b64 vcc, s[60:61]
	s_xor_b64 vcc, exec, vcc
	s_cbranch_execz .LBB6_1087
; %bb.1086:                             ;   in Loop: Header=BB6_1024 Depth=2
	ds_write_b32 v0, v40
	s_trap 2
.LBB6_1087:                             ;   in Loop: Header=BB6_1024 Depth=2
	s_or_b64 exec, exec, s[56:57]
	;;#ASMSTART
	s_wakeup
	;;#ASMEND
.LBB6_1088:                             ;   in Loop: Header=BB6_1024 Depth=2
	s_or_b64 exec, exec, s[38:39]
.LBB6_1089:                             ;   in Loop: Header=BB6_1024 Depth=2
	s_andn2_saveexec_b64 vcc, s[36:37]
	s_cbranch_execz .LBB6_1091
; %bb.1090:                             ;   in Loop: Header=BB6_1024 Depth=2
	;;#ASMSTART
	s_waitcnt lgkmcnt(0) vmcnt(0)
	;;#ASMEND
	s_barrier
.LBB6_1091:                             ;   in Loop: Header=BB6_1024 Depth=2
	s_or_b64 exec, exec, vcc
	v_and_b32_e32 v3, 16, v62
.LBB6_1092:                             ;   in Loop: Header=BB6_1024 Depth=2
	s_or_b64 exec, exec, s[28:29]
	v_cmp_ne_u32_e32 vcc, 0, v3
	s_xor_b64 s[28:29], s[12:13], -1
	s_and_b64 vcc, vcc, s[28:29]
	s_and_saveexec_b64 s[28:29], vcc
	s_cbranch_execz .LBB6_1094
; %bb.1093:                             ;   in Loop: Header=BB6_1024 Depth=2
	flat_store_dword v[44:45], v40
.LBB6_1094:                             ;   in Loop: Header=BB6_1024 Depth=2
	s_or_b64 exec, exec, s[28:29]
	v_and_b32_e32 v0, 48, v62
	v_cmp_ne_u32_e32 vcc, 0, v0
	s_and_saveexec_b64 s[28:29], vcc
	s_cbranch_execz .LBB6_1023
; %bb.1095:                             ;   in Loop: Header=BB6_1024 Depth=2
	v_add_co_u32_e32 v32, vcc, 2, v32
	v_addc_co_u32_e32 v33, vcc, 0, v33, vcc
	flat_store_dwordx2 v[34:35], v[32:33]
	s_branch .LBB6_1023
.LBB6_1096:                             ;   in Loop: Header=BB6_47 Depth=1
	s_or_b64 exec, exec, s[58:59]
	s_or_b64 exec, exec, s[56:57]
	v_cmp_gt_i32_e32 vcc, 2, v3
	s_and_saveexec_b64 s[30:31], vcc
	s_cbranch_execnz .LBB6_1022
.LBB6_1097:                             ;   in Loop: Header=BB6_47 Depth=1
	s_or_b64 exec, exec, s[30:31]
	s_and_b64 vcc, exec, s[26:27]
	s_cbranch_vccz .LBB6_1099
	s_branch .LBB6_1359
.LBB6_1098:                             ;   in Loop: Header=BB6_47 Depth=1
	s_or_b64 exec, exec, s[34:35]
	s_or_b64 exec, exec, s[30:31]
	s_and_b64 vcc, exec, s[26:27]
	s_cbranch_vccnz .LBB6_1359
.LBB6_1099:                             ;   in Loop: Header=BB6_47 Depth=1
	v_accvgpr_read_b32 v28, a16
	s_mov_b32 s46, 1
.LBB6_1100:                             ;   Parent Loop BB6_47 Depth=1
                                        ; =>  This Loop Header: Depth=2
                                        ;       Child Loop BB6_1103 Depth 3
                                        ;         Child Loop BB6_1111 Depth 4
                                        ;         Child Loop BB6_1139 Depth 4
	;; [unrolled: 1-line block ×9, first 2 shown]
                                        ;           Child Loop BB6_1199 Depth 5
                                        ;         Child Loop BB6_1208 Depth 4
                                        ;         Child Loop BB6_1213 Depth 4
                                        ;           Child Loop BB6_1214 Depth 5
                                        ;         Child Loop BB6_1186 Depth 4
                                        ;         Child Loop BB6_1265 Depth 4
                                        ;       Child Loop BB6_1283 Depth 3
                                        ;         Child Loop BB6_1289 Depth 4
                                        ;         Child Loop BB6_1321 Depth 4
	;; [unrolled: 1-line block ×3, first 2 shown]
	s_sub_i32 s26, s78, s46
	s_cmp_le_i32 s72, s26
	s_cselect_b32 s27, s72, 0
	s_sub_i32 s26, s26, s27
	v_accvgpr_read_b32 v8, a26
	s_ashr_i32 s27, s26, 31
	v_accvgpr_read_b32 v9, a27
	v_mul_lo_u32 v0, v8, s27
	v_mul_lo_u32 v4, v9, s26
	v_mad_u64_u32 v[2:3], s[26:27], v8, s26, 0
	v_add3_u32 v3, v3, v0, v4
	v_accvgpr_read_b32 v4, a28
	v_accvgpr_read_b32 v5, a29
	v_sub_co_u32_e32 v4, vcc, v4, v2
	v_subb_co_u32_e32 v5, vcc, v5, v3, vcc
	v_cmp_lt_i64_e32 vcc, v[8:9], v[4:5]
	v_cndmask_b32_e32 v0, v4, v8, vcc
	v_max_i32_e32 v20, 0, v0
	v_add_u32_e32 v4, 31, v20
	v_lshrrev_b32_e32 v4, 1, v4
	v_and_b32_e32 v4, 0x3ffffff0, v4
	v_cmp_lt_i32_e32 vcc, 0, v0
	v_max_i32_e32 v14, s81, v4
	s_and_b64 s[26:27], s[54:55], vcc
	v_mov_b32_e32 v4, 0
	v_mov_b32_e32 v16, 0
	s_and_saveexec_b64 s[36:37], s[26:27]
	s_cbranch_execz .LBB6_1280
; %bb.1101:                             ;   in Loop: Header=BB6_1100 Depth=2
	v_accvgpr_read_b32 v4, a30
	v_accvgpr_read_b32 v5, a31
	v_add_co_u32_e32 v2, vcc, v2, v4
	v_addc_co_u32_e32 v3, vcc, v3, v5, vcc
	s_mov_b32 s68, 1
	s_mov_b64 s[56:57], -1
	s_mov_b64 s[38:39], 0
	v_mov_b32_e32 v16, 0
	v_lshlrev_b64 v[18:19], 1, v[2:3]
	s_branch .LBB6_1103
.LBB6_1102:                             ;   in Loop: Header=BB6_1103 Depth=3
	s_or_b64 exec, exec, s[26:27]
	v_add_u32_e32 v16, v14, v16
	v_cmp_ge_i32_e32 vcc, v16, v20
	s_xor_b64 s[26:27], s[56:57], -1
	s_or_b64 s[26:27], s[26:27], vcc
	s_and_b64 s[26:27], exec, s[26:27]
	s_or_b64 s[38:39], s[26:27], s[38:39]
	s_mov_b64 s[56:57], 0
	v_mov_b32_e32 v4, s68
	s_mov_b32 s68, 2
	s_andn2_b64 exec, exec, s[38:39]
	s_cbranch_execz .LBB6_1355
.LBB6_1103:                             ;   Parent Loop BB6_47 Depth=1
                                        ;     Parent Loop BB6_1100 Depth=2
                                        ; =>    This Loop Header: Depth=3
                                        ;         Child Loop BB6_1111 Depth 4
                                        ;         Child Loop BB6_1139 Depth 4
	;; [unrolled: 1-line block ×9, first 2 shown]
                                        ;           Child Loop BB6_1199 Depth 5
                                        ;         Child Loop BB6_1208 Depth 4
                                        ;         Child Loop BB6_1213 Depth 4
                                        ;           Child Loop BB6_1214 Depth 5
                                        ;         Child Loop BB6_1186 Depth 4
                                        ;         Child Loop BB6_1265 Depth 4
	s_and_saveexec_b64 s[26:27], s[4:5]
	s_cbranch_execz .LBB6_1105
; %bb.1104:                             ;   in Loop: Header=BB6_1103 Depth=3
	s_trap 2
	ds_read_b128 v[2:5], v0
	v_ashrrev_i32_e32 v17, 31, v16
	s_waitcnt lgkmcnt(0)
	v_add_co_u32_e32 v0, vcc, v2, v18
	v_addc_co_u32_e32 v9, vcc, v3, v19, vcc
	v_lshlrev_b64 v[2:3], 1, v[16:17]
	v_add_co_u32_e32 v8, vcc, v0, v2
	v_addc_co_u32_e32 v9, vcc, v9, v3, vcc
	ds_write_b64 v0, v[8:9]
	v_add_co_u32_e32 v0, vcc, v4, v18
	v_addc_co_u32_e32 v8, vcc, v5, v19, vcc
	v_add_co_u32_e32 v0, vcc, v0, v2
	v_addc_co_u32_e32 v2, vcc, v8, v3, vcc
	v_cmp_ne_u64_e32 vcc, 0, v[4:5]
	v_cndmask_b32_e32 v3, 0, v2, vcc
	v_cndmask_b32_e32 v2, 0, v0, vcc
	ds_write_b64 v0, v[2:3]
.LBB6_1105:                             ;   in Loop: Header=BB6_1103 Depth=3
	s_or_b64 exec, exec, s[26:27]
	v_and_b32_e32 v0, 12, v62
	v_cmp_ne_u32_e32 vcc, 0, v0
	s_mov_b64 s[28:29], -1
	s_and_saveexec_b64 s[26:27], vcc
	s_cbranch_execz .LBB6_1117
; %bb.1106:                             ;   in Loop: Header=BB6_1103 Depth=3
	v_and_b32_e32 v2, 8, v62
	v_add_co_u32_e32 v8, vcc, v50, v2
	v_addc_co_u32_e32 v9, vcc, 0, v51, vcc
	v_add_co_u32_e32 v4, vcc, 2, v32
	v_addc_co_u32_e32 v5, vcc, 0, v33, vcc
	v_cmp_lt_u64_e32 vcc, v[8:9], v[4:5]
	v_mov_b32_e32 v0, 1
	s_and_saveexec_b64 s[28:29], vcc
	s_cbranch_execz .LBB6_1116
; %bb.1107:                             ;   in Loop: Header=BB6_1103 Depth=3
	s_mov_b64 s[30:31], 0
	v_mov_b32_e32 v3, 0
                                        ; implicit-def: $sgpr34_sgpr35
	s_branch .LBB6_1111
.LBB6_1108:                             ;   in Loop: Header=BB6_1111 Depth=4
	s_or_b64 exec, exec, s[64:65]
	v_mov_b32_e32 v0, 0
	s_orn2_b64 s[62:63], s[62:63], exec
.LBB6_1109:                             ;   in Loop: Header=BB6_1111 Depth=4
	s_or_b64 exec, exec, s[60:61]
	s_andn2_b64 vcc, s[34:35], exec
	s_and_b64 s[34:35], s[62:63], exec
	s_or_b64 s[34:35], vcc, s[34:35]
	v_mov_b32_e32 v3, v0
.LBB6_1110:                             ;   in Loop: Header=BB6_1111 Depth=4
	s_or_b64 exec, exec, s[58:59]
	s_waitcnt vmcnt(0) lgkmcnt(0)
	v_add_co_u32_e32 v8, vcc, v50, v2
	v_addc_co_u32_e32 v9, vcc, 0, v51, vcc
	v_cmp_ge_u64_e32 vcc, v[8:9], v[4:5]
	s_xor_b64 s[58:59], s[34:35], -1
	s_or_b64 vcc, s[58:59], vcc
	s_and_b64 vcc, exec, vcc
	s_or_b64 s[30:31], vcc, s[30:31]
	s_andn2_b64 exec, exec, s[30:31]
	s_cbranch_execz .LBB6_1115
.LBB6_1111:                             ;   Parent Loop BB6_47 Depth=1
                                        ;     Parent Loop BB6_1100 Depth=2
                                        ;       Parent Loop BB6_1103 Depth=3
                                        ; =>      This Inner Loop Header: Depth=4
	s_sleep 1
	flat_load_dwordx2 v[50:51], v[34:35] glc
	v_and_b32_e32 v0, 64, v62
	v_cmp_eq_u32_e32 vcc, 0, v0
	s_andn2_b64 s[34:35], s[34:35], exec
	s_and_saveexec_b64 s[58:59], vcc
	s_cbranch_execz .LBB6_1110
; %bb.1112:                             ;   in Loop: Header=BB6_1111 Depth=4
	v_add_u32_e32 v0, 1, v3
	v_cmp_lt_i32_e32 vcc, s85, v3
	s_mov_b64 s[62:63], -1
	s_and_saveexec_b64 s[60:61], vcc
	s_cbranch_execz .LBB6_1109
; %bb.1113:                             ;   in Loop: Header=BB6_1111 Depth=4
	s_trap 2
	ds_read_b64 v[8:9], v0
	s_waitcnt vmcnt(0) lgkmcnt(0)
	flat_load_dword v0, v[8:9] glc
	s_waitcnt vmcnt(0) lgkmcnt(0)
	buffer_invl2
	buffer_wbinvl1_vol
	v_cmp_ne_u32_e32 vcc, 0, v0
	s_and_saveexec_b64 s[64:65], vcc
	s_cbranch_execz .LBB6_1108
; %bb.1114:                             ;   in Loop: Header=BB6_1111 Depth=4
	v_or_b32_e32 v62, 64, v62
	s_xor_b64 s[62:63], exec, -1
	ds_write_b32 v0, v0
	s_trap 2
	s_branch .LBB6_1108
.LBB6_1115:                             ;   in Loop: Header=BB6_1103 Depth=3
	s_or_b64 exec, exec, s[30:31]
	v_and_b32_e32 v0, 12, v62
.LBB6_1116:                             ;   in Loop: Header=BB6_1103 Depth=3
	s_or_b64 exec, exec, s[28:29]
	v_cmp_eq_u32_e32 vcc, 0, v0
	s_orn2_b64 s[28:29], vcc, exec
	;;#ASMSTART
	s_wakeup
	;;#ASMEND
.LBB6_1117:                             ;   in Loop: Header=BB6_1103 Depth=3
	s_or_b64 exec, exec, s[26:27]
	v_sub_u32_e32 v0, v20, v16
	s_xor_b64 s[26:27], s[28:29], -1
	v_min_i32_e32 v14, v14, v0
	s_and_saveexec_b64 s[28:29], s[26:27]
	s_cbranch_execz .LBB6_1131
; %bb.1118:                             ;   in Loop: Header=BB6_1103 Depth=3
	v_and_b32_e32 v0, 0x108, v62
	v_cmp_ne_u32_e32 vcc, s86, v0
	v_and_b32_e32 v2, 7, v32
	s_and_saveexec_b64 s[26:27], vcc
	s_xor_b64 s[26:27], exec, s[26:27]
                                        ; implicit-def: $vgpr4_vgpr5
; %bb.1119:                             ;   in Loop: Header=BB6_1103 Depth=3
	v_mov_b32_e32 v5, v52
; %bb.1120:                             ;   in Loop: Header=BB6_1103 Depth=3
	s_andn2_saveexec_b64 s[26:27], s[26:27]
	s_cbranch_execz .LBB6_1122
; %bb.1121:                             ;   in Loop: Header=BB6_1103 Depth=3
	v_ashrrev_i32_e32 v15, 31, v14
	v_mov_b32_e32 v5, v52
	v_mad_u64_u32 v[8:9], vcc, v2, 24, v[6:7]
	v_lshlrev_b64 v[10:11], 1, v[14:15]
	flat_store_dwordx2 v[8:9], v[10:11] offset:8
.LBB6_1122:                             ;   in Loop: Header=BB6_1103 Depth=3
	s_or_b64 exec, exec, s[26:27]
	v_and_b32_e32 v0, 0x100, v62
	v_cmp_ne_u32_e32 vcc, 0, v0
	s_mov_b64 s[26:27], -1
                                        ; implicit-def: $vgpr8_vgpr9
	s_and_saveexec_b64 s[30:31], vcc
	s_cbranch_execz .LBB6_1126
; %bb.1123:                             ;   in Loop: Header=BB6_1103 Depth=3
	v_mad_u64_u32 v[10:11], s[26:27], v2, 24, v[6:7]
	v_mov_b32_e32 v0, v11
	v_mad_u64_u32 v[8:9], s[26:27], v5, 24, v[0:1]
	v_mov_b32_e32 v11, v8
	flat_load_dword v0, v[10:11]
                                        ; implicit-def: $vgpr8_vgpr9
	s_waitcnt vmcnt(0) lgkmcnt(0)
	v_cmp_ne_u32_e32 vcc, 1, v0
	v_cmp_eq_u32_e64 s[26:27], 1, v0
	s_and_saveexec_b64 s[34:35], s[26:27]
	s_cbranch_execz .LBB6_1125
; %bb.1124:                             ;   in Loop: Header=BB6_1103 Depth=3
	flat_load_dword v8, v[10:11] offset:4 glc
	s_waitcnt vmcnt(0) lgkmcnt(0)
	v_ashrrev_i32_e32 v9, 31, v8
	v_lshrrev_b64 v[8:9], 1, v[8:9]
.LBB6_1125:                             ;   in Loop: Header=BB6_1103 Depth=3
	s_or_b64 exec, exec, s[34:35]
	s_orn2_b64 s[26:27], vcc, exec
.LBB6_1126:                             ;   in Loop: Header=BB6_1103 Depth=3
	s_or_b64 exec, exec, s[30:31]
	s_and_saveexec_b64 vcc, s[26:27]
; %bb.1127:                             ;   in Loop: Header=BB6_1103 Depth=3
	v_mul_lo_u32 v0, v5, v30
	v_mul_lo_u32 v3, v2, v41
	v_mad_u64_u32 v[8:9], s[26:27], v2, v30, 0
	v_add3_u32 v9, v9, v3, v0
; %bb.1128:                             ;   in Loop: Header=BB6_1103 Depth=3
	s_or_b64 exec, exec, vcc
	v_lshlrev_b64 v[2:3], 1, v[8:9]
	v_add_co_u32_e32 v2, vcc, v36, v2
	v_addc_co_u32_e32 v3, vcc, v37, v3, vcc
	s_trap 2
	ds_write_b64 v0, v[2:3]
	v_and_b32_e32 v0, 0x2000, v62
	v_cmp_ne_u32_e32 vcc, 0, v0
	s_and_saveexec_b64 s[26:27], vcc
	s_cbranch_execz .LBB6_1130
; %bb.1129:                             ;   in Loop: Header=BB6_1103 Depth=3
	ds_read_b64 v[2:3], v0 offset:584
	s_waitcnt lgkmcnt(0)
	v_add_co_u32_e32 v2, vcc, 1, v2
	v_addc_co_u32_e32 v3, vcc, 0, v3, vcc
	ds_write_b64 v0, v[2:3] offset:584
.LBB6_1130:                             ;   in Loop: Header=BB6_1103 Depth=3
	s_or_b64 exec, exec, s[26:27]
	v_add_co_u32_e32 v32, vcc, 2, v32
	v_addc_co_u32_e32 v33, vcc, 0, v33, vcc
.LBB6_1131:                             ;   in Loop: Header=BB6_1103 Depth=3
	s_or_b64 exec, exec, s[28:29]
	s_and_saveexec_b64 s[26:27], s[10:11]
	s_cbranch_execz .LBB6_1150
; %bb.1132:                             ;   in Loop: Header=BB6_1103 Depth=3
	s_and_saveexec_b64 s[28:29], s[48:49]
	s_xor_b64 s[28:29], exec, s[28:29]
	s_cbranch_execz .LBB6_1147
; %bb.1133:                             ;   in Loop: Header=BB6_1103 Depth=3
	s_and_saveexec_b64 s[30:31], s[16:17]
	s_cbranch_execz .LBB6_1146
; %bb.1134:                             ;   in Loop: Header=BB6_1103 Depth=3
	s_mov_b64 s[58:59], exec
	v_mbcnt_lo_u32_b32 v0, s58, 0
	v_mbcnt_hi_u32_b32 v0, s59, v0
	v_cmp_eq_u32_e32 vcc, 0, v0
	s_waitcnt vmcnt(0) lgkmcnt(0)
	buffer_wbinvl1_vol
	s_and_saveexec_b64 s[34:35], vcc
	s_cbranch_execz .LBB6_1136
; %bb.1135:                             ;   in Loop: Header=BB6_1103 Depth=3
	s_bcnt1_i32_b64 vcc_lo, s[58:59]
	v_mov_b32_e32 v2, vcc_lo
	v_mov_b32_e32 v3, v52
	ds_add_u64 v0, v[2:3]
	s_trap 2
.LBB6_1136:                             ;   in Loop: Header=BB6_1103 Depth=3
	s_or_b64 exec, exec, s[34:35]
	s_trap 2
	ds_read_b64 v[2:3], v0
	v_add_co_u32_e32 v48, vcc, v48, v54
	v_addc_co_u32_e32 v49, vcc, 0, v49, vcc
	s_waitcnt lgkmcnt(0)
	v_cmp_lt_u64_e32 vcc, v[2:3], v[48:49]
	s_and_saveexec_b64 s[34:35], vcc
	s_cbranch_execz .LBB6_1145
; %bb.1137:                             ;   in Loop: Header=BB6_1103 Depth=3
	s_mov_b32 s69, 0
	s_mov_b64 s[58:59], 0
                                        ; implicit-def: $sgpr60_sgpr61
                                        ; implicit-def: $sgpr62_sgpr63
	s_branch .LBB6_1139
.LBB6_1138:                             ;   in Loop: Header=BB6_1139 Depth=4
	s_or_b64 exec, exec, s[66:67]
	s_and_b64 vcc, exec, vcc
	s_or_b64 s[58:59], vcc, s[58:59]
	s_andn2_b64 vcc, s[60:61], exec
	s_and_b64 s[60:61], s[62:63], exec
	s_or_b64 s[60:61], vcc, s[60:61]
	s_andn2_b64 exec, exec, s[58:59]
	s_cbranch_execz .LBB6_1143
.LBB6_1139:                             ;   Parent Loop BB6_47 Depth=1
                                        ;     Parent Loop BB6_1100 Depth=2
                                        ;       Parent Loop BB6_1103 Depth=3
                                        ; =>      This Inner Loop Header: Depth=4
	s_add_i32 s69, s69, 1
	s_cmpk_lg_i32 s69, 0x2710
	s_cselect_b64 s[64:65], -1, 0
	s_and_b64 vcc, exec, s[64:65]
                                        ; implicit-def: $sgpr66_sgpr67
	s_cbranch_vccnz .LBB6_1141
; %bb.1140:                             ;   in Loop: Header=BB6_1139 Depth=4
	s_trap 2
	ds_read_b64 v[2:3], v0
	s_andn2_b64 s[64:65], s[64:65], exec
	s_mov_b32 s69, 0
	s_mov_b64 s[66:67], -1
	s_waitcnt lgkmcnt(0)
	flat_load_dword v0, v[2:3] glc
	s_waitcnt vmcnt(0) lgkmcnt(0)
	buffer_invl2
	buffer_wbinvl1_vol
	v_cmp_eq_u32_e32 vcc, 0, v0
	s_and_b64 vcc, vcc, exec
	s_or_b64 s[64:65], s[64:65], vcc
.LBB6_1141:                             ;   in Loop: Header=BB6_1139 Depth=4
	s_andn2_b64 s[62:63], s[62:63], exec
	s_and_b64 s[66:67], s[66:67], exec
	s_mov_b64 vcc, -1
	s_or_b64 s[62:63], s[62:63], s[66:67]
	s_and_saveexec_b64 s[66:67], s[64:65]
	s_cbranch_execz .LBB6_1138
; %bb.1142:                             ;   in Loop: Header=BB6_1139 Depth=4
	s_sleep 1
	s_trap 2
	ds_read_b64 v[2:3], v0
	s_andn2_b64 s[62:63], s[62:63], exec
	s_waitcnt lgkmcnt(0)
	v_cmp_ge_u64_e32 vcc, v[2:3], v[48:49]
	s_orn2_b64 vcc, vcc, exec
	s_branch .LBB6_1138
.LBB6_1143:                             ;   in Loop: Header=BB6_1103 Depth=3
	s_or_b64 exec, exec, s[58:59]
	s_and_saveexec_b64 vcc, s[60:61]
	s_xor_b64 vcc, exec, vcc
	s_cbranch_execz .LBB6_1145
; %bb.1144:                             ;   in Loop: Header=BB6_1103 Depth=3
	ds_write_b32 v0, v40
	s_trap 2
.LBB6_1145:                             ;   in Loop: Header=BB6_1103 Depth=3
	s_or_b64 exec, exec, s[34:35]
	;;#ASMSTART
	s_wakeup
	;;#ASMEND
.LBB6_1146:                             ;   in Loop: Header=BB6_1103 Depth=3
	s_or_b64 exec, exec, s[30:31]
.LBB6_1147:                             ;   in Loop: Header=BB6_1103 Depth=3
	s_andn2_saveexec_b64 s[28:29], s[28:29]
	s_cbranch_execz .LBB6_1149
; %bb.1148:                             ;   in Loop: Header=BB6_1103 Depth=3
	s_waitcnt vmcnt(0) lgkmcnt(0)
	buffer_wbinvl1_vol
	s_barrier
.LBB6_1149:                             ;   in Loop: Header=BB6_1103 Depth=3
	s_or_b64 exec, exec, s[28:29]
.LBB6_1150:                             ;   in Loop: Header=BB6_1103 Depth=3
	s_or_b64 exec, exec, s[26:27]
	s_trap 2
	ds_read_b32 v2, v0
	v_and_b32_e32 v0, 0x4000, v62
	v_cmp_ne_u32_e32 vcc, 0, v0
	s_xor_b64 s[26:27], s[6:7], -1
	s_and_b64 s[28:29], s[26:27], vcc
	s_and_saveexec_b64 s[26:27], s[28:29]
	s_cbranch_execz .LBB6_1169
; %bb.1151:                             ;   in Loop: Header=BB6_1103 Depth=3
	s_and_saveexec_b64 s[28:29], s[48:49]
	s_xor_b64 s[28:29], exec, s[28:29]
	s_cbranch_execz .LBB6_1166
; %bb.1152:                             ;   in Loop: Header=BB6_1103 Depth=3
	s_and_saveexec_b64 s[30:31], s[16:17]
	s_cbranch_execz .LBB6_1165
; %bb.1153:                             ;   in Loop: Header=BB6_1103 Depth=3
	s_mov_b64 s[58:59], exec
	v_mbcnt_lo_u32_b32 v0, s58, 0
	v_mbcnt_hi_u32_b32 v0, s59, v0
	v_cmp_eq_u32_e32 vcc, 0, v0
	s_waitcnt vmcnt(0) lgkmcnt(0)
	buffer_wbinvl1_vol
	s_and_saveexec_b64 s[34:35], vcc
	s_cbranch_execz .LBB6_1155
; %bb.1154:                             ;   in Loop: Header=BB6_1103 Depth=3
	s_bcnt1_i32_b64 vcc_lo, s[58:59]
	v_mov_b32_e32 v4, vcc_lo
	v_mov_b32_e32 v5, v52
	ds_add_u64 v0, v[4:5]
	s_trap 2
.LBB6_1155:                             ;   in Loop: Header=BB6_1103 Depth=3
	s_or_b64 exec, exec, s[34:35]
	s_trap 2
	ds_read_b64 v[4:5], v0
	v_add_co_u32_e32 v48, vcc, v48, v54
	v_addc_co_u32_e32 v49, vcc, 0, v49, vcc
	s_waitcnt lgkmcnt(0)
	v_cmp_lt_u64_e32 vcc, v[4:5], v[48:49]
	s_and_saveexec_b64 s[34:35], vcc
	s_cbranch_execz .LBB6_1164
; %bb.1156:                             ;   in Loop: Header=BB6_1103 Depth=3
	s_mov_b32 s69, 0
	s_mov_b64 s[58:59], 0
                                        ; implicit-def: $sgpr60_sgpr61
                                        ; implicit-def: $sgpr62_sgpr63
	s_branch .LBB6_1158
.LBB6_1157:                             ;   in Loop: Header=BB6_1158 Depth=4
	s_or_b64 exec, exec, s[66:67]
	s_and_b64 vcc, exec, vcc
	s_or_b64 s[58:59], vcc, s[58:59]
	s_andn2_b64 vcc, s[60:61], exec
	s_and_b64 s[60:61], s[62:63], exec
	s_or_b64 s[60:61], vcc, s[60:61]
	s_andn2_b64 exec, exec, s[58:59]
	s_cbranch_execz .LBB6_1162
.LBB6_1158:                             ;   Parent Loop BB6_47 Depth=1
                                        ;     Parent Loop BB6_1100 Depth=2
                                        ;       Parent Loop BB6_1103 Depth=3
                                        ; =>      This Inner Loop Header: Depth=4
	s_add_i32 s69, s69, 1
	s_cmpk_lg_i32 s69, 0x2710
	s_cselect_b64 s[64:65], -1, 0
	s_and_b64 vcc, exec, s[64:65]
                                        ; implicit-def: $sgpr66_sgpr67
	s_cbranch_vccnz .LBB6_1160
; %bb.1159:                             ;   in Loop: Header=BB6_1158 Depth=4
	s_trap 2
	ds_read_b64 v[4:5], v0
	s_andn2_b64 s[64:65], s[64:65], exec
	s_mov_b32 s69, 0
	s_mov_b64 s[66:67], -1
	s_waitcnt lgkmcnt(0)
	flat_load_dword v0, v[4:5] glc
	s_waitcnt vmcnt(0) lgkmcnt(0)
	buffer_invl2
	buffer_wbinvl1_vol
	v_cmp_eq_u32_e32 vcc, 0, v0
	s_and_b64 vcc, vcc, exec
	s_or_b64 s[64:65], s[64:65], vcc
.LBB6_1160:                             ;   in Loop: Header=BB6_1158 Depth=4
	s_andn2_b64 s[62:63], s[62:63], exec
	s_and_b64 s[66:67], s[66:67], exec
	s_mov_b64 vcc, -1
	s_or_b64 s[62:63], s[62:63], s[66:67]
	s_and_saveexec_b64 s[66:67], s[64:65]
	s_cbranch_execz .LBB6_1157
; %bb.1161:                             ;   in Loop: Header=BB6_1158 Depth=4
	s_sleep 1
	s_trap 2
	ds_read_b64 v[4:5], v0
	s_andn2_b64 s[62:63], s[62:63], exec
	s_waitcnt lgkmcnt(0)
	v_cmp_ge_u64_e32 vcc, v[4:5], v[48:49]
	s_orn2_b64 vcc, vcc, exec
	s_branch .LBB6_1157
.LBB6_1162:                             ;   in Loop: Header=BB6_1103 Depth=3
	s_or_b64 exec, exec, s[58:59]
	s_and_saveexec_b64 vcc, s[60:61]
	s_xor_b64 vcc, exec, vcc
	s_cbranch_execz .LBB6_1164
; %bb.1163:                             ;   in Loop: Header=BB6_1103 Depth=3
	ds_write_b32 v0, v40
	s_trap 2
.LBB6_1164:                             ;   in Loop: Header=BB6_1103 Depth=3
	s_or_b64 exec, exec, s[34:35]
	;;#ASMSTART
	s_wakeup
	;;#ASMEND
.LBB6_1165:                             ;   in Loop: Header=BB6_1103 Depth=3
	s_or_b64 exec, exec, s[30:31]
.LBB6_1166:                             ;   in Loop: Header=BB6_1103 Depth=3
	s_andn2_saveexec_b64 s[28:29], s[28:29]
	s_cbranch_execz .LBB6_1168
; %bb.1167:                             ;   in Loop: Header=BB6_1103 Depth=3
	s_waitcnt vmcnt(0) lgkmcnt(0)
	buffer_wbinvl1_vol
	s_barrier
.LBB6_1168:                             ;   in Loop: Header=BB6_1103 Depth=3
	s_or_b64 exec, exec, s[28:29]
.LBB6_1169:                             ;   in Loop: Header=BB6_1103 Depth=3
	s_or_b64 exec, exec, s[26:27]
	s_trap 2
	ds_read_b64 v[4:5], v0
	v_mov_b32_e32 v15, 0
	s_waitcnt lgkmcnt(0)
	v_readfirstlane_b32 s26, v4
	v_readfirstlane_b32 s27, v5
	s_cmp_eq_u64 s[26:27], 0
	s_cselect_b64 s[26:27], -1, 0
	s_or_b64 s[26:27], s[26:27], s[26:27]
	s_and_b64 vcc, exec, s[26:27]
	s_cbranch_vccnz .LBB6_1178
; %bb.1170:                             ;   in Loop: Header=BB6_1103 Depth=3
	s_trap 2
	ds_read_b64 v[4:5], v0
	v_cmp_eq_u32_e32 vcc, 0, v2
	v_cndmask_b32_e32 v15, 0, v14, vcc
	v_lshlrev_b32_e32 v17, 1, v15
	s_waitcnt lgkmcnt(0)
	v_cmp_ne_u64_e32 vcc, 0, v[4:5]
	s_cbranch_vccz .LBB6_1190
; %bb.1171:                             ;   in Loop: Header=BB6_1103 Depth=3
	s_mov_b64 s[28:29], -1
	s_and_saveexec_b64 s[26:27], s[20:21]
	s_cbranch_execz .LBB6_1173
; %bb.1172:                             ;   in Loop: Header=BB6_1103 Depth=3
	ds_read_b32 v0, v0 offset:720
	s_waitcnt lgkmcnt(0)
	v_and_b32_e32 v0, 15, v0
	v_cmp_eq_u32_e32 vcc, 0, v0
	s_orn2_b64 s[28:29], vcc, exec
.LBB6_1173:                             ;   in Loop: Header=BB6_1103 Depth=3
	s_or_b64 exec, exec, s[26:27]
	s_and_saveexec_b64 s[26:27], s[22:23]
	s_cbranch_execz .LBB6_1175
; %bb.1174:                             ;   in Loop: Header=BB6_1103 Depth=3
	ds_read_b32 v0, v0 offset:784
	s_waitcnt lgkmcnt(0)
	v_and_b32_e32 v0, 15, v0
	v_cmp_eq_u32_e32 vcc, 0, v0
	s_and_b64 vcc, s[28:29], vcc
	s_andn2_b64 s[28:29], s[28:29], exec
	s_and_b64 vcc, vcc, exec
	s_or_b64 s[28:29], s[28:29], vcc
.LBB6_1175:                             ;   in Loop: Header=BB6_1103 Depth=3
	s_or_b64 exec, exec, s[26:27]
	s_xor_b64 s[28:29], s[28:29], -1
	v_cndmask_b32_e64 v0, 0, 1, s[28:29]
	s_mov_b64 s[26:27], -1
	;;#ASMSTART
	;;#ASMEND
	v_cmp_ne_u32_e32 vcc, 0, v0
	v_mov_b32_e32 v10, 0
	v_mov_b32_e32 v11, v17
	;; [unrolled: 1-line block ×4, first 2 shown]
	s_cbranch_vccz .LBB6_1191
; %bb.1176:                             ;   in Loop: Header=BB6_1103 Depth=3
	s_and_saveexec_b64 s[34:35], s[26:27]
	s_cbranch_execnz .LBB6_1206
.LBB6_1177:                             ;   in Loop: Header=BB6_1103 Depth=3
	s_or_b64 exec, exec, s[34:35]
.LBB6_1178:                             ;   in Loop: Header=BB6_1103 Depth=3
	s_and_saveexec_b64 s[26:27], s[10:11]
	s_cbranch_execz .LBB6_1224
.LBB6_1179:                             ;   in Loop: Header=BB6_1103 Depth=3
	s_and_saveexec_b64 s[28:29], s[48:49]
	s_xor_b64 s[28:29], exec, s[28:29]
	s_cbranch_execz .LBB6_1254
; %bb.1180:                             ;   in Loop: Header=BB6_1103 Depth=3
	s_and_saveexec_b64 s[30:31], s[16:17]
	s_cbranch_execz .LBB6_1253
; %bb.1181:                             ;   in Loop: Header=BB6_1103 Depth=3
	s_mov_b64 s[58:59], exec
	v_mbcnt_lo_u32_b32 v0, s58, 0
	v_mbcnt_hi_u32_b32 v0, s59, v0
	v_cmp_eq_u32_e32 vcc, 0, v0
	s_waitcnt vmcnt(0) lgkmcnt(0)
	buffer_wbinvl1_vol
	s_and_saveexec_b64 s[34:35], vcc
	s_cbranch_execz .LBB6_1183
; %bb.1182:                             ;   in Loop: Header=BB6_1103 Depth=3
	s_bcnt1_i32_b64 vcc_lo, s[58:59]
	v_mov_b32_e32 v2, vcc_lo
	v_mov_b32_e32 v3, v52
	ds_add_u64 v0, v[2:3]
	s_trap 2
.LBB6_1183:                             ;   in Loop: Header=BB6_1103 Depth=3
	s_or_b64 exec, exec, s[34:35]
	s_trap 2
	ds_read_b64 v[2:3], v0
	v_add_co_u32_e32 v48, vcc, v48, v54
	v_addc_co_u32_e32 v49, vcc, 0, v49, vcc
	s_waitcnt lgkmcnt(0)
	v_cmp_lt_u64_e32 vcc, v[2:3], v[48:49]
	s_and_saveexec_b64 s[34:35], vcc
	s_cbranch_execz .LBB6_1252
; %bb.1184:                             ;   in Loop: Header=BB6_1103 Depth=3
	s_mov_b32 s69, 0
	s_mov_b64 s[58:59], 0
                                        ; implicit-def: $sgpr60_sgpr61
                                        ; implicit-def: $sgpr62_sgpr63
	s_branch .LBB6_1186
.LBB6_1185:                             ;   in Loop: Header=BB6_1186 Depth=4
	s_or_b64 exec, exec, s[66:67]
	s_and_b64 vcc, exec, vcc
	s_or_b64 s[58:59], vcc, s[58:59]
	s_andn2_b64 vcc, s[60:61], exec
	s_and_b64 s[60:61], s[62:63], exec
	s_or_b64 s[60:61], vcc, s[60:61]
	s_andn2_b64 exec, exec, s[58:59]
	s_cbranch_execz .LBB6_1250
.LBB6_1186:                             ;   Parent Loop BB6_47 Depth=1
                                        ;     Parent Loop BB6_1100 Depth=2
                                        ;       Parent Loop BB6_1103 Depth=3
                                        ; =>      This Inner Loop Header: Depth=4
	s_add_i32 s69, s69, 1
	s_cmpk_lg_i32 s69, 0x2710
	s_cselect_b64 s[64:65], -1, 0
	s_and_b64 vcc, exec, s[64:65]
                                        ; implicit-def: $sgpr66_sgpr67
	s_cbranch_vccnz .LBB6_1188
; %bb.1187:                             ;   in Loop: Header=BB6_1186 Depth=4
	s_trap 2
	ds_read_b64 v[2:3], v0
	s_andn2_b64 s[64:65], s[64:65], exec
	s_mov_b32 s69, 0
	s_mov_b64 s[66:67], -1
	s_waitcnt lgkmcnt(0)
	flat_load_dword v0, v[2:3] glc
	s_waitcnt vmcnt(0) lgkmcnt(0)
	buffer_invl2
	buffer_wbinvl1_vol
	v_cmp_eq_u32_e32 vcc, 0, v0
	s_and_b64 vcc, vcc, exec
	s_or_b64 s[64:65], s[64:65], vcc
.LBB6_1188:                             ;   in Loop: Header=BB6_1186 Depth=4
	s_andn2_b64 s[62:63], s[62:63], exec
	s_and_b64 s[66:67], s[66:67], exec
	s_mov_b64 vcc, -1
	s_or_b64 s[62:63], s[62:63], s[66:67]
	s_and_saveexec_b64 s[66:67], s[64:65]
	s_cbranch_execz .LBB6_1185
; %bb.1189:                             ;   in Loop: Header=BB6_1186 Depth=4
	s_sleep 1
	s_trap 2
	ds_read_b64 v[2:3], v0
	s_andn2_b64 s[62:63], s[62:63], exec
	s_waitcnt lgkmcnt(0)
	v_cmp_ge_u64_e32 vcc, v[2:3], v[48:49]
	s_orn2_b64 vcc, vcc, exec
	s_branch .LBB6_1185
.LBB6_1190:                             ;   in Loop: Header=BB6_1103 Depth=3
	s_cbranch_execnz .LBB6_1217
	s_branch .LBB6_1178
.LBB6_1191:                             ;   in Loop: Header=BB6_1103 Depth=3
	v_ashrrev_i32_e32 v0, 31, v17
	v_lshrrev_b32_e32 v0, 21, v0
	v_add_u32_e32 v0, v17, v0
	v_ashrrev_i32_e32 v10, 11, v0
	v_sub_u32_e32 v13, v10, v57
	v_cmp_lt_i32_e32 vcc, 0, v13
	s_and_saveexec_b64 s[26:27], vcc
	s_cbranch_execz .LBB6_1195
; %bb.1192:                             ;   in Loop: Header=BB6_1103 Depth=3
	s_trap 2
	ds_read_b64 v[2:3], v0
	ds_read_b128 v[22:25], v0
	v_accvgpr_read_b32 v8, a22
	v_accvgpr_read_b32 v9, a23
	s_mov_b64 s[28:29], 0
	s_waitcnt lgkmcnt(0)
	v_add_co_u32_e32 v2, vcc, v2, v8
	v_addc_co_u32_e32 v3, vcc, v3, v9, vcc
	v_add_co_u32_e32 v4, vcc, v22, v8
	v_addc_co_u32_e32 v5, vcc, v23, v9, vcc
	;; [unrolled: 2-line block ×3, first 2 shown]
.LBB6_1193:                             ;   Parent Loop BB6_47 Depth=1
                                        ;     Parent Loop BB6_1100 Depth=2
                                        ;       Parent Loop BB6_1103 Depth=3
                                        ; =>      This Inner Loop Header: Depth=4
	global_load_dwordx4 v[22:25], v[2:3], off glc slc
	global_load_dwordx4 v[38:41], v[2:3], off offset:1024 glc slc
	v_add_co_u32_e32 v2, vcc, v2, v55
	v_addc_co_u32_e32 v3, vcc, v3, v31, vcc
	v_sub_u32_e32 v13, v13, v54
	v_cmp_gt_i32_e32 vcc, 1, v13
	s_or_b64 s[28:29], vcc, s[28:29]
	s_waitcnt vmcnt(0)
	global_store_dwordx4 v[4:5], v[22:25], off glc slc
	global_store_dwordx4 v[4:5], v[38:41], off offset:1024 glc slc
	global_store_dwordx4 v[8:9], v[22:25], off glc slc
	global_store_dwordx4 v[8:9], v[38:41], off offset:1024 glc slc
	v_add_co_u32_e32 v4, vcc, v4, v55
	v_addc_co_u32_e32 v5, vcc, v5, v31, vcc
	v_add_co_u32_e32 v8, vcc, v8, v55
	v_addc_co_u32_e32 v9, vcc, v9, v31, vcc
	s_andn2_b64 exec, exec, s[28:29]
	s_cbranch_execnz .LBB6_1193
; %bb.1194:                             ;   in Loop: Header=BB6_1103 Depth=3
	s_or_b64 exec, exec, s[28:29]
	v_accvgpr_read_b32 v41, a13
	v_accvgpr_read_b32 v39, a21
	v_mov_b32_e32 v40, 1
.LBB6_1195:                             ;   in Loop: Header=BB6_1103 Depth=3
	s_or_b64 exec, exec, s[26:27]
	v_lshlrev_b32_e32 v21, 11, v10
	v_cmp_ne_u32_e32 vcc, v17, v21
	s_mov_b64 s[26:27], 0
	v_mov_b32_e32 v10, 0
                                        ; implicit-def: $vgpr11
                                        ; implicit-def: $vgpr12
                                        ; implicit-def: $vgpr2
	s_and_saveexec_b64 s[58:59], vcc
	s_cbranch_execz .LBB6_1205
; %bb.1196:                             ;   in Loop: Header=BB6_1103 Depth=3
	v_lshlrev_b32_e32 v0, 6, v13
	v_accvgpr_read_b32 v3, a18
	v_sub_u32_e32 v0, v3, v0
	v_ashrrev_i32_e32 v3, 31, v0
	v_lshrrev_b32_e32 v3, 26, v3
	v_add_u32_e32 v3, v0, v3
	v_sub_u32_e32 v2, v17, v21
	v_ashrrev_i32_e32 v4, 6, v3
	v_and_b32_e32 v3, 0xffffffc0, v3
	v_sub_u32_e32 v22, v0, v3
	v_ashrrev_i32_e32 v3, 31, v2
	v_lshrrev_b32_e32 v3, 22, v3
	v_add_u32_e32 v3, v2, v3
	v_and_b32_e32 v23, 0xfffffc00, v3
	v_lshlrev_b32_e32 v0, 4, v22
	v_sub_u32_e32 v25, v2, v23
	v_lshl_add_u32 v0, v4, 10, v0
	v_ashrrev_i32_e32 v5, 10, v3
	v_cmp_lt_i32_e64 s[26:27], 15, v25
	v_sub_u32_e32 v28, v2, v0
	v_addc_co_u32_e64 v2, vcc, 0, v5, s[26:27]
	v_sub_u32_e32 v24, v2, v4
	v_cmp_lt_i32_e32 vcc, 15, v28
	s_and_saveexec_b64 s[60:61], vcc
	s_cbranch_execz .LBB6_1202
; %bb.1197:                             ;   in Loop: Header=BB6_1103 Depth=3
	s_trap 2
	ds_read_b64 v[2:3], v0
	v_add_u32_e32 v0, v0, v21
	ds_read_b128 v[8:11], v0
	v_ashrrev_i32_e32 v12, 31, v0
	s_mov_b64 s[62:63], 0
	s_waitcnt lgkmcnt(0)
	v_add_co_u32_e32 v4, vcc, v2, v0
	v_addc_co_u32_e32 v5, vcc, v3, v12, vcc
	v_add_co_u32_e32 v2, vcc, v8, v0
	v_addc_co_u32_e32 v3, vcc, v9, v12, vcc
	;; [unrolled: 2-line block ×3, first 2 shown]
.LBB6_1198:                             ;   Parent Loop BB6_47 Depth=1
                                        ;     Parent Loop BB6_1100 Depth=2
                                        ;       Parent Loop BB6_1103 Depth=3
                                        ; =>      This Loop Header: Depth=4
                                        ;           Child Loop BB6_1199 Depth 5
	global_load_dwordx4 v[10:13], v[4:5], off glc slc
	s_mov_b64 s[66:67], -1
	s_mov_b64 s[64:65], 0
	s_waitcnt vmcnt(0)
.LBB6_1199:                             ;   Parent Loop BB6_47 Depth=1
                                        ;     Parent Loop BB6_1100 Depth=2
                                        ;       Parent Loop BB6_1103 Depth=3
                                        ;         Parent Loop BB6_1198 Depth=4
                                        ; =>        This Inner Loop Header: Depth=5
	s_cmp_eq_u32 s64, 0
	s_cselect_b64 s[28:29], -1, 0
	s_cmp_eq_u32 s64, 1
	s_cselect_b64 s[34:35], -1, 0
	v_cndmask_b32_e64 v0, 0, 1, s[66:67]
	v_cndmask_b32_e64 v38, v2, v8, s[34:35]
	v_cmp_ne_u32_e64 s[30:31], 1, v0
	v_cndmask_b32_e64 v39, v3, v9, s[34:35]
	v_add_co_u32_e32 v0, vcc, 0x400, v38
	v_addc_co_u32_e32 v29, vcc, 0, v39, vcc
	s_mov_b64 s[66:67], 0
	s_mov_b64 s[64:65], 1
	v_cndmask_b32_e64 v8, v8, v0, s[34:35]
	s_and_b64 vcc, exec, s[30:31]
	v_cndmask_b32_e64 v9, v9, v29, s[34:35]
	v_cndmask_b32_e64 v3, v3, v29, s[28:29]
	;; [unrolled: 1-line block ×3, first 2 shown]
	global_store_dwordx4 v[38:39], v[10:13], off glc slc
	s_cbranch_vccz .LBB6_1199
; %bb.1200:                             ;   in Loop: Header=BB6_1198 Depth=4
	v_accvgpr_read_b32 v0, a12
	v_add_co_u32_e32 v2, vcc, v2, v0
	v_accvgpr_read_b32 v11, a19
	v_addc_co_u32_e32 v3, vcc, v3, v11, vcc
	v_add_co_u32_e32 v8, vcc, v8, v0
	v_addc_co_u32_e32 v9, vcc, v9, v11, vcc
	v_add_co_u32_e32 v4, vcc, v1, v4
	v_addc_co_u32_e32 v5, vcc, v58, v5, vcc
	v_sub_u32_e32 v28, v28, v46
	v_cmp_gt_i32_e32 vcc, 16, v28
	s_or_b64 s[62:63], vcc, s[62:63]
	v_sub_u32_e32 v24, v24, v54
	s_andn2_b64 exec, exec, s[62:63]
	s_cbranch_execnz .LBB6_1198
; %bb.1201:                             ;   in Loop: Header=BB6_1103 Depth=3
	s_or_b64 exec, exec, s[62:63]
	v_accvgpr_read_b32 v39, a21
.LBB6_1202:                             ;   in Loop: Header=BB6_1103 Depth=3
	s_or_b64 exec, exec, s[60:61]
	v_and_b32_e32 v0, 14, v17
	v_cndmask_b32_e64 v11, v25, v0, s[26:27]
	s_mov_b64 s[28:29], 0
	v_mov_b32_e32 v10, 0
	v_cmp_ne_u32_e32 vcc, 0, v11
                                        ; implicit-def: $vgpr12
                                        ; implicit-def: $vgpr2
	s_mov_b64 s[30:31], exec
	s_and_b64 vcc, s[30:31], vcc
	v_accvgpr_read_b32 v28, a16
	s_mov_b64 exec, vcc
	s_cbranch_execz .LBB6_1204
; %bb.1203:                             ;   in Loop: Header=BB6_1103 Depth=3
	v_sub_u32_e32 v0, v25, v0
	v_cndmask_b32_e64 v0, 0, v0, s[26:27]
	v_cmp_lt_i32_e32 vcc, 0, v24
	v_add3_u32 v10, v23, v21, v0
	v_cndmask_b32_e32 v0, 0, v54, vcc
	v_sub_u32_e32 v0, v0, v24
	v_lshl_add_u32 v12, v0, 6, v22
	v_ashrrev_i32_e32 v0, 31, v12
	v_lshrrev_b32_e32 v0, 26, v0
	v_add_u32_e32 v0, v12, v0
	s_mov_b64 s[28:29], exec
	v_ashrrev_i32_e32 v2, 6, v0
.LBB6_1204:                             ;   in Loop: Header=BB6_1103 Depth=3
	s_or_b64 exec, exec, s[30:31]
	s_and_b64 s[26:27], s[28:29], exec
.LBB6_1205:                             ;   in Loop: Header=BB6_1103 Depth=3
	s_or_b64 exec, exec, s[58:59]
	s_and_saveexec_b64 s[34:35], s[26:27]
	s_cbranch_execz .LBB6_1177
.LBB6_1206:                             ;   in Loop: Header=BB6_1103 Depth=3
	v_ashrrev_i32_e32 v0, 31, v11
	v_lshrrev_b32_e32 v0, 22, v0
	v_add_u32_e32 v0, v11, v0
	v_ashrrev_i32_e32 v22, 10, v0
	v_sub_u32_e32 v13, v22, v2
	v_ashrrev_i32_e32 v0, 31, v12
	v_cmp_lt_i32_e32 vcc, 0, v13
	v_lshrrev_b32_e32 v21, 26, v0
	s_and_saveexec_b64 s[26:27], vcc
	s_cbranch_execz .LBB6_1210
; %bb.1207:                             ;   in Loop: Header=BB6_1103 Depth=3
	v_add_u32_e32 v0, v12, v21
	v_and_b32_e32 v0, 0x7fffffc0, v0
	v_sub_u32_e32 v0, v12, v0
	v_lshlrev_b32_e32 v0, 1, v0
	s_trap 2
	ds_read_b64 v[8:9], v0
	ds_read_b128 v[38:41], v0
	v_lshlrev_b32_e32 v2, 10, v2
	v_add3_u32 v0, v0, v10, v2
	v_ashrrev_i32_e32 v23, 31, v0
	s_mov_b64 s[28:29], 0
	s_waitcnt lgkmcnt(0)
	v_add_co_u32_e32 v2, vcc, v38, v0
	v_addc_co_u32_e32 v3, vcc, v39, v23, vcc
	v_add_co_u32_e32 v4, vcc, v40, v0
	v_addc_co_u32_e32 v5, vcc, v41, v23, vcc
	;; [unrolled: 2-line block ×4, first 2 shown]
.LBB6_1208:                             ;   Parent Loop BB6_47 Depth=1
                                        ;     Parent Loop BB6_1100 Depth=2
                                        ;       Parent Loop BB6_1103 Depth=3
                                        ; =>      This Inner Loop Header: Depth=4
	v_add_co_u32_e32 v24, vcc, 0xfffffc80, v8
	v_addc_co_u32_e32 v25, vcc, -1, v9, vcc
	v_add_co_u32_e32 v28, vcc, 0xfffffd00, v8
	v_addc_co_u32_e32 v29, vcc, -1, v9, vcc
	flat_load_ushort v23, v[24:25] glc slc
	v_add_co_u32_e32 v24, vcc, 0xfffffd80, v8
	v_addc_co_u32_e32 v25, vcc, -1, v9, vcc
	flat_load_ushort v38, v[28:29] glc slc
	v_add_co_u32_e32 v28, vcc, s75, v8
	flat_load_ushort v0, v[8:9] glc slc
	v_addc_co_u32_e32 v29, vcc, -1, v9, vcc
	flat_load_ushort v39, v[24:25] glc slc
	v_add_co_u32_e32 v24, vcc, 0xfffffe80, v8
	v_addc_co_u32_e32 v25, vcc, -1, v9, vcc
	flat_load_ushort v53, v[28:29] glc slc
	v_add_co_u32_e32 v28, vcc, 0xffffff00, v8
	;; [unrolled: 3-line block ×3, first 2 shown]
	flat_load_ushort v28, v[28:29] glc slc
	v_addc_co_u32_e32 v25, vcc, -1, v9, vcc
	flat_load_ushort v24, v[24:25] glc slc
	v_sub_u32_e32 v13, v13, v54
	v_cmp_gt_i32_e32 vcc, 1, v13
	s_or_b64 s[28:29], vcc, s[28:29]
	v_add_co_u32_e32 v8, vcc, v8, v1
	v_addc_co_u32_e32 v9, vcc, v9, v58, vcc
	s_waitcnt vmcnt(0) lgkmcnt(0)
	flat_store_short v[2:3], v0 offset:896 glc slc
	flat_store_short v[2:3], v23 glc slc
	flat_store_short v[2:3], v38 offset:128 glc slc
	flat_store_short v[2:3], v39 offset:256 glc slc
	flat_store_short v[2:3], v53 offset:384 glc slc
	flat_store_short v[2:3], v40 offset:512 glc slc
	flat_store_short v[2:3], v28 offset:640 glc slc
	flat_store_short v[2:3], v24 offset:768 glc slc
	flat_store_short v[4:5], v23 glc slc
	flat_store_short v[4:5], v38 offset:128 glc slc
	flat_store_short v[4:5], v39 offset:256 glc slc
	;; [unrolled: 1-line block ×7, first 2 shown]
	v_add_co_u32_e32 v2, vcc, v2, v1
	v_addc_co_u32_e32 v3, vcc, v3, v58, vcc
	v_add_co_u32_e32 v4, vcc, v4, v1
	v_addc_co_u32_e32 v5, vcc, v5, v58, vcc
	s_andn2_b64 exec, exec, s[28:29]
	s_cbranch_execnz .LBB6_1208
; %bb.1209:                             ;   in Loop: Header=BB6_1103 Depth=3
	s_or_b64 exec, exec, s[28:29]
	v_accvgpr_read_b32 v41, a13
	v_accvgpr_read_b32 v28, a16
	;; [unrolled: 1-line block ×3, first 2 shown]
	v_mov_b32_e32 v40, 1
.LBB6_1210:                             ;   in Loop: Header=BB6_1103 Depth=3
	s_or_b64 exec, exec, s[26:27]
	v_lshlrev_b32_e32 v0, 10, v22
	v_cmp_ne_u32_e32 vcc, v11, v0
	s_and_saveexec_b64 s[58:59], vcc
	s_cbranch_execz .LBB6_1216
; %bb.1211:                             ;   in Loop: Header=BB6_1103 Depth=3
	v_add_u32_e32 v2, v12, v21
	v_and_b32_e32 v2, 0xffffffc0, v2
	v_sub_u32_e32 v2, v12, v2
	v_lshlrev_b32_e32 v3, 6, v13
	v_sub_u32_e32 v2, v2, v3
	v_ashrrev_i32_e32 v3, 31, v2
	v_lshrrev_b32_e32 v3, 26, v3
	v_add_u32_e32 v3, v2, v3
	v_and_b32_e32 v4, 0x7fffffc0, v3
	v_sub_u32_e32 v2, v2, v4
	v_lshlrev_b32_e32 v3, 1, v3
	v_and_b32_e32 v3, 0xffffff80, v3
	v_lshlrev_b32_e32 v2, 1, v2
	v_add3_u32 v0, v3, v2, v0
	v_sub_u32_e32 v11, v11, v0
	v_cmp_lt_i32_e32 vcc, 1, v11
	s_and_b64 exec, exec, vcc
	s_cbranch_execz .LBB6_1216
; %bb.1212:                             ;   in Loop: Header=BB6_1103 Depth=3
	s_trap 2
	ds_read_b64 v[2:3], v0
	v_add_u32_e32 v0, v0, v10
	ds_read_b128 v[22:25], v0
	v_ashrrev_i32_e32 v9, 31, v0
	s_mov_b64 s[60:61], 0
	s_waitcnt lgkmcnt(0)
	v_add_co_u32_e32 v4, vcc, v2, v0
	v_addc_co_u32_e32 v5, vcc, v3, v9, vcc
	v_add_co_u32_e32 v2, vcc, v22, v0
	v_addc_co_u32_e32 v3, vcc, v23, v9, vcc
	;; [unrolled: 2-line block ×3, first 2 shown]
.LBB6_1213:                             ;   Parent Loop BB6_47 Depth=1
                                        ;     Parent Loop BB6_1100 Depth=2
                                        ;       Parent Loop BB6_1103 Depth=3
                                        ; =>      This Loop Header: Depth=4
                                        ;           Child Loop BB6_1214 Depth 5
	flat_load_ushort v10, v[4:5] glc slc
	s_mov_b64 s[64:65], -1
	s_mov_b64 s[62:63], 0
	s_waitcnt vmcnt(0)
.LBB6_1214:                             ;   Parent Loop BB6_47 Depth=1
                                        ;     Parent Loop BB6_1100 Depth=2
                                        ;       Parent Loop BB6_1103 Depth=3
                                        ;         Parent Loop BB6_1213 Depth=4
                                        ; =>        This Inner Loop Header: Depth=5
	s_cmp_eq_u32 s62, 0
	s_cselect_b64 s[26:27], -1, 0
	s_cmp_eq_u32 s62, 1
	s_cselect_b64 s[30:31], -1, 0
	v_cndmask_b32_e64 v0, 0, 1, s[64:65]
	v_cndmask_b32_e64 v12, v2, v8, s[30:31]
	v_cmp_ne_u32_e64 s[28:29], 1, v0
	v_cndmask_b32_e64 v13, v3, v9, s[30:31]
	v_add_co_u32_e32 v0, vcc, 0x80, v12
	s_waitcnt lgkmcnt(0)
	flat_store_short v[12:13], v10 glc slc
	v_addc_co_u32_e32 v12, vcc, 0, v13, vcc
	s_mov_b64 s[64:65], 0
	s_mov_b64 s[62:63], 1
	v_cndmask_b32_e64 v8, v8, v0, s[30:31]
	s_and_b64 vcc, exec, s[28:29]
	v_cndmask_b32_e64 v9, v9, v12, s[30:31]
	v_cndmask_b32_e64 v3, v3, v12, s[26:27]
	;; [unrolled: 1-line block ×3, first 2 shown]
	s_cbranch_vccz .LBB6_1214
; %bb.1215:                             ;   in Loop: Header=BB6_1213 Depth=4
	v_add_co_u32_e32 v2, vcc, v2, v28
	v_addc_co_u32_e32 v3, vcc, v3, v39, vcc
	v_add_co_u32_e32 v8, vcc, v8, v28
	v_addc_co_u32_e32 v9, vcc, v9, v39, vcc
	v_sub_u32_e32 v11, v11, v47
	v_cmp_gt_i32_e32 vcc, 2, v11
	s_or_b64 s[60:61], vcc, s[60:61]
	v_add_co_u32_e32 v4, vcc, v59, v4
	v_addc_co_u32_e32 v5, vcc, v26, v5, vcc
	s_andn2_b64 exec, exec, s[60:61]
	s_cbranch_execnz .LBB6_1213
.LBB6_1216:                             ;   in Loop: Header=BB6_1103 Depth=3
	s_or_b64 exec, exec, s[58:59]
	s_or_b64 exec, exec, s[34:35]
	s_branch .LBB6_1178
.LBB6_1217:                             ;   in Loop: Header=BB6_1103 Depth=3
	s_mov_b64 s[26:27], -1
	s_and_saveexec_b64 s[28:29], s[20:21]
	s_cbranch_execz .LBB6_1219
; %bb.1218:                             ;   in Loop: Header=BB6_1103 Depth=3
	ds_read_b32 v0, v0 offset:720
	s_waitcnt lgkmcnt(0)
	v_and_b32_e32 v0, 15, v0
	v_cmp_eq_u32_e32 vcc, 0, v0
	s_orn2_b64 s[26:27], vcc, exec
.LBB6_1219:                             ;   in Loop: Header=BB6_1103 Depth=3
	s_or_b64 exec, exec, s[28:29]
	s_and_saveexec_b64 s[28:29], s[18:19]
	s_cbranch_execz .LBB6_1221
; %bb.1220:                             ;   in Loop: Header=BB6_1103 Depth=3
	ds_read_b32 v0, v0 offset:784
	s_waitcnt lgkmcnt(0)
	v_and_b32_e32 v0, 15, v0
	v_cmp_eq_u32_e32 vcc, 0, v0
	s_and_b64 vcc, s[26:27], vcc
	s_andn2_b64 s[26:27], s[26:27], exec
	s_and_b64 vcc, vcc, exec
	s_or_b64 s[26:27], s[26:27], vcc
.LBB6_1221:                             ;   in Loop: Header=BB6_1103 Depth=3
	s_or_b64 exec, exec, s[28:29]
	s_xor_b64 s[26:27], s[26:27], -1
	v_cndmask_b32_e64 v0, 0, 1, s[26:27]
	s_mov_b64 s[30:31], -1
	;;#ASMSTART
	;;#ASMEND
	v_cmp_ne_u32_e32 vcc, 0, v0
	v_mov_b32_e32 v10, 0
	s_cbranch_vccz .LBB6_1228
; %bb.1222:                             ;   in Loop: Header=BB6_1103 Depth=3
	v_mov_b32_e32 v11, v56
	v_mov_b32_e32 v4, v57
	s_and_saveexec_b64 s[26:27], s[30:31]
	s_cbranch_execnz .LBB6_1241
.LBB6_1223:                             ;   in Loop: Header=BB6_1103 Depth=3
	s_or_b64 exec, exec, s[26:27]
	s_and_saveexec_b64 s[26:27], s[10:11]
	s_cbranch_execnz .LBB6_1179
.LBB6_1224:                             ;   in Loop: Header=BB6_1103 Depth=3
	s_or_b64 exec, exec, s[26:27]
                                        ; implicit-def: $vgpr2
	s_and_saveexec_b64 s[26:27], s[24:25]
	s_xor_b64 s[28:29], exec, s[26:27]
	s_cbranch_execz .LBB6_1257
.LBB6_1225:                             ;   in Loop: Header=BB6_1103 Depth=3
	v_and_b32_e32 v0, 16, v62
	v_cmp_lt_i32_e32 vcc, 0, v15
	v_cmp_ne_u32_e64 s[26:27], 0, v0
	v_and_b32_e32 v2, 16, v62
	s_and_b64 vcc, s[26:27], vcc
	s_and_saveexec_b64 s[26:27], vcc
	s_cbranch_execz .LBB6_1227
; %bb.1226:                             ;   in Loop: Header=BB6_1103 Depth=3
	v_mov_b32_e32 v2, 1
	s_waitcnt vmcnt(0) lgkmcnt(0)
	buffer_wbinvl1_vol
.LBB6_1227:                             ;   in Loop: Header=BB6_1103 Depth=3
	s_or_b64 exec, exec, s[26:27]
	s_andn2_saveexec_b64 s[26:27], s[28:29]
	s_cbranch_execz .LBB6_1276
	s_branch .LBB6_1258
.LBB6_1228:                             ;   in Loop: Header=BB6_1103 Depth=3
	v_ashrrev_i32_e32 v0, 31, v17
	v_lshrrev_b32_e32 v0, 21, v0
	v_add_u32_e32 v0, v17, v0
	v_ashrrev_i32_e32 v8, 11, v0
	v_sub_u32_e32 v9, v8, v57
	v_cmp_lt_i32_e32 vcc, 0, v9
	s_and_saveexec_b64 s[26:27], vcc
	s_cbranch_execz .LBB6_1232
; %bb.1229:                             ;   in Loop: Header=BB6_1103 Depth=3
	s_trap 2
	ds_read_b64 v[2:3], v0
	v_accvgpr_read_b32 v4, a22
	s_mov_b64 s[28:29], 0
	v_accvgpr_read_b32 v5, a23
.LBB6_1230:                             ;   Parent Loop BB6_47 Depth=1
                                        ;     Parent Loop BB6_1100 Depth=2
                                        ;       Parent Loop BB6_1103 Depth=3
                                        ; =>      This Inner Loop Header: Depth=4
	s_waitcnt lgkmcnt(0)
	v_add_co_u32_e32 v28, vcc, v2, v4
	v_addc_co_u32_e32 v29, vcc, v3, v5, vcc
	global_load_dwordx4 v[10:13], v[28:29], off glc slc
	global_load_dwordx4 v[22:25], v[28:29], off offset:1024 glc slc
	v_add_co_u32_e32 v4, vcc, v4, v55
	v_sub_u32_e32 v9, v9, v54
	v_addc_co_u32_e32 v5, vcc, v5, v31, vcc
	v_cmp_gt_i32_e32 vcc, 1, v9
	s_or_b64 s[28:29], vcc, s[28:29]
	s_waitcnt vmcnt(0)
	global_store_dwordx4 v[28:29], v[10:13], off glc slc
	global_store_dwordx4 v[28:29], v[22:25], off offset:1024 glc slc
	s_andn2_b64 exec, exec, s[28:29]
	s_cbranch_execnz .LBB6_1230
; %bb.1231:                             ;   in Loop: Header=BB6_1103 Depth=3
	s_or_b64 exec, exec, s[28:29]
	v_accvgpr_read_b32 v28, a16
.LBB6_1232:                             ;   in Loop: Header=BB6_1103 Depth=3
	s_or_b64 exec, exec, s[26:27]
	v_lshlrev_b32_e32 v8, 11, v8
	v_cmp_ne_u32_e32 vcc, v17, v8
	s_mov_b64 s[30:31], 0
	v_mov_b32_e32 v10, 0
                                        ; implicit-def: $vgpr11
                                        ; implicit-def: $vgpr4
	s_and_saveexec_b64 s[28:29], vcc
	s_cbranch_execz .LBB6_1240
; %bb.1233:                             ;   in Loop: Header=BB6_1103 Depth=3
	v_lshlrev_b32_e32 v0, 6, v9
	v_accvgpr_read_b32 v3, a18
	v_sub_u32_e32 v0, v3, v0
	v_ashrrev_i32_e32 v3, 31, v0
	v_lshrrev_b32_e32 v3, 26, v3
	v_add_u32_e32 v3, v0, v3
	v_sub_u32_e32 v2, v17, v8
	v_ashrrev_i32_e32 v4, 6, v3
	v_and_b32_e32 v3, 0xffffffc0, v3
	v_sub_u32_e32 v9, v0, v3
	v_ashrrev_i32_e32 v3, 31, v2
	v_lshrrev_b32_e32 v3, 22, v3
	v_add_u32_e32 v3, v2, v3
	v_and_b32_e32 v12, 0xfffffc00, v3
	v_lshlrev_b32_e32 v0, 4, v9
	v_sub_u32_e32 v21, v2, v12
	v_lshl_add_u32 v0, v4, 10, v0
	v_ashrrev_i32_e32 v5, 10, v3
	v_cmp_lt_i32_e32 vcc, 15, v21
	v_sub_u32_e32 v10, v2, v0
	v_addc_co_u32_e64 v2, s[26:27], 0, v5, vcc
	v_sub_u32_e32 v13, v2, v4
	v_cmp_lt_i32_e64 s[26:27], 15, v10
	s_and_saveexec_b64 s[30:31], s[26:27]
	s_cbranch_execz .LBB6_1237
; %bb.1234:                             ;   in Loop: Header=BB6_1103 Depth=3
	s_trap 2
	ds_read_b64 v[2:3], v0
	v_add_u32_e32 v4, v0, v8
	v_ashrrev_i32_e32 v5, 31, v4
	s_mov_b64 s[34:35], 0
.LBB6_1235:                             ;   Parent Loop BB6_47 Depth=1
                                        ;     Parent Loop BB6_1100 Depth=2
                                        ;       Parent Loop BB6_1103 Depth=3
                                        ; =>      This Inner Loop Header: Depth=4
	s_waitcnt lgkmcnt(0)
	v_add_co_u32_e64 v28, s[26:27], v2, v4
	v_addc_co_u32_e64 v29, s[26:27], v3, v5, s[26:27]
	global_load_dwordx4 v[22:25], v[28:29], off glc slc
	v_add_co_u32_e64 v4, s[26:27], v4, v1
	v_sub_u32_e32 v10, v10, v46
	v_addc_co_u32_e64 v5, s[26:27], v5, v58, s[26:27]
	v_cmp_gt_i32_e64 s[26:27], 16, v10
	v_sub_u32_e32 v13, v13, v54
	s_or_b64 s[34:35], s[26:27], s[34:35]
	s_waitcnt vmcnt(0)
	global_store_dwordx4 v[28:29], v[22:25], off glc slc
	s_andn2_b64 exec, exec, s[34:35]
	s_cbranch_execnz .LBB6_1235
; %bb.1236:                             ;   in Loop: Header=BB6_1103 Depth=3
	s_or_b64 exec, exec, s[34:35]
	v_accvgpr_read_b32 v28, a16
.LBB6_1237:                             ;   in Loop: Header=BB6_1103 Depth=3
	s_or_b64 exec, exec, s[30:31]
	v_and_b32_e32 v0, 14, v17
	v_cndmask_b32_e32 v17, v21, v0, vcc
	v_cmp_ne_u32_e64 s[26:27], 0, v17
	s_mov_b64 s[30:31], 0
	v_mov_b32_e32 v10, 0
                                        ; implicit-def: $vgpr11
                                        ; implicit-def: $vgpr4
	s_and_saveexec_b64 s[34:35], s[26:27]
	s_cbranch_execz .LBB6_1239
; %bb.1238:                             ;   in Loop: Header=BB6_1103 Depth=3
	v_sub_u32_e32 v0, v21, v0
	v_cndmask_b32_e32 v0, 0, v0, vcc
	v_cmp_lt_i32_e32 vcc, 0, v13
	v_add3_u32 v10, v12, v8, v0
	v_cndmask_b32_e32 v0, 0, v54, vcc
	v_sub_u32_e32 v0, v0, v13
	v_lshl_add_u32 v11, v0, 6, v9
	v_ashrrev_i32_e32 v0, 31, v11
	v_lshrrev_b32_e32 v0, 26, v0
	v_add_u32_e32 v0, v11, v0
	s_mov_b64 s[30:31], exec
	v_ashrrev_i32_e32 v4, 6, v0
.LBB6_1239:                             ;   in Loop: Header=BB6_1103 Depth=3
	s_or_b64 exec, exec, s[34:35]
	s_and_b64 s[30:31], s[30:31], exec
.LBB6_1240:                             ;   in Loop: Header=BB6_1103 Depth=3
	s_or_b64 exec, exec, s[28:29]
	s_and_saveexec_b64 s[26:27], s[30:31]
	s_cbranch_execz .LBB6_1223
.LBB6_1241:                             ;   in Loop: Header=BB6_1103 Depth=3
	v_ashrrev_i32_e32 v0, 31, v17
	v_lshrrev_b32_e32 v0, 22, v0
	v_add_u32_e32 v0, v17, v0
	v_ashrrev_i32_e32 v13, 10, v0
	v_sub_u32_e32 v12, v13, v4
	v_cmp_lt_i32_e32 vcc, 0, v12
	s_and_saveexec_b64 s[28:29], vcc
	s_cbranch_execz .LBB6_1245
; %bb.1242:                             ;   in Loop: Header=BB6_1103 Depth=3
	s_trap 2
	ds_read_b64 v[2:3], v0
	v_ashrrev_i32_e32 v0, 31, v11
	v_lshrrev_b32_e32 v0, 26, v0
	v_add_u32_e32 v0, v11, v0
	v_and_b32_e32 v0, 0x7fffffc0, v0
	v_sub_u32_e32 v0, v11, v0
	v_lshlrev_b32_e32 v0, 1, v0
	v_lshlrev_b32_e32 v4, 10, v4
	v_add3_u32 v4, v0, v10, v4
	v_ashrrev_i32_e32 v5, 31, v4
	s_mov_b64 s[30:31], 0
	s_waitcnt lgkmcnt(0)
	v_pk_mov_b32 v[8:9], v[2:3], v[2:3] op_sel:[0,1]
.LBB6_1243:                             ;   Parent Loop BB6_47 Depth=1
                                        ;     Parent Loop BB6_1100 Depth=2
                                        ;       Parent Loop BB6_1103 Depth=3
                                        ; =>      This Inner Loop Header: Depth=4
	v_add_co_u32_e32 v22, vcc, v4, v8
	v_addc_co_u32_e32 v23, vcc, v5, v9, vcc
	flat_load_ushort v0, v[22:23] glc slc
	flat_load_ushort v21, v[22:23] offset:128 glc slc
	flat_load_ushort v24, v[22:23] offset:256 glc slc
	flat_load_ushort v25, v[22:23] offset:384 glc slc
	flat_load_ushort v28, v[22:23] offset:512 glc slc
	flat_load_ushort v29, v[22:23] offset:640 glc slc
	flat_load_ushort v38, v[22:23] offset:768 glc slc
	flat_load_ushort v39, v[22:23] offset:896 glc slc
	v_add_co_u32_e32 v22, vcc, v4, v2
	v_addc_co_u32_e32 v23, vcc, v5, v3, vcc
	v_add_co_u32_e32 v8, vcc, v8, v1
	v_addc_co_u32_e32 v9, vcc, v9, v58, vcc
	v_add_co_u32_e32 v2, vcc, v2, v1
	v_sub_u32_e32 v12, v12, v54
	v_addc_co_u32_e32 v3, vcc, v3, v58, vcc
	v_cmp_gt_i32_e32 vcc, 1, v12
	s_or_b64 s[30:31], vcc, s[30:31]
	s_waitcnt vmcnt(0) lgkmcnt(0)
	flat_store_short v[22:23], v0 glc slc
	flat_store_short v[22:23], v21 offset:128 glc slc
	flat_store_short v[22:23], v24 offset:256 glc slc
	;; [unrolled: 1-line block ×7, first 2 shown]
	s_andn2_b64 exec, exec, s[30:31]
	s_cbranch_execnz .LBB6_1243
; %bb.1244:                             ;   in Loop: Header=BB6_1103 Depth=3
	s_or_b64 exec, exec, s[30:31]
	v_accvgpr_read_b32 v28, a16
	v_accvgpr_read_b32 v39, a21
.LBB6_1245:                             ;   in Loop: Header=BB6_1103 Depth=3
	s_or_b64 exec, exec, s[28:29]
	v_lshlrev_b32_e32 v0, 10, v13
	v_cmp_ne_u32_e32 vcc, v17, v0
	s_and_saveexec_b64 s[28:29], vcc
	s_cbranch_execz .LBB6_1249
; %bb.1246:                             ;   in Loop: Header=BB6_1103 Depth=3
	v_ashrrev_i32_e32 v2, 31, v11
	v_lshrrev_b32_e32 v2, 26, v2
	v_add_u32_e32 v2, v11, v2
	v_and_b32_e32 v2, 0xffffffc0, v2
	v_sub_u32_e32 v2, v11, v2
	v_lshlrev_b32_e32 v3, 6, v12
	v_sub_u32_e32 v2, v2, v3
	v_ashrrev_i32_e32 v3, 31, v2
	v_lshrrev_b32_e32 v3, 26, v3
	v_add_u32_e32 v3, v2, v3
	v_and_b32_e32 v4, 0x7fffffc0, v3
	v_sub_u32_e32 v2, v2, v4
	v_lshlrev_b32_e32 v3, 1, v3
	v_and_b32_e32 v3, 0xffffff80, v3
	v_lshlrev_b32_e32 v2, 1, v2
	v_add3_u32 v0, v3, v2, v0
	v_sub_u32_e32 v8, v17, v0
	v_cmp_lt_i32_e32 vcc, 1, v8
	s_and_b64 exec, exec, vcc
	s_cbranch_execz .LBB6_1249
; %bb.1247:                             ;   in Loop: Header=BB6_1103 Depth=3
	s_trap 2
	ds_read_b64 v[2:3], v0
	v_add_u32_e32 v4, v0, v10
	v_ashrrev_i32_e32 v5, 31, v4
	s_mov_b64 s[30:31], 0
.LBB6_1248:                             ;   Parent Loop BB6_47 Depth=1
                                        ;     Parent Loop BB6_1100 Depth=2
                                        ;       Parent Loop BB6_1103 Depth=3
                                        ; =>      This Inner Loop Header: Depth=4
	s_waitcnt lgkmcnt(0)
	v_add_co_u32_e32 v10, vcc, v2, v4
	v_addc_co_u32_e32 v11, vcc, v3, v5, vcc
	flat_load_ushort v0, v[10:11] glc slc
	v_add_co_u32_e32 v4, vcc, v4, v59
	v_sub_u32_e32 v8, v8, v47
	v_addc_co_u32_e32 v5, vcc, v5, v26, vcc
	v_cmp_gt_i32_e32 vcc, 2, v8
	s_or_b64 s[30:31], vcc, s[30:31]
	s_waitcnt vmcnt(0) lgkmcnt(0)
	flat_store_short v[10:11], v0 glc slc
	s_andn2_b64 exec, exec, s[30:31]
	s_cbranch_execnz .LBB6_1248
.LBB6_1249:                             ;   in Loop: Header=BB6_1103 Depth=3
	s_or_b64 exec, exec, s[28:29]
	s_or_b64 exec, exec, s[26:27]
	s_and_saveexec_b64 s[26:27], s[10:11]
	s_cbranch_execnz .LBB6_1179
	s_branch .LBB6_1224
.LBB6_1250:                             ;   in Loop: Header=BB6_1103 Depth=3
	s_or_b64 exec, exec, s[58:59]
	s_and_saveexec_b64 vcc, s[60:61]
	s_xor_b64 vcc, exec, vcc
	s_cbranch_execz .LBB6_1252
; %bb.1251:                             ;   in Loop: Header=BB6_1103 Depth=3
	ds_write_b32 v0, v40
	s_trap 2
.LBB6_1252:                             ;   in Loop: Header=BB6_1103 Depth=3
	s_or_b64 exec, exec, s[34:35]
	;;#ASMSTART
	s_wakeup
	;;#ASMEND
.LBB6_1253:                             ;   in Loop: Header=BB6_1103 Depth=3
	s_or_b64 exec, exec, s[30:31]
.LBB6_1254:                             ;   in Loop: Header=BB6_1103 Depth=3
	s_andn2_saveexec_b64 s[28:29], s[28:29]
	s_cbranch_execz .LBB6_1256
; %bb.1255:                             ;   in Loop: Header=BB6_1103 Depth=3
	s_waitcnt vmcnt(0) lgkmcnt(0)
	buffer_wbinvl1_vol
	s_barrier
.LBB6_1256:                             ;   in Loop: Header=BB6_1103 Depth=3
	s_or_b64 exec, exec, s[28:29]
	s_or_b64 exec, exec, s[26:27]
                                        ; implicit-def: $vgpr2
	s_and_saveexec_b64 s[26:27], s[24:25]
	s_xor_b64 s[28:29], exec, s[26:27]
	s_cbranch_execnz .LBB6_1225
.LBB6_1257:                             ;   in Loop: Header=BB6_1103 Depth=3
	s_andn2_saveexec_b64 s[26:27], s[28:29]
	s_cbranch_execz .LBB6_1276
.LBB6_1258:                             ;   in Loop: Header=BB6_1103 Depth=3
	s_and_saveexec_b64 s[28:29], s[48:49]
	s_xor_b64 s[28:29], exec, s[28:29]
	s_cbranch_execz .LBB6_1273
; %bb.1259:                             ;   in Loop: Header=BB6_1103 Depth=3
	s_and_saveexec_b64 s[30:31], s[16:17]
	s_cbranch_execz .LBB6_1272
; %bb.1260:                             ;   in Loop: Header=BB6_1103 Depth=3
	s_mov_b64 s[58:59], exec
	v_mbcnt_lo_u32_b32 v0, s58, 0
	v_mbcnt_hi_u32_b32 v0, s59, v0
	v_cmp_eq_u32_e32 vcc, 0, v0
	;;#ASMSTART
	s_waitcnt lgkmcnt(0) vmcnt(0)
	;;#ASMEND
	s_and_saveexec_b64 s[34:35], vcc
	s_cbranch_execz .LBB6_1262
; %bb.1261:                             ;   in Loop: Header=BB6_1103 Depth=3
	s_bcnt1_i32_b64 vcc_lo, s[58:59]
	v_mov_b32_e32 v2, vcc_lo
	v_mov_b32_e32 v3, v52
	ds_add_u64 v0, v[2:3]
	s_trap 2
.LBB6_1262:                             ;   in Loop: Header=BB6_1103 Depth=3
	s_or_b64 exec, exec, s[34:35]
	s_trap 2
	ds_read_b64 v[2:3], v0
	v_add_co_u32_e32 v48, vcc, v48, v54
	v_addc_co_u32_e32 v49, vcc, 0, v49, vcc
	s_waitcnt lgkmcnt(0)
	v_cmp_lt_u64_e32 vcc, v[2:3], v[48:49]
	s_and_saveexec_b64 s[34:35], vcc
	s_cbranch_execz .LBB6_1271
; %bb.1263:                             ;   in Loop: Header=BB6_1103 Depth=3
	s_mov_b32 s69, 0
	s_mov_b64 s[58:59], 0
                                        ; implicit-def: $sgpr60_sgpr61
                                        ; implicit-def: $sgpr62_sgpr63
	s_branch .LBB6_1265
.LBB6_1264:                             ;   in Loop: Header=BB6_1265 Depth=4
	s_or_b64 exec, exec, s[66:67]
	s_and_b64 vcc, exec, vcc
	s_or_b64 s[58:59], vcc, s[58:59]
	s_andn2_b64 vcc, s[60:61], exec
	s_and_b64 s[60:61], s[62:63], exec
	s_or_b64 s[60:61], vcc, s[60:61]
	s_andn2_b64 exec, exec, s[58:59]
	s_cbranch_execz .LBB6_1269
.LBB6_1265:                             ;   Parent Loop BB6_47 Depth=1
                                        ;     Parent Loop BB6_1100 Depth=2
                                        ;       Parent Loop BB6_1103 Depth=3
                                        ; =>      This Inner Loop Header: Depth=4
	s_add_i32 s69, s69, 1
	s_cmpk_lg_i32 s69, 0x2710
	s_cselect_b64 s[64:65], -1, 0
	s_and_b64 vcc, exec, s[64:65]
                                        ; implicit-def: $sgpr66_sgpr67
	s_cbranch_vccnz .LBB6_1267
; %bb.1266:                             ;   in Loop: Header=BB6_1265 Depth=4
	s_trap 2
	ds_read_b64 v[2:3], v0
	s_andn2_b64 s[64:65], s[64:65], exec
	s_mov_b32 s69, 0
	s_mov_b64 s[66:67], -1
	s_waitcnt vmcnt(0) lgkmcnt(0)
	flat_load_dword v0, v[2:3] glc
	s_waitcnt vmcnt(0) lgkmcnt(0)
	buffer_invl2
	buffer_wbinvl1_vol
	v_cmp_eq_u32_e32 vcc, 0, v0
	s_and_b64 vcc, vcc, exec
	s_or_b64 s[64:65], s[64:65], vcc
.LBB6_1267:                             ;   in Loop: Header=BB6_1265 Depth=4
	s_andn2_b64 s[62:63], s[62:63], exec
	s_and_b64 s[66:67], s[66:67], exec
	s_mov_b64 vcc, -1
	s_or_b64 s[62:63], s[62:63], s[66:67]
	s_and_saveexec_b64 s[66:67], s[64:65]
	s_cbranch_execz .LBB6_1264
; %bb.1268:                             ;   in Loop: Header=BB6_1265 Depth=4
	s_sleep 1
	s_trap 2
	ds_read_b64 v[2:3], v0
	s_andn2_b64 s[62:63], s[62:63], exec
	s_waitcnt lgkmcnt(0)
	v_cmp_ge_u64_e32 vcc, v[2:3], v[48:49]
	s_orn2_b64 vcc, vcc, exec
	s_branch .LBB6_1264
.LBB6_1269:                             ;   in Loop: Header=BB6_1103 Depth=3
	s_or_b64 exec, exec, s[58:59]
	s_and_saveexec_b64 vcc, s[60:61]
	s_xor_b64 vcc, exec, vcc
	s_cbranch_execz .LBB6_1271
; %bb.1270:                             ;   in Loop: Header=BB6_1103 Depth=3
	ds_write_b32 v0, v40
	s_trap 2
.LBB6_1271:                             ;   in Loop: Header=BB6_1103 Depth=3
	s_or_b64 exec, exec, s[34:35]
	;;#ASMSTART
	s_wakeup
	;;#ASMEND
.LBB6_1272:                             ;   in Loop: Header=BB6_1103 Depth=3
	s_or_b64 exec, exec, s[30:31]
.LBB6_1273:                             ;   in Loop: Header=BB6_1103 Depth=3
	s_andn2_saveexec_b64 s[28:29], s[28:29]
	s_cbranch_execz .LBB6_1275
; %bb.1274:                             ;   in Loop: Header=BB6_1103 Depth=3
	;;#ASMSTART
	s_waitcnt lgkmcnt(0) vmcnt(0)
	;;#ASMEND
	s_barrier
.LBB6_1275:                             ;   in Loop: Header=BB6_1103 Depth=3
	s_or_b64 exec, exec, s[28:29]
	v_and_b32_e32 v2, 16, v62
.LBB6_1276:                             ;   in Loop: Header=BB6_1103 Depth=3
	s_or_b64 exec, exec, s[26:27]
	v_cmp_ne_u32_e32 vcc, 0, v2
	s_xor_b64 s[26:27], s[12:13], -1
	s_and_b64 s[28:29], vcc, s[26:27]
	s_and_saveexec_b64 s[26:27], s[28:29]
	s_cbranch_execz .LBB6_1278
; %bb.1277:                             ;   in Loop: Header=BB6_1103 Depth=3
	flat_store_dword v[44:45], v40
.LBB6_1278:                             ;   in Loop: Header=BB6_1103 Depth=3
	s_or_b64 exec, exec, s[26:27]
	v_and_b32_e32 v0, 48, v62
	v_cmp_ne_u32_e32 vcc, 0, v0
	s_and_saveexec_b64 s[26:27], vcc
	s_cbranch_execz .LBB6_1102
; %bb.1279:                             ;   in Loop: Header=BB6_1103 Depth=3
	v_add_co_u32_e32 v32, vcc, 2, v32
	v_addc_co_u32_e32 v33, vcc, 0, v33, vcc
	flat_store_dwordx2 v[34:35], v[32:33]
	s_branch .LBB6_1102
.LBB6_1280:                             ;   in Loop: Header=BB6_1100 Depth=2
	s_or_b64 exec, exec, s[36:37]
	v_cmp_gt_i32_e32 vcc, 2, v4
	s_and_saveexec_b64 s[28:29], vcc
	s_cbranch_execz .LBB6_1356
.LBB6_1281:                             ;   in Loop: Header=BB6_1100 Depth=2
	v_cmp_eq_u32_e64 s[26:27], 0, v4
	s_mov_b64 s[30:31], 0
	s_branch .LBB6_1283
.LBB6_1282:                             ;   in Loop: Header=BB6_1283 Depth=3
	s_or_b64 exec, exec, s[26:27]
	v_add_u32_e32 v16, v14, v16
	s_mov_b64 s[26:27], 0
	s_andn2_b64 exec, exec, s[30:31]
	s_cbranch_execz .LBB6_1357
.LBB6_1283:                             ;   Parent Loop BB6_47 Depth=1
                                        ;     Parent Loop BB6_1100 Depth=2
                                        ; =>    This Loop Header: Depth=3
                                        ;         Child Loop BB6_1289 Depth 4
                                        ;         Child Loop BB6_1321 Depth 4
	;; [unrolled: 1-line block ×3, first 2 shown]
	v_and_b32_e32 v0, 12, v62
	s_mov_b64 s[36:37], -1
	v_cmp_ne_u32_e32 vcc, 0, v0
	s_and_saveexec_b64 s[34:35], vcc
	s_cbranch_execz .LBB6_1295
; %bb.1284:                             ;   in Loop: Header=BB6_1283 Depth=3
	v_and_b32_e32 v2, 8, v62
	v_add_co_u32_e32 v8, vcc, v50, v2
	v_addc_co_u32_e32 v9, vcc, 0, v51, vcc
	v_add_co_u32_e32 v4, vcc, 2, v32
	v_addc_co_u32_e32 v5, vcc, 0, v33, vcc
	v_cmp_lt_u64_e32 vcc, v[8:9], v[4:5]
	v_mov_b32_e32 v0, 1
	s_and_saveexec_b64 s[36:37], vcc
	s_cbranch_execz .LBB6_1294
; %bb.1285:                             ;   in Loop: Header=BB6_1283 Depth=3
	s_mov_b64 s[38:39], 0
	v_mov_b32_e32 v3, 0
                                        ; implicit-def: $sgpr56_sgpr57
	s_branch .LBB6_1289
.LBB6_1286:                             ;   in Loop: Header=BB6_1289 Depth=4
	s_or_b64 exec, exec, s[64:65]
	v_mov_b32_e32 v0, 0
	s_orn2_b64 s[62:63], s[62:63], exec
.LBB6_1287:                             ;   in Loop: Header=BB6_1289 Depth=4
	s_or_b64 exec, exec, s[60:61]
	s_andn2_b64 vcc, s[56:57], exec
	s_and_b64 s[56:57], s[62:63], exec
	s_or_b64 s[56:57], vcc, s[56:57]
	v_mov_b32_e32 v3, v0
.LBB6_1288:                             ;   in Loop: Header=BB6_1289 Depth=4
	s_or_b64 exec, exec, s[58:59]
	s_waitcnt vmcnt(0) lgkmcnt(0)
	v_add_co_u32_e32 v8, vcc, v50, v2
	v_addc_co_u32_e32 v9, vcc, 0, v51, vcc
	v_cmp_ge_u64_e32 vcc, v[8:9], v[4:5]
	s_xor_b64 s[58:59], s[56:57], -1
	s_or_b64 vcc, s[58:59], vcc
	s_and_b64 vcc, exec, vcc
	s_or_b64 s[38:39], vcc, s[38:39]
	s_andn2_b64 exec, exec, s[38:39]
	s_cbranch_execz .LBB6_1293
.LBB6_1289:                             ;   Parent Loop BB6_47 Depth=1
                                        ;     Parent Loop BB6_1100 Depth=2
                                        ;       Parent Loop BB6_1283 Depth=3
                                        ; =>      This Inner Loop Header: Depth=4
	s_sleep 1
	flat_load_dwordx2 v[50:51], v[34:35] glc
	v_and_b32_e32 v0, 64, v62
	v_cmp_eq_u32_e32 vcc, 0, v0
	s_andn2_b64 s[56:57], s[56:57], exec
	s_and_saveexec_b64 s[58:59], vcc
	s_cbranch_execz .LBB6_1288
; %bb.1290:                             ;   in Loop: Header=BB6_1289 Depth=4
	v_add_u32_e32 v0, 1, v3
	v_cmp_lt_i32_e32 vcc, s85, v3
	s_mov_b64 s[62:63], -1
	s_and_saveexec_b64 s[60:61], vcc
	s_cbranch_execz .LBB6_1287
; %bb.1291:                             ;   in Loop: Header=BB6_1289 Depth=4
	s_trap 2
	ds_read_b64 v[8:9], v0
	s_waitcnt vmcnt(0) lgkmcnt(0)
	flat_load_dword v0, v[8:9] glc
	s_waitcnt vmcnt(0) lgkmcnt(0)
	buffer_invl2
	buffer_wbinvl1_vol
	v_cmp_ne_u32_e32 vcc, 0, v0
	s_and_saveexec_b64 s[64:65], vcc
	s_cbranch_execz .LBB6_1286
; %bb.1292:                             ;   in Loop: Header=BB6_1289 Depth=4
	v_or_b32_e32 v62, 64, v62
	s_xor_b64 s[62:63], exec, -1
	ds_write_b32 v0, v0
	s_trap 2
	s_branch .LBB6_1286
.LBB6_1293:                             ;   in Loop: Header=BB6_1283 Depth=3
	s_or_b64 exec, exec, s[38:39]
	v_and_b32_e32 v0, 12, v62
.LBB6_1294:                             ;   in Loop: Header=BB6_1283 Depth=3
	s_or_b64 exec, exec, s[36:37]
	v_cmp_eq_u32_e32 vcc, 0, v0
	s_orn2_b64 s[36:37], vcc, exec
	;;#ASMSTART
	s_wakeup
	;;#ASMEND
.LBB6_1295:                             ;   in Loop: Header=BB6_1283 Depth=3
	s_or_b64 exec, exec, s[34:35]
	s_xor_b64 s[26:27], s[26:27], -1
	s_and_b64 s[26:27], exec, s[26:27]
	s_or_b64 s[30:31], s[26:27], s[30:31]
	v_sub_u32_e32 v0, v20, v16
	s_xor_b64 s[26:27], s[36:37], -1
	v_min_i32_e32 v14, v14, v0
	s_and_saveexec_b64 s[34:35], s[26:27]
	s_cbranch_execz .LBB6_1313
; %bb.1296:                             ;   in Loop: Header=BB6_1283 Depth=3
	v_and_b32_e32 v0, 0x108, v62
	v_cmp_ne_u32_e32 vcc, s86, v0
	v_and_b32_e32 v2, 7, v32
	s_and_saveexec_b64 s[26:27], vcc
	s_xor_b64 s[26:27], exec, s[26:27]
                                        ; implicit-def: $vgpr4_vgpr5
; %bb.1297:                             ;   in Loop: Header=BB6_1283 Depth=3
	v_mov_b32_e32 v5, v52
; %bb.1298:                             ;   in Loop: Header=BB6_1283 Depth=3
	s_andn2_saveexec_b64 s[26:27], s[26:27]
	s_cbranch_execz .LBB6_1300
; %bb.1299:                             ;   in Loop: Header=BB6_1283 Depth=3
	v_ashrrev_i32_e32 v15, 31, v14
	v_mov_b32_e32 v5, v52
	v_mad_u64_u32 v[8:9], vcc, v2, 24, v[6:7]
	v_lshlrev_b64 v[10:11], 1, v[14:15]
	flat_store_dwordx2 v[8:9], v[10:11] offset:8
.LBB6_1300:                             ;   in Loop: Header=BB6_1283 Depth=3
	s_or_b64 exec, exec, s[26:27]
	v_and_b32_e32 v0, 0x100, v62
	v_cmp_ne_u32_e32 vcc, 0, v0
	s_mov_b64 s[26:27], -1
                                        ; implicit-def: $vgpr8_vgpr9
	s_and_saveexec_b64 s[36:37], vcc
	s_cbranch_execz .LBB6_1304
; %bb.1301:                             ;   in Loop: Header=BB6_1283 Depth=3
	v_mad_u64_u32 v[10:11], s[26:27], v2, 24, v[6:7]
	v_mov_b32_e32 v0, v11
	v_mad_u64_u32 v[8:9], s[26:27], v5, 24, v[0:1]
	v_mov_b32_e32 v11, v8
	flat_load_dword v0, v[10:11]
                                        ; implicit-def: $vgpr8_vgpr9
	s_waitcnt vmcnt(0) lgkmcnt(0)
	v_cmp_ne_u32_e32 vcc, 1, v0
	v_cmp_eq_u32_e64 s[26:27], 1, v0
	s_and_saveexec_b64 s[38:39], s[26:27]
	s_cbranch_execz .LBB6_1303
; %bb.1302:                             ;   in Loop: Header=BB6_1283 Depth=3
	flat_load_dword v8, v[10:11] offset:4 glc
	s_waitcnt vmcnt(0) lgkmcnt(0)
	v_ashrrev_i32_e32 v9, 31, v8
	v_lshrrev_b64 v[8:9], 1, v[8:9]
.LBB6_1303:                             ;   in Loop: Header=BB6_1283 Depth=3
	s_or_b64 exec, exec, s[38:39]
	s_orn2_b64 s[26:27], vcc, exec
.LBB6_1304:                             ;   in Loop: Header=BB6_1283 Depth=3
	s_or_b64 exec, exec, s[36:37]
	s_and_saveexec_b64 vcc, s[26:27]
; %bb.1305:                             ;   in Loop: Header=BB6_1283 Depth=3
	v_mul_lo_u32 v0, v5, v30
	v_mul_lo_u32 v3, v2, v41
	v_mad_u64_u32 v[8:9], s[26:27], v2, v30, 0
	v_add3_u32 v9, v9, v3, v0
; %bb.1306:                             ;   in Loop: Header=BB6_1283 Depth=3
	s_or_b64 exec, exec, vcc
	v_lshlrev_b64 v[2:3], 1, v[8:9]
	v_add_co_u32_e32 v2, vcc, v36, v2
	v_addc_co_u32_e32 v3, vcc, v37, v3, vcc
	s_trap 2
	ds_write_b64 v0, v[2:3]
	v_and_b32_e32 v0, 0x2000, v62
	v_cmp_ne_u32_e32 vcc, 0, v0
	s_and_saveexec_b64 s[26:27], vcc
	s_cbranch_execz .LBB6_1308
; %bb.1307:                             ;   in Loop: Header=BB6_1283 Depth=3
	ds_read_b64 v[2:3], v0 offset:584
	s_waitcnt lgkmcnt(0)
	v_add_co_u32_e32 v2, vcc, 1, v2
	v_addc_co_u32_e32 v3, vcc, 0, v3, vcc
	ds_write_b64 v0, v[2:3] offset:584
.LBB6_1308:                             ;   in Loop: Header=BB6_1283 Depth=3
	s_or_b64 exec, exec, s[26:27]
	v_add_co_u32_e32 v32, vcc, 2, v32
	v_addc_co_u32_e32 v33, vcc, 0, v33, vcc
	s_or_b64 exec, exec, s[34:35]
	s_and_saveexec_b64 s[26:27], s[10:11]
	s_cbranch_execnz .LBB6_1314
.LBB6_1309:                             ;   in Loop: Header=BB6_1283 Depth=3
	s_or_b64 exec, exec, s[26:27]
                                        ; implicit-def: $vgpr2
	s_and_saveexec_b64 s[26:27], s[24:25]
	s_xor_b64 s[26:27], exec, s[26:27]
	s_cbranch_execz .LBB6_1332
.LBB6_1310:                             ;   in Loop: Header=BB6_1283 Depth=3
	s_trap 2
	ds_read_b32 v0, v0
	v_cmp_lt_i32_e32 vcc, 0, v14
	v_and_b32_e32 v3, 16, v62
	v_and_b32_e32 v2, 16, v62
	s_waitcnt lgkmcnt(0)
	v_readfirstlane_b32 s34, v0
	s_cmp_eq_u32 s34, 0
	s_cselect_b64 s[34:35], -1, 0
	s_and_b64 s[34:35], vcc, s[34:35]
	v_cmp_ne_u32_e32 vcc, 0, v3
	s_and_b64 s[34:35], vcc, s[34:35]
	s_and_saveexec_b64 vcc, s[34:35]
	s_cbranch_execz .LBB6_1312
; %bb.1311:                             ;   in Loop: Header=BB6_1283 Depth=3
	v_mov_b32_e32 v2, 1
	s_waitcnt vmcnt(0)
	buffer_wbinvl1_vol
.LBB6_1312:                             ;   in Loop: Header=BB6_1283 Depth=3
	s_or_b64 exec, exec, vcc
	s_andn2_saveexec_b64 s[26:27], s[26:27]
	s_cbranch_execz .LBB6_1351
	s_branch .LBB6_1333
.LBB6_1313:                             ;   in Loop: Header=BB6_1283 Depth=3
	s_or_b64 exec, exec, s[34:35]
	s_and_saveexec_b64 s[26:27], s[10:11]
	s_cbranch_execz .LBB6_1309
.LBB6_1314:                             ;   in Loop: Header=BB6_1283 Depth=3
	s_and_saveexec_b64 vcc, s[48:49]
	s_xor_b64 s[34:35], exec, vcc
	s_cbranch_execz .LBB6_1329
; %bb.1315:                             ;   in Loop: Header=BB6_1283 Depth=3
	s_and_saveexec_b64 s[36:37], s[16:17]
	s_cbranch_execz .LBB6_1328
; %bb.1316:                             ;   in Loop: Header=BB6_1283 Depth=3
	s_mov_b64 s[56:57], exec
	v_mbcnt_lo_u32_b32 v0, s56, 0
	v_mbcnt_hi_u32_b32 v0, s57, v0
	v_cmp_eq_u32_e32 vcc, 0, v0
	s_waitcnt vmcnt(0) lgkmcnt(0)
	buffer_wbinvl1_vol
	s_and_saveexec_b64 s[38:39], vcc
	s_cbranch_execz .LBB6_1318
; %bb.1317:                             ;   in Loop: Header=BB6_1283 Depth=3
	s_bcnt1_i32_b64 vcc_lo, s[56:57]
	v_mov_b32_e32 v2, vcc_lo
	v_mov_b32_e32 v3, v52
	ds_add_u64 v0, v[2:3]
	s_trap 2
.LBB6_1318:                             ;   in Loop: Header=BB6_1283 Depth=3
	s_or_b64 exec, exec, s[38:39]
	s_trap 2
	ds_read_b64 v[2:3], v0
	v_add_co_u32_e32 v48, vcc, v48, v54
	v_addc_co_u32_e32 v49, vcc, 0, v49, vcc
	s_waitcnt lgkmcnt(0)
	v_cmp_lt_u64_e32 vcc, v[2:3], v[48:49]
	s_and_saveexec_b64 s[38:39], vcc
	s_cbranch_execz .LBB6_1327
; %bb.1319:                             ;   in Loop: Header=BB6_1283 Depth=3
	s_mov_b32 s66, 0
	s_mov_b64 s[56:57], 0
                                        ; implicit-def: $sgpr58_sgpr59
                                        ; implicit-def: $sgpr60_sgpr61
	s_branch .LBB6_1321
.LBB6_1320:                             ;   in Loop: Header=BB6_1321 Depth=4
	s_or_b64 exec, exec, s[64:65]
	s_and_b64 vcc, exec, vcc
	s_or_b64 s[56:57], vcc, s[56:57]
	s_andn2_b64 vcc, s[58:59], exec
	s_and_b64 s[58:59], s[60:61], exec
	s_or_b64 s[58:59], vcc, s[58:59]
	s_andn2_b64 exec, exec, s[56:57]
	s_cbranch_execz .LBB6_1325
.LBB6_1321:                             ;   Parent Loop BB6_47 Depth=1
                                        ;     Parent Loop BB6_1100 Depth=2
                                        ;       Parent Loop BB6_1283 Depth=3
                                        ; =>      This Inner Loop Header: Depth=4
	s_add_i32 s66, s66, 1
	s_cmpk_lg_i32 s66, 0x2710
	s_cselect_b64 s[62:63], -1, 0
	s_and_b64 vcc, exec, s[62:63]
                                        ; implicit-def: $sgpr64_sgpr65
	s_cbranch_vccnz .LBB6_1323
; %bb.1322:                             ;   in Loop: Header=BB6_1321 Depth=4
	s_trap 2
	ds_read_b64 v[2:3], v0
	s_andn2_b64 s[62:63], s[62:63], exec
	s_mov_b32 s66, 0
	s_mov_b64 s[64:65], -1
	s_waitcnt lgkmcnt(0)
	flat_load_dword v0, v[2:3] glc
	s_waitcnt vmcnt(0) lgkmcnt(0)
	buffer_invl2
	buffer_wbinvl1_vol
	v_cmp_eq_u32_e32 vcc, 0, v0
	s_and_b64 vcc, vcc, exec
	s_or_b64 s[62:63], s[62:63], vcc
.LBB6_1323:                             ;   in Loop: Header=BB6_1321 Depth=4
	s_andn2_b64 s[60:61], s[60:61], exec
	s_and_b64 s[64:65], s[64:65], exec
	s_mov_b64 vcc, -1
	s_or_b64 s[60:61], s[60:61], s[64:65]
	s_and_saveexec_b64 s[64:65], s[62:63]
	s_cbranch_execz .LBB6_1320
; %bb.1324:                             ;   in Loop: Header=BB6_1321 Depth=4
	s_sleep 1
	s_trap 2
	ds_read_b64 v[2:3], v0
	s_andn2_b64 s[60:61], s[60:61], exec
	s_waitcnt lgkmcnt(0)
	v_cmp_ge_u64_e32 vcc, v[2:3], v[48:49]
	s_orn2_b64 vcc, vcc, exec
	s_branch .LBB6_1320
.LBB6_1325:                             ;   in Loop: Header=BB6_1283 Depth=3
	s_or_b64 exec, exec, s[56:57]
	s_and_saveexec_b64 vcc, s[58:59]
	s_xor_b64 vcc, exec, vcc
	s_cbranch_execz .LBB6_1327
; %bb.1326:                             ;   in Loop: Header=BB6_1283 Depth=3
	ds_write_b32 v0, v40
	s_trap 2
.LBB6_1327:                             ;   in Loop: Header=BB6_1283 Depth=3
	s_or_b64 exec, exec, s[38:39]
	;;#ASMSTART
	s_wakeup
	;;#ASMEND
.LBB6_1328:                             ;   in Loop: Header=BB6_1283 Depth=3
	s_or_b64 exec, exec, s[36:37]
.LBB6_1329:                             ;   in Loop: Header=BB6_1283 Depth=3
	s_andn2_saveexec_b64 vcc, s[34:35]
	s_cbranch_execz .LBB6_1331
; %bb.1330:                             ;   in Loop: Header=BB6_1283 Depth=3
	s_waitcnt vmcnt(0) lgkmcnt(0)
	buffer_wbinvl1_vol
	s_barrier
.LBB6_1331:                             ;   in Loop: Header=BB6_1283 Depth=3
	s_or_b64 exec, exec, vcc
	s_or_b64 exec, exec, s[26:27]
                                        ; implicit-def: $vgpr2
	s_and_saveexec_b64 s[26:27], s[24:25]
	s_xor_b64 s[26:27], exec, s[26:27]
	s_cbranch_execnz .LBB6_1310
.LBB6_1332:                             ;   in Loop: Header=BB6_1283 Depth=3
	s_andn2_saveexec_b64 s[26:27], s[26:27]
	s_cbranch_execz .LBB6_1351
.LBB6_1333:                             ;   in Loop: Header=BB6_1283 Depth=3
	s_and_saveexec_b64 vcc, s[48:49]
	s_xor_b64 s[34:35], exec, vcc
	s_cbranch_execz .LBB6_1348
; %bb.1334:                             ;   in Loop: Header=BB6_1283 Depth=3
	s_and_saveexec_b64 s[36:37], s[16:17]
	s_cbranch_execz .LBB6_1347
; %bb.1335:                             ;   in Loop: Header=BB6_1283 Depth=3
	s_mov_b64 s[56:57], exec
	v_mbcnt_lo_u32_b32 v0, s56, 0
	v_mbcnt_hi_u32_b32 v0, s57, v0
	v_cmp_eq_u32_e32 vcc, 0, v0
	;;#ASMSTART
	s_waitcnt lgkmcnt(0) vmcnt(0)
	;;#ASMEND
	s_and_saveexec_b64 s[38:39], vcc
	s_cbranch_execz .LBB6_1337
; %bb.1336:                             ;   in Loop: Header=BB6_1283 Depth=3
	s_bcnt1_i32_b64 vcc_lo, s[56:57]
	v_mov_b32_e32 v2, vcc_lo
	v_mov_b32_e32 v3, v52
	ds_add_u64 v0, v[2:3]
	s_trap 2
.LBB6_1337:                             ;   in Loop: Header=BB6_1283 Depth=3
	s_or_b64 exec, exec, s[38:39]
	s_trap 2
	ds_read_b64 v[2:3], v0
	v_add_co_u32_e32 v48, vcc, v48, v54
	v_addc_co_u32_e32 v49, vcc, 0, v49, vcc
	s_waitcnt lgkmcnt(0)
	v_cmp_lt_u64_e32 vcc, v[2:3], v[48:49]
	s_and_saveexec_b64 s[38:39], vcc
	s_cbranch_execz .LBB6_1346
; %bb.1338:                             ;   in Loop: Header=BB6_1283 Depth=3
	s_mov_b32 s66, 0
	s_mov_b64 s[56:57], 0
                                        ; implicit-def: $sgpr58_sgpr59
                                        ; implicit-def: $sgpr60_sgpr61
	s_branch .LBB6_1340
.LBB6_1339:                             ;   in Loop: Header=BB6_1340 Depth=4
	s_or_b64 exec, exec, s[64:65]
	s_and_b64 vcc, exec, vcc
	s_or_b64 s[56:57], vcc, s[56:57]
	s_andn2_b64 vcc, s[58:59], exec
	s_and_b64 s[58:59], s[60:61], exec
	s_or_b64 s[58:59], vcc, s[58:59]
	s_andn2_b64 exec, exec, s[56:57]
	s_cbranch_execz .LBB6_1344
.LBB6_1340:                             ;   Parent Loop BB6_47 Depth=1
                                        ;     Parent Loop BB6_1100 Depth=2
                                        ;       Parent Loop BB6_1283 Depth=3
                                        ; =>      This Inner Loop Header: Depth=4
	s_add_i32 s66, s66, 1
	s_cmpk_lg_i32 s66, 0x2710
	s_cselect_b64 s[62:63], -1, 0
	s_and_b64 vcc, exec, s[62:63]
                                        ; implicit-def: $sgpr64_sgpr65
	s_cbranch_vccnz .LBB6_1342
; %bb.1341:                             ;   in Loop: Header=BB6_1340 Depth=4
	s_trap 2
	ds_read_b64 v[2:3], v0
	s_andn2_b64 s[62:63], s[62:63], exec
	s_mov_b32 s66, 0
	s_mov_b64 s[64:65], -1
	s_waitcnt vmcnt(0) lgkmcnt(0)
	flat_load_dword v0, v[2:3] glc
	s_waitcnt vmcnt(0) lgkmcnt(0)
	buffer_invl2
	buffer_wbinvl1_vol
	v_cmp_eq_u32_e32 vcc, 0, v0
	s_and_b64 vcc, vcc, exec
	s_or_b64 s[62:63], s[62:63], vcc
.LBB6_1342:                             ;   in Loop: Header=BB6_1340 Depth=4
	s_andn2_b64 s[60:61], s[60:61], exec
	s_and_b64 s[64:65], s[64:65], exec
	s_mov_b64 vcc, -1
	s_or_b64 s[60:61], s[60:61], s[64:65]
	s_and_saveexec_b64 s[64:65], s[62:63]
	s_cbranch_execz .LBB6_1339
; %bb.1343:                             ;   in Loop: Header=BB6_1340 Depth=4
	s_sleep 1
	s_trap 2
	ds_read_b64 v[2:3], v0
	s_andn2_b64 s[60:61], s[60:61], exec
	s_waitcnt lgkmcnt(0)
	v_cmp_ge_u64_e32 vcc, v[2:3], v[48:49]
	s_orn2_b64 vcc, vcc, exec
	s_branch .LBB6_1339
.LBB6_1344:                             ;   in Loop: Header=BB6_1283 Depth=3
	s_or_b64 exec, exec, s[56:57]
	s_and_saveexec_b64 vcc, s[58:59]
	s_xor_b64 vcc, exec, vcc
	s_cbranch_execz .LBB6_1346
; %bb.1345:                             ;   in Loop: Header=BB6_1283 Depth=3
	ds_write_b32 v0, v40
	s_trap 2
.LBB6_1346:                             ;   in Loop: Header=BB6_1283 Depth=3
	s_or_b64 exec, exec, s[38:39]
	;;#ASMSTART
	s_wakeup
	;;#ASMEND
.LBB6_1347:                             ;   in Loop: Header=BB6_1283 Depth=3
	s_or_b64 exec, exec, s[36:37]
.LBB6_1348:                             ;   in Loop: Header=BB6_1283 Depth=3
	s_andn2_saveexec_b64 vcc, s[34:35]
	s_cbranch_execz .LBB6_1350
; %bb.1349:                             ;   in Loop: Header=BB6_1283 Depth=3
	;;#ASMSTART
	s_waitcnt lgkmcnt(0) vmcnt(0)
	;;#ASMEND
	s_barrier
.LBB6_1350:                             ;   in Loop: Header=BB6_1283 Depth=3
	s_or_b64 exec, exec, vcc
	v_and_b32_e32 v2, 16, v62
.LBB6_1351:                             ;   in Loop: Header=BB6_1283 Depth=3
	s_or_b64 exec, exec, s[26:27]
	v_cmp_ne_u32_e32 vcc, 0, v2
	s_xor_b64 s[26:27], s[12:13], -1
	s_and_b64 vcc, vcc, s[26:27]
	s_and_saveexec_b64 s[26:27], vcc
	s_cbranch_execz .LBB6_1353
; %bb.1352:                             ;   in Loop: Header=BB6_1283 Depth=3
	flat_store_dword v[44:45], v40
.LBB6_1353:                             ;   in Loop: Header=BB6_1283 Depth=3
	s_or_b64 exec, exec, s[26:27]
	v_and_b32_e32 v0, 48, v62
	v_cmp_ne_u32_e32 vcc, 0, v0
	s_and_saveexec_b64 s[26:27], vcc
	s_cbranch_execz .LBB6_1282
; %bb.1354:                             ;   in Loop: Header=BB6_1283 Depth=3
	v_add_co_u32_e32 v32, vcc, 2, v32
	v_addc_co_u32_e32 v33, vcc, 0, v33, vcc
	flat_store_dwordx2 v[34:35], v[32:33]
	s_branch .LBB6_1282
.LBB6_1355:                             ;   in Loop: Header=BB6_1100 Depth=2
	s_or_b64 exec, exec, s[38:39]
	s_or_b64 exec, exec, s[36:37]
	v_cmp_gt_i32_e32 vcc, 2, v4
	s_and_saveexec_b64 s[28:29], vcc
	s_cbranch_execnz .LBB6_1281
.LBB6_1356:                             ;   in Loop: Header=BB6_1100 Depth=2
	s_or_b64 exec, exec, s[28:29]
	s_add_i32 s26, s46, 1
	s_cmp_eq_u32 s46, s84
	s_cbranch_scc0 .LBB6_1358
	s_branch .LBB6_1359
.LBB6_1357:                             ;   in Loop: Header=BB6_1100 Depth=2
	s_or_b64 exec, exec, s[30:31]
	s_or_b64 exec, exec, s[28:29]
	s_add_i32 s26, s46, 1
	s_cmp_eq_u32 s46, s84
	s_cbranch_scc1 .LBB6_1359
.LBB6_1358:                             ;   in Loop: Header=BB6_1100 Depth=2
	s_mov_b32 s46, s26
	s_branch .LBB6_1100
.LBB6_1359:                             ;   in Loop: Header=BB6_47 Depth=1
	v_accvgpr_read_b32 v8, a26
	v_accvgpr_read_b32 v9, a27
	v_mul_lo_u32 v0, v9, s82
	v_mul_lo_u32 v2, v8, s83
	v_mad_u64_u32 v[4:5], s[26:27], v8, s82, 0
	v_add3_u32 v5, v5, v2, v0
	v_accvgpr_read_b32 v2, a28
	v_accvgpr_read_b32 v3, a29
	v_sub_co_u32_e32 v2, vcc, v2, v4
	v_subb_co_u32_e32 v3, vcc, v3, v5, vcc
	v_cmp_lt_i64_e32 vcc, v[8:9], v[2:3]
	v_cndmask_b32_e32 v0, v2, v8, vcc
	v_max_i32_e32 v14, 0, v0
	v_add_u32_e32 v2, 31, v14
	v_lshrrev_b32_e32 v2, 1, v2
	v_accvgpr_read_b32 v22, a24
	v_and_b32_e32 v2, 0x3ffffff0, v2
	v_cmp_lt_i32_e32 vcc, 0, v0
	v_accvgpr_read_b32 v23, a25
	v_max_i32_e32 v15, s81, v2
	s_and_b64 s[26:27], s[54:55], vcc
	v_mov_b32_e32 v3, 0
	v_mov_b32_e32 v2, 0
	s_and_saveexec_b64 s[28:29], s[26:27]
	s_cbranch_execz .LBB6_1499
; %bb.1360:                             ;   in Loop: Header=BB6_47 Depth=1
	v_accvgpr_read_b32 v2, a30
	v_accvgpr_read_b32 v3, a31
	v_add_co_u32_e32 v4, vcc, v4, v2
	v_addc_co_u32_e32 v5, vcc, v5, v3, vcc
	s_mov_b32 s46, 1
	s_mov_b64 s[34:35], -1
	s_mov_b64 s[30:31], 0
	v_mov_b32_e32 v2, 0
	v_lshlrev_b64 v[8:9], 1, v[4:5]
	s_branch .LBB6_1362
.LBB6_1361:                             ;   in Loop: Header=BB6_1362 Depth=2
	s_or_b64 exec, exec, s[26:27]
	v_add_u32_e32 v2, v15, v2
	v_cmp_ge_i32_e32 vcc, v2, v14
	s_xor_b64 s[26:27], s[34:35], -1
	s_or_b64 s[26:27], s[26:27], vcc
	s_and_b64 s[26:27], exec, s[26:27]
	s_or_b64 s[30:31], s[26:27], s[30:31]
	s_mov_b64 s[34:35], 0
	v_mov_b32_e32 v3, s46
	s_mov_b32 s46, 2
	s_andn2_b64 exec, exec, s[30:31]
	s_cbranch_execz .LBB6_1498
.LBB6_1362:                             ;   Parent Loop BB6_47 Depth=1
                                        ; =>  This Loop Header: Depth=2
                                        ;       Child Loop BB6_1370 Depth 3
                                        ;       Child Loop BB6_1394 Depth 3
	;; [unrolled: 1-line block ×9, first 2 shown]
	s_and_saveexec_b64 s[26:27], s[4:5]
	s_cbranch_execz .LBB6_1364
; %bb.1363:                             ;   in Loop: Header=BB6_1362 Depth=2
	s_trap 2
	ds_read_b128 v[10:13], v0
	v_ashrrev_i32_e32 v3, 31, v2
	v_lshlrev_b64 v[4:5], 1, v[2:3]
	s_waitcnt lgkmcnt(0)
	v_add_co_u32_e32 v0, vcc, v10, v8
	v_addc_co_u32_e32 v11, vcc, v11, v9, vcc
	v_add_co_u32_e32 v10, vcc, v0, v4
	v_addc_co_u32_e32 v11, vcc, v11, v5, vcc
	ds_write_b64 v0, v[10:11]
	v_add_co_u32_e32 v0, vcc, v12, v8
	v_addc_co_u32_e32 v3, vcc, v13, v9, vcc
	v_add_co_u32_e32 v0, vcc, v0, v4
	v_addc_co_u32_e32 v3, vcc, v3, v5, vcc
	v_cmp_ne_u64_e32 vcc, 0, v[12:13]
	v_cndmask_b32_e32 v5, 0, v3, vcc
	v_cndmask_b32_e32 v4, 0, v0, vcc
	ds_write_b64 v0, v[4:5]
.LBB6_1364:                             ;   in Loop: Header=BB6_1362 Depth=2
	s_or_b64 exec, exec, s[26:27]
	v_and_b32_e32 v0, 4, v62
	v_cmp_ne_u32_e32 vcc, 0, v0
	s_mov_b64 s[36:37], -1
	s_and_saveexec_b64 s[26:27], vcc
	s_cbranch_execz .LBB6_1374
; %bb.1365:                             ;   in Loop: Header=BB6_1362 Depth=2
	v_add_co_u32_e32 v4, vcc, 2, v32
	v_addc_co_u32_e32 v5, vcc, 0, v33, vcc
	v_cmp_lt_u64_e32 vcc, v[50:51], v[4:5]
	v_mov_b32_e32 v0, 1
	s_and_saveexec_b64 s[36:37], vcc
	s_cbranch_execz .LBB6_1385
; %bb.1366:                             ;   in Loop: Header=BB6_1362 Depth=2
	s_mov_b64 s[38:39], 0
	v_mov_b32_e32 v3, 0
                                        ; implicit-def: $sgpr56_sgpr57
	s_branch .LBB6_1370
.LBB6_1367:                             ;   in Loop: Header=BB6_1370 Depth=3
	s_or_b64 exec, exec, s[64:65]
	v_mov_b32_e32 v0, 0
	s_orn2_b64 s[62:63], s[62:63], exec
.LBB6_1368:                             ;   in Loop: Header=BB6_1370 Depth=3
	s_or_b64 exec, exec, s[60:61]
	s_andn2_b64 vcc, s[56:57], exec
	s_and_b64 s[56:57], s[62:63], exec
	s_or_b64 s[56:57], vcc, s[56:57]
	v_mov_b32_e32 v3, v0
.LBB6_1369:                             ;   in Loop: Header=BB6_1370 Depth=3
	s_or_b64 exec, exec, s[58:59]
	s_waitcnt vmcnt(0) lgkmcnt(0)
	v_cmp_ge_u64_e32 vcc, v[50:51], v[4:5]
	s_xor_b64 s[58:59], s[56:57], -1
	s_or_b64 vcc, s[58:59], vcc
	s_and_b64 vcc, exec, vcc
	s_or_b64 s[38:39], vcc, s[38:39]
	s_andn2_b64 exec, exec, s[38:39]
	s_cbranch_execz .LBB6_1384
.LBB6_1370:                             ;   Parent Loop BB6_47 Depth=1
                                        ;     Parent Loop BB6_1362 Depth=2
                                        ; =>    This Inner Loop Header: Depth=3
	s_sleep 1
	flat_load_dwordx2 v[50:51], v[34:35] glc
	v_and_b32_e32 v0, 64, v62
	v_cmp_eq_u32_e32 vcc, 0, v0
	s_andn2_b64 s[56:57], s[56:57], exec
	s_and_saveexec_b64 s[58:59], vcc
	s_cbranch_execz .LBB6_1369
; %bb.1371:                             ;   in Loop: Header=BB6_1370 Depth=3
	v_add_u32_e32 v0, 1, v3
	v_cmp_lt_i32_e32 vcc, s85, v3
	s_mov_b64 s[62:63], -1
	s_and_saveexec_b64 s[60:61], vcc
	s_cbranch_execz .LBB6_1368
; %bb.1372:                             ;   in Loop: Header=BB6_1370 Depth=3
	s_trap 2
	ds_read_b64 v[10:11], v0
	s_waitcnt vmcnt(0) lgkmcnt(0)
	flat_load_dword v0, v[10:11] glc
	s_waitcnt vmcnt(0) lgkmcnt(0)
	buffer_invl2
	buffer_wbinvl1_vol
	v_cmp_ne_u32_e32 vcc, 0, v0
	s_and_saveexec_b64 s[64:65], vcc
	s_cbranch_execz .LBB6_1367
; %bb.1373:                             ;   in Loop: Header=BB6_1370 Depth=3
	v_or_b32_e32 v62, 64, v62
	s_xor_b64 s[62:63], exec, -1
	ds_write_b32 v0, v0
	s_trap 2
	s_branch .LBB6_1367
.LBB6_1374:                             ;   in Loop: Header=BB6_1362 Depth=2
	s_or_b64 exec, exec, s[26:27]
	s_xor_b64 s[26:27], s[36:37], -1
	s_and_saveexec_b64 s[36:37], s[26:27]
	s_cbranch_execz .LBB6_1386
.LBB6_1375:                             ;   in Loop: Header=BB6_1362 Depth=2
	v_and_b32_e32 v0, 0x100, v62
	v_cmp_ne_u32_e32 vcc, 0, v0
	v_and_b32_e32 v3, 7, v32
	s_mov_b64 s[26:27], -1
                                        ; implicit-def: $vgpr4_vgpr5
	s_and_saveexec_b64 s[38:39], vcc
	s_cbranch_execz .LBB6_1379
; %bb.1376:                             ;   in Loop: Header=BB6_1362 Depth=2
	v_mad_u64_u32 v[10:11], s[26:27], v3, 24, v[6:7]
	flat_load_dword v0, v[10:11]
                                        ; implicit-def: $vgpr4_vgpr5
	s_waitcnt vmcnt(0) lgkmcnt(0)
	v_cmp_ne_u32_e32 vcc, 1, v0
	v_cmp_eq_u32_e64 s[26:27], 1, v0
	s_and_saveexec_b64 s[56:57], s[26:27]
	s_cbranch_execz .LBB6_1378
; %bb.1377:                             ;   in Loop: Header=BB6_1362 Depth=2
	flat_load_dword v4, v[10:11] offset:4 glc
	s_waitcnt vmcnt(0) lgkmcnt(0)
	v_ashrrev_i32_e32 v5, 31, v4
	v_lshrrev_b64 v[4:5], 1, v[4:5]
.LBB6_1378:                             ;   in Loop: Header=BB6_1362 Depth=2
	s_or_b64 exec, exec, s[56:57]
	s_orn2_b64 s[26:27], vcc, exec
.LBB6_1379:                             ;   in Loop: Header=BB6_1362 Depth=2
	s_or_b64 exec, exec, s[38:39]
	s_and_saveexec_b64 vcc, s[26:27]
; %bb.1380:                             ;   in Loop: Header=BB6_1362 Depth=2
	v_mad_i64_i32 v[4:5], s[26:27], v3, v30, 0
; %bb.1381:                             ;   in Loop: Header=BB6_1362 Depth=2
	s_or_b64 exec, exec, vcc
	v_lshlrev_b64 v[4:5], 1, v[4:5]
	v_add_co_u32_e32 v4, vcc, v36, v4
	v_addc_co_u32_e32 v5, vcc, v37, v5, vcc
	ds_write_b64 v0, v[4:5] offset:720
	v_and_b32_e32 v0, 0x2000, v62
	v_cmp_ne_u32_e32 vcc, 0, v0
	s_and_saveexec_b64 s[26:27], vcc
	s_cbranch_execz .LBB6_1383
; %bb.1382:                             ;   in Loop: Header=BB6_1362 Depth=2
	ds_read_b64 v[4:5], v0 offset:584
	s_waitcnt lgkmcnt(0)
	v_add_co_u32_e32 v4, vcc, 1, v4
	v_addc_co_u32_e32 v5, vcc, 0, v5, vcc
	ds_write_b64 v0, v[4:5] offset:584
.LBB6_1383:                             ;   in Loop: Header=BB6_1362 Depth=2
	s_or_b64 exec, exec, s[26:27]
	v_add_co_u32_e32 v32, vcc, 2, v32
	v_addc_co_u32_e32 v33, vcc, 0, v33, vcc
	s_or_b64 exec, exec, s[36:37]
	s_and_saveexec_b64 s[26:27], s[10:11]
	s_cbranch_execz .LBB6_1405
	s_branch .LBB6_1387
.LBB6_1384:                             ;   in Loop: Header=BB6_1362 Depth=2
	s_or_b64 exec, exec, s[38:39]
	v_and_b32_e32 v0, 4, v62
.LBB6_1385:                             ;   in Loop: Header=BB6_1362 Depth=2
	s_or_b64 exec, exec, s[36:37]
	v_cmp_eq_u32_e32 vcc, 0, v0
	s_orn2_b64 s[36:37], vcc, exec
	;;#ASMSTART
	s_wakeup
	;;#ASMEND
	s_or_b64 exec, exec, s[26:27]
	s_xor_b64 s[26:27], s[36:37], -1
	s_and_saveexec_b64 s[36:37], s[26:27]
	s_cbranch_execnz .LBB6_1375
.LBB6_1386:                             ;   in Loop: Header=BB6_1362 Depth=2
	s_or_b64 exec, exec, s[36:37]
	s_and_saveexec_b64 s[26:27], s[10:11]
	s_cbranch_execz .LBB6_1405
.LBB6_1387:                             ;   in Loop: Header=BB6_1362 Depth=2
	s_and_saveexec_b64 vcc, s[48:49]
	s_xor_b64 s[36:37], exec, vcc
	s_cbranch_execz .LBB6_1402
; %bb.1388:                             ;   in Loop: Header=BB6_1362 Depth=2
	s_and_saveexec_b64 s[38:39], s[16:17]
	s_cbranch_execz .LBB6_1401
; %bb.1389:                             ;   in Loop: Header=BB6_1362 Depth=2
	s_mov_b64 s[58:59], exec
	v_mbcnt_lo_u32_b32 v0, s58, 0
	v_mbcnt_hi_u32_b32 v0, s59, v0
	v_cmp_eq_u32_e32 vcc, 0, v0
	s_waitcnt vmcnt(0) lgkmcnt(0)
	buffer_wbinvl1_vol
	s_and_saveexec_b64 s[56:57], vcc
	s_cbranch_execz .LBB6_1391
; %bb.1390:                             ;   in Loop: Header=BB6_1362 Depth=2
	s_bcnt1_i32_b64 vcc_lo, s[58:59]
	v_mov_b32_e32 v4, vcc_lo
	v_mov_b32_e32 v5, v52
	ds_add_u64 v0, v[4:5]
	s_trap 2
.LBB6_1391:                             ;   in Loop: Header=BB6_1362 Depth=2
	s_or_b64 exec, exec, s[56:57]
	s_trap 2
	ds_read_b64 v[4:5], v0
	v_add_co_u32_e32 v48, vcc, v48, v54
	v_addc_co_u32_e32 v49, vcc, 0, v49, vcc
	s_waitcnt lgkmcnt(0)
	v_cmp_lt_u64_e32 vcc, v[4:5], v[48:49]
	s_and_saveexec_b64 s[56:57], vcc
	s_cbranch_execz .LBB6_1400
; %bb.1392:                             ;   in Loop: Header=BB6_1362 Depth=2
	s_mov_b32 s68, 0
	s_mov_b64 s[58:59], 0
                                        ; implicit-def: $sgpr60_sgpr61
                                        ; implicit-def: $sgpr62_sgpr63
	s_branch .LBB6_1394
.LBB6_1393:                             ;   in Loop: Header=BB6_1394 Depth=3
	s_or_b64 exec, exec, s[66:67]
	s_and_b64 vcc, exec, vcc
	s_or_b64 s[58:59], vcc, s[58:59]
	s_andn2_b64 vcc, s[60:61], exec
	s_and_b64 s[60:61], s[62:63], exec
	s_or_b64 s[60:61], vcc, s[60:61]
	s_andn2_b64 exec, exec, s[58:59]
	s_cbranch_execz .LBB6_1398
.LBB6_1394:                             ;   Parent Loop BB6_47 Depth=1
                                        ;     Parent Loop BB6_1362 Depth=2
                                        ; =>    This Inner Loop Header: Depth=3
	s_add_i32 s68, s68, 1
	s_cmpk_lg_i32 s68, 0x2710
	s_cselect_b64 s[64:65], -1, 0
	s_and_b64 vcc, exec, s[64:65]
                                        ; implicit-def: $sgpr66_sgpr67
	s_cbranch_vccnz .LBB6_1396
; %bb.1395:                             ;   in Loop: Header=BB6_1394 Depth=3
	s_trap 2
	ds_read_b64 v[4:5], v0
	s_andn2_b64 s[64:65], s[64:65], exec
	s_mov_b32 s68, 0
	s_mov_b64 s[66:67], -1
	s_waitcnt lgkmcnt(0)
	flat_load_dword v0, v[4:5] glc
	s_waitcnt vmcnt(0) lgkmcnt(0)
	buffer_invl2
	buffer_wbinvl1_vol
	v_cmp_eq_u32_e32 vcc, 0, v0
	s_and_b64 vcc, vcc, exec
	s_or_b64 s[64:65], s[64:65], vcc
.LBB6_1396:                             ;   in Loop: Header=BB6_1394 Depth=3
	s_andn2_b64 s[62:63], s[62:63], exec
	s_and_b64 s[66:67], s[66:67], exec
	s_mov_b64 vcc, -1
	s_or_b64 s[62:63], s[62:63], s[66:67]
	s_and_saveexec_b64 s[66:67], s[64:65]
	s_cbranch_execz .LBB6_1393
; %bb.1397:                             ;   in Loop: Header=BB6_1394 Depth=3
	s_sleep 1
	s_trap 2
	ds_read_b64 v[4:5], v0
	s_andn2_b64 s[62:63], s[62:63], exec
	s_waitcnt lgkmcnt(0)
	v_cmp_ge_u64_e32 vcc, v[4:5], v[48:49]
	s_orn2_b64 vcc, vcc, exec
	s_branch .LBB6_1393
.LBB6_1398:                             ;   in Loop: Header=BB6_1362 Depth=2
	s_or_b64 exec, exec, s[58:59]
	s_and_saveexec_b64 vcc, s[60:61]
	s_xor_b64 vcc, exec, vcc
	s_cbranch_execz .LBB6_1400
; %bb.1399:                             ;   in Loop: Header=BB6_1362 Depth=2
	ds_write_b32 v0, v40
	s_trap 2
.LBB6_1400:                             ;   in Loop: Header=BB6_1362 Depth=2
	s_or_b64 exec, exec, s[56:57]
	;;#ASMSTART
	s_wakeup
	;;#ASMEND
.LBB6_1401:                             ;   in Loop: Header=BB6_1362 Depth=2
	s_or_b64 exec, exec, s[38:39]
.LBB6_1402:                             ;   in Loop: Header=BB6_1362 Depth=2
	s_andn2_saveexec_b64 vcc, s[36:37]
	s_cbranch_execz .LBB6_1404
; %bb.1403:                             ;   in Loop: Header=BB6_1362 Depth=2
	s_waitcnt vmcnt(0) lgkmcnt(0)
	buffer_wbinvl1_vol
	s_barrier
.LBB6_1404:                             ;   in Loop: Header=BB6_1362 Depth=2
	s_or_b64 exec, exec, vcc
.LBB6_1405:                             ;   in Loop: Header=BB6_1362 Depth=2
	s_or_b64 exec, exec, s[26:27]
	s_trap 2
	ds_read_b32 v3, v0
	v_and_b32_e32 v0, 0x4000, v62
	v_cmp_ne_u32_e32 vcc, 0, v0
	s_xor_b64 s[26:27], s[6:7], -1
	s_and_b64 vcc, s[26:27], vcc
	s_and_saveexec_b64 s[26:27], vcc
	s_cbranch_execz .LBB6_1424
; %bb.1406:                             ;   in Loop: Header=BB6_1362 Depth=2
	s_and_saveexec_b64 vcc, s[48:49]
	s_xor_b64 s[36:37], exec, vcc
	s_cbranch_execz .LBB6_1421
; %bb.1407:                             ;   in Loop: Header=BB6_1362 Depth=2
	s_and_saveexec_b64 s[38:39], s[16:17]
	s_cbranch_execz .LBB6_1420
; %bb.1408:                             ;   in Loop: Header=BB6_1362 Depth=2
	s_mov_b64 s[58:59], exec
	v_mbcnt_lo_u32_b32 v0, s58, 0
	v_mbcnt_hi_u32_b32 v0, s59, v0
	v_cmp_eq_u32_e32 vcc, 0, v0
	s_waitcnt vmcnt(0) lgkmcnt(0)
	buffer_wbinvl1_vol
	s_and_saveexec_b64 s[56:57], vcc
	s_cbranch_execz .LBB6_1410
; %bb.1409:                             ;   in Loop: Header=BB6_1362 Depth=2
	s_bcnt1_i32_b64 vcc_lo, s[58:59]
	v_mov_b32_e32 v4, vcc_lo
	v_mov_b32_e32 v5, v52
	ds_add_u64 v0, v[4:5]
	s_trap 2
.LBB6_1410:                             ;   in Loop: Header=BB6_1362 Depth=2
	s_or_b64 exec, exec, s[56:57]
	s_trap 2
	ds_read_b64 v[4:5], v0
	v_add_co_u32_e32 v48, vcc, v48, v54
	v_addc_co_u32_e32 v49, vcc, 0, v49, vcc
	s_waitcnt lgkmcnt(0)
	v_cmp_lt_u64_e32 vcc, v[4:5], v[48:49]
	s_and_saveexec_b64 s[56:57], vcc
	s_cbranch_execz .LBB6_1419
; %bb.1411:                             ;   in Loop: Header=BB6_1362 Depth=2
	s_mov_b32 s68, 0
	s_mov_b64 s[58:59], 0
                                        ; implicit-def: $sgpr60_sgpr61
                                        ; implicit-def: $sgpr62_sgpr63
	s_branch .LBB6_1413
.LBB6_1412:                             ;   in Loop: Header=BB6_1413 Depth=3
	s_or_b64 exec, exec, s[66:67]
	s_and_b64 vcc, exec, vcc
	s_or_b64 s[58:59], vcc, s[58:59]
	s_andn2_b64 vcc, s[60:61], exec
	s_and_b64 s[60:61], s[62:63], exec
	s_or_b64 s[60:61], vcc, s[60:61]
	s_andn2_b64 exec, exec, s[58:59]
	s_cbranch_execz .LBB6_1417
.LBB6_1413:                             ;   Parent Loop BB6_47 Depth=1
                                        ;     Parent Loop BB6_1362 Depth=2
                                        ; =>    This Inner Loop Header: Depth=3
	s_add_i32 s68, s68, 1
	s_cmpk_lg_i32 s68, 0x2710
	s_cselect_b64 s[64:65], -1, 0
	s_and_b64 vcc, exec, s[64:65]
                                        ; implicit-def: $sgpr66_sgpr67
	s_cbranch_vccnz .LBB6_1415
; %bb.1414:                             ;   in Loop: Header=BB6_1413 Depth=3
	s_trap 2
	ds_read_b64 v[4:5], v0
	s_andn2_b64 s[64:65], s[64:65], exec
	s_mov_b32 s68, 0
	s_mov_b64 s[66:67], -1
	s_waitcnt lgkmcnt(0)
	flat_load_dword v0, v[4:5] glc
	s_waitcnt vmcnt(0) lgkmcnt(0)
	buffer_invl2
	buffer_wbinvl1_vol
	v_cmp_eq_u32_e32 vcc, 0, v0
	s_and_b64 vcc, vcc, exec
	s_or_b64 s[64:65], s[64:65], vcc
.LBB6_1415:                             ;   in Loop: Header=BB6_1413 Depth=3
	s_andn2_b64 s[62:63], s[62:63], exec
	s_and_b64 s[66:67], s[66:67], exec
	s_mov_b64 vcc, -1
	s_or_b64 s[62:63], s[62:63], s[66:67]
	s_and_saveexec_b64 s[66:67], s[64:65]
	s_cbranch_execz .LBB6_1412
; %bb.1416:                             ;   in Loop: Header=BB6_1413 Depth=3
	s_sleep 1
	s_trap 2
	ds_read_b64 v[4:5], v0
	s_andn2_b64 s[62:63], s[62:63], exec
	s_waitcnt lgkmcnt(0)
	v_cmp_ge_u64_e32 vcc, v[4:5], v[48:49]
	s_orn2_b64 vcc, vcc, exec
	s_branch .LBB6_1412
.LBB6_1417:                             ;   in Loop: Header=BB6_1362 Depth=2
	s_or_b64 exec, exec, s[58:59]
	s_and_saveexec_b64 vcc, s[60:61]
	s_xor_b64 vcc, exec, vcc
	s_cbranch_execz .LBB6_1419
; %bb.1418:                             ;   in Loop: Header=BB6_1362 Depth=2
	ds_write_b32 v0, v40
	s_trap 2
.LBB6_1419:                             ;   in Loop: Header=BB6_1362 Depth=2
	s_or_b64 exec, exec, s[56:57]
	;;#ASMSTART
	s_wakeup
	;;#ASMEND
.LBB6_1420:                             ;   in Loop: Header=BB6_1362 Depth=2
	s_or_b64 exec, exec, s[38:39]
.LBB6_1421:                             ;   in Loop: Header=BB6_1362 Depth=2
	s_andn2_saveexec_b64 vcc, s[36:37]
	s_cbranch_execz .LBB6_1423
; %bb.1422:                             ;   in Loop: Header=BB6_1362 Depth=2
	s_waitcnt vmcnt(0) lgkmcnt(0)
	buffer_wbinvl1_vol
	s_barrier
.LBB6_1423:                             ;   in Loop: Header=BB6_1362 Depth=2
	s_or_b64 exec, exec, vcc
.LBB6_1424:                             ;   in Loop: Header=BB6_1362 Depth=2
	s_or_b64 exec, exec, s[26:27]
	s_trap 2
	ds_read_b64 v[4:5], v0
	v_sub_u32_e32 v0, v14, v2
	v_min_i32_e32 v15, v15, v0
	v_mov_b32_e32 v16, 0
	s_waitcnt lgkmcnt(0)
	v_readfirstlane_b32 s26, v4
	v_readfirstlane_b32 s27, v5
	s_cmp_eq_u64 s[26:27], 0
	s_cselect_b64 s[26:27], -1, 0
	s_or_b64 s[26:27], s[26:27], s[26:27]
	s_and_b64 vcc, exec, s[26:27]
	s_cbranch_vccnz .LBB6_1440
; %bb.1425:                             ;   in Loop: Header=BB6_1362 Depth=2
	s_mov_b64 s[26:27], -1
	s_and_saveexec_b64 s[36:37], s[20:21]
	s_cbranch_execz .LBB6_1427
; %bb.1426:                             ;   in Loop: Header=BB6_1362 Depth=2
	ds_read_b32 v0, v0 offset:720
	s_waitcnt lgkmcnt(0)
	v_and_b32_e32 v0, 15, v0
	v_cmp_eq_u32_e32 vcc, 0, v0
	s_orn2_b64 s[26:27], vcc, exec
.LBB6_1427:                             ;   in Loop: Header=BB6_1362 Depth=2
	s_or_b64 exec, exec, s[36:37]
	s_and_saveexec_b64 s[36:37], s[18:19]
	s_cbranch_execz .LBB6_1429
; %bb.1428:                             ;   in Loop: Header=BB6_1362 Depth=2
	ds_read_b32 v0, v0 offset:784
	s_waitcnt lgkmcnt(0)
	v_and_b32_e32 v0, 15, v0
	v_cmp_eq_u32_e32 vcc, 0, v0
	s_and_b64 vcc, s[26:27], vcc
	s_andn2_b64 s[26:27], s[26:27], exec
	s_and_b64 vcc, vcc, exec
	s_or_b64 s[26:27], s[26:27], vcc
.LBB6_1429:                             ;   in Loop: Header=BB6_1362 Depth=2
	s_or_b64 exec, exec, s[36:37]
	v_cmp_eq_u32_e32 vcc, 0, v3
	s_xor_b64 s[26:27], s[26:27], -1
	v_cndmask_b32_e32 v16, 0, v15, vcc
	v_cndmask_b32_e64 v0, 0, 1, s[26:27]
	v_mov_b32_e32 v11, 0
	v_lshlrev_b32_e32 v17, 1, v16
	s_mov_b64 s[38:39], -1
	;;#ASMSTART
	;;#ASMEND
	v_cmp_ne_u32_e32 vcc, 0, v0
	s_cbranch_vccz .LBB6_1452
; %bb.1430:                             ;   in Loop: Header=BB6_1362 Depth=2
	v_mov_b32_e32 v18, v56
	v_mov_b32_e32 v3, v57
	s_and_saveexec_b64 s[26:27], s[38:39]
	s_cbranch_execz .LBB6_1465
.LBB6_1431:                             ;   in Loop: Header=BB6_1362 Depth=2
	v_ashrrev_i32_e32 v0, 31, v17
	v_lshrrev_b32_e32 v0, 22, v0
	v_add_u32_e32 v0, v17, v0
	v_ashrrev_i32_e32 v21, 10, v0
	v_sub_u32_e32 v19, v21, v3
	v_ashrrev_i32_e32 v0, 31, v18
	v_cmp_lt_i32_e32 vcc, 0, v19
	v_lshrrev_b32_e32 v20, 26, v0
	s_and_saveexec_b64 s[36:37], vcc
	s_cbranch_execz .LBB6_1435
; %bb.1432:                             ;   in Loop: Header=BB6_1362 Depth=2
	s_trap 2
	ds_read_b64 v[4:5], v0
	v_add_u32_e32 v0, v18, v20
	v_and_b32_e32 v0, 0x7fffffc0, v0
	v_sub_u32_e32 v0, v18, v0
	v_lshlrev_b32_e32 v0, 1, v0
	v_lshlrev_b32_e32 v3, 10, v3
	v_add3_u32 v10, v0, v11, v3
	v_ashrrev_i32_e32 v3, 31, v10
	s_mov_b64 s[38:39], 0
	s_waitcnt lgkmcnt(0)
	v_pk_mov_b32 v[12:13], v[4:5], v[4:5] op_sel:[0,1]
.LBB6_1433:                             ;   Parent Loop BB6_47 Depth=1
                                        ;     Parent Loop BB6_1362 Depth=2
                                        ; =>    This Inner Loop Header: Depth=3
	v_add_co_u32_e32 v22, vcc, v10, v12
	v_addc_co_u32_e32 v23, vcc, v3, v13, vcc
	flat_load_ushort v0, v[22:23] glc slc
	flat_load_ushort v24, v[22:23] offset:128 glc slc
	flat_load_ushort v25, v[22:23] offset:256 glc slc
	;; [unrolled: 1-line block ×7, first 2 shown]
	v_add_co_u32_e32 v22, vcc, v10, v4
	v_addc_co_u32_e32 v23, vcc, v3, v5, vcc
	v_add_co_u32_e32 v12, vcc, v12, v1
	v_addc_co_u32_e32 v13, vcc, v13, v58, vcc
	v_add_co_u32_e32 v4, vcc, v4, v1
	v_sub_u32_e32 v19, v19, v54
	v_addc_co_u32_e32 v5, vcc, v5, v58, vcc
	v_cmp_gt_i32_e32 vcc, 1, v19
	s_or_b64 s[38:39], vcc, s[38:39]
	s_waitcnt vmcnt(0) lgkmcnt(0)
	flat_store_short v[22:23], v0 glc slc
	flat_store_short v[22:23], v24 offset:128 glc slc
	flat_store_short v[22:23], v25 offset:256 glc slc
	;; [unrolled: 1-line block ×7, first 2 shown]
	s_andn2_b64 exec, exec, s[38:39]
	s_cbranch_execnz .LBB6_1433
; %bb.1434:                             ;   in Loop: Header=BB6_1362 Depth=2
	s_or_b64 exec, exec, s[38:39]
	v_accvgpr_read_b32 v22, a24
	v_accvgpr_read_b32 v39, a21
	;; [unrolled: 1-line block ×3, first 2 shown]
.LBB6_1435:                             ;   in Loop: Header=BB6_1362 Depth=2
	s_or_b64 exec, exec, s[36:37]
	v_lshlrev_b32_e32 v0, 10, v21
	v_cmp_ne_u32_e32 vcc, v17, v0
	s_and_saveexec_b64 s[36:37], vcc
	s_cbranch_execz .LBB6_1439
; %bb.1436:                             ;   in Loop: Header=BB6_1362 Depth=2
	v_add_u32_e32 v3, v18, v20
	v_and_b32_e32 v3, 0xffffffc0, v3
	v_sub_u32_e32 v3, v18, v3
	v_lshlrev_b32_e32 v4, 6, v19
	v_sub_u32_e32 v3, v3, v4
	v_ashrrev_i32_e32 v4, 31, v3
	v_lshrrev_b32_e32 v4, 26, v4
	v_add_u32_e32 v4, v3, v4
	v_and_b32_e32 v5, 0x7fffffc0, v4
	v_sub_u32_e32 v3, v3, v5
	v_lshlrev_b32_e32 v4, 1, v4
	v_and_b32_e32 v4, 0xffffff80, v4
	v_lshlrev_b32_e32 v3, 1, v3
	v_add3_u32 v0, v4, v3, v0
	v_sub_u32_e32 v12, v17, v0
	v_cmp_lt_i32_e32 vcc, 1, v12
	s_and_b64 exec, exec, vcc
	s_cbranch_execz .LBB6_1439
; %bb.1437:                             ;   in Loop: Header=BB6_1362 Depth=2
	s_trap 2
	ds_read_b64 v[4:5], v0
	v_add_u32_e32 v10, v0, v11
	v_ashrrev_i32_e32 v3, 31, v10
	s_mov_b64 s[38:39], 0
.LBB6_1438:                             ;   Parent Loop BB6_47 Depth=1
                                        ;     Parent Loop BB6_1362 Depth=2
                                        ; =>    This Inner Loop Header: Depth=3
	s_waitcnt lgkmcnt(0)
	v_add_co_u32_e32 v18, vcc, v4, v10
	v_addc_co_u32_e32 v19, vcc, v5, v3, vcc
	flat_load_ushort v0, v[18:19] glc slc
	v_add_co_u32_e32 v10, vcc, v10, v59
	v_sub_u32_e32 v12, v12, v47
	v_addc_co_u32_e32 v3, vcc, v3, v26, vcc
	v_cmp_gt_i32_e32 vcc, 2, v12
	s_or_b64 s[38:39], vcc, s[38:39]
	s_waitcnt vmcnt(0) lgkmcnt(0)
	flat_store_short v[18:19], v0 glc slc
	s_andn2_b64 exec, exec, s[38:39]
	s_cbranch_execnz .LBB6_1438
.LBB6_1439:                             ;   in Loop: Header=BB6_1362 Depth=2
	s_or_b64 exec, exec, s[36:37]
	s_or_b64 exec, exec, s[26:27]
	s_and_saveexec_b64 s[26:27], s[10:11]
	s_cbranch_execz .LBB6_1466
	s_branch .LBB6_1441
.LBB6_1440:                             ;   in Loop: Header=BB6_1362 Depth=2
	s_and_saveexec_b64 s[26:27], s[10:11]
	s_cbranch_execz .LBB6_1466
.LBB6_1441:                             ;   in Loop: Header=BB6_1362 Depth=2
	s_and_saveexec_b64 vcc, s[48:49]
	s_xor_b64 s[36:37], exec, vcc
	s_cbranch_execz .LBB6_1474
; %bb.1442:                             ;   in Loop: Header=BB6_1362 Depth=2
	s_and_saveexec_b64 s[38:39], s[16:17]
	s_cbranch_execz .LBB6_1473
; %bb.1443:                             ;   in Loop: Header=BB6_1362 Depth=2
	s_mov_b64 s[58:59], exec
	v_mbcnt_lo_u32_b32 v0, s58, 0
	v_mbcnt_hi_u32_b32 v0, s59, v0
	v_cmp_eq_u32_e32 vcc, 0, v0
	s_waitcnt vmcnt(0) lgkmcnt(0)
	buffer_wbinvl1_vol
	s_and_saveexec_b64 s[56:57], vcc
	s_cbranch_execz .LBB6_1445
; %bb.1444:                             ;   in Loop: Header=BB6_1362 Depth=2
	s_bcnt1_i32_b64 vcc_lo, s[58:59]
	v_mov_b32_e32 v4, vcc_lo
	v_mov_b32_e32 v5, v52
	ds_add_u64 v0, v[4:5]
	s_trap 2
.LBB6_1445:                             ;   in Loop: Header=BB6_1362 Depth=2
	s_or_b64 exec, exec, s[56:57]
	s_trap 2
	ds_read_b64 v[4:5], v0
	v_add_co_u32_e32 v48, vcc, v48, v54
	v_addc_co_u32_e32 v49, vcc, 0, v49, vcc
	s_waitcnt lgkmcnt(0)
	v_cmp_lt_u64_e32 vcc, v[4:5], v[48:49]
	s_and_saveexec_b64 s[56:57], vcc
	s_cbranch_execz .LBB6_1472
; %bb.1446:                             ;   in Loop: Header=BB6_1362 Depth=2
	s_mov_b32 s68, 0
	s_mov_b64 s[58:59], 0
                                        ; implicit-def: $sgpr60_sgpr61
                                        ; implicit-def: $sgpr62_sgpr63
	s_branch .LBB6_1448
.LBB6_1447:                             ;   in Loop: Header=BB6_1448 Depth=3
	s_or_b64 exec, exec, s[66:67]
	s_and_b64 vcc, exec, vcc
	s_or_b64 s[58:59], vcc, s[58:59]
	s_andn2_b64 vcc, s[60:61], exec
	s_and_b64 s[60:61], s[62:63], exec
	s_or_b64 s[60:61], vcc, s[60:61]
	s_andn2_b64 exec, exec, s[58:59]
	s_cbranch_execz .LBB6_1470
.LBB6_1448:                             ;   Parent Loop BB6_47 Depth=1
                                        ;     Parent Loop BB6_1362 Depth=2
                                        ; =>    This Inner Loop Header: Depth=3
	s_add_i32 s68, s68, 1
	s_cmpk_lg_i32 s68, 0x2710
	s_cselect_b64 s[64:65], -1, 0
	s_and_b64 vcc, exec, s[64:65]
                                        ; implicit-def: $sgpr66_sgpr67
	s_cbranch_vccnz .LBB6_1450
; %bb.1449:                             ;   in Loop: Header=BB6_1448 Depth=3
	s_trap 2
	ds_read_b64 v[4:5], v0
	s_andn2_b64 s[64:65], s[64:65], exec
	s_mov_b32 s68, 0
	s_mov_b64 s[66:67], -1
	s_waitcnt lgkmcnt(0)
	flat_load_dword v0, v[4:5] glc
	s_waitcnt vmcnt(0) lgkmcnt(0)
	buffer_invl2
	buffer_wbinvl1_vol
	v_cmp_eq_u32_e32 vcc, 0, v0
	s_and_b64 vcc, vcc, exec
	s_or_b64 s[64:65], s[64:65], vcc
.LBB6_1450:                             ;   in Loop: Header=BB6_1448 Depth=3
	s_andn2_b64 s[62:63], s[62:63], exec
	s_and_b64 s[66:67], s[66:67], exec
	s_mov_b64 vcc, -1
	s_or_b64 s[62:63], s[62:63], s[66:67]
	s_and_saveexec_b64 s[66:67], s[64:65]
	s_cbranch_execz .LBB6_1447
; %bb.1451:                             ;   in Loop: Header=BB6_1448 Depth=3
	s_sleep 1
	s_trap 2
	ds_read_b64 v[4:5], v0
	s_andn2_b64 s[62:63], s[62:63], exec
	s_waitcnt lgkmcnt(0)
	v_cmp_ge_u64_e32 vcc, v[4:5], v[48:49]
	s_orn2_b64 vcc, vcc, exec
	s_branch .LBB6_1447
.LBB6_1452:                             ;   in Loop: Header=BB6_1362 Depth=2
	v_ashrrev_i32_e32 v0, 31, v17
	v_lshrrev_b32_e32 v0, 21, v0
	v_add_u32_e32 v0, v17, v0
	v_ashrrev_i32_e32 v3, 11, v0
	v_sub_u32_e32 v13, v3, v57
	v_cmp_lt_i32_e32 vcc, 0, v13
	s_and_saveexec_b64 s[26:27], vcc
	s_cbranch_execz .LBB6_1456
; %bb.1453:                             ;   in Loop: Header=BB6_1362 Depth=2
	s_trap 2
	ds_read_b64 v[4:5], v0
	v_accvgpr_read_b32 v10, a22
	s_mov_b64 s[36:37], 0
	v_accvgpr_read_b32 v11, a23
.LBB6_1454:                             ;   Parent Loop BB6_47 Depth=1
                                        ;     Parent Loop BB6_1362 Depth=2
                                        ; =>    This Inner Loop Header: Depth=3
	s_waitcnt lgkmcnt(0)
	v_add_co_u32_e32 v28, vcc, v4, v10
	v_addc_co_u32_e32 v29, vcc, v5, v11, vcc
	global_load_dwordx4 v[18:21], v[28:29], off glc slc
	global_load_dwordx4 v[22:25], v[28:29], off offset:1024 glc slc
	v_add_co_u32_e32 v10, vcc, v10, v55
	v_sub_u32_e32 v13, v13, v54
	v_addc_co_u32_e32 v11, vcc, v11, v31, vcc
	v_cmp_gt_i32_e32 vcc, 1, v13
	s_or_b64 s[36:37], vcc, s[36:37]
	s_waitcnt vmcnt(0)
	global_store_dwordx4 v[28:29], v[18:21], off glc slc
	global_store_dwordx4 v[28:29], v[22:25], off offset:1024 glc slc
	s_andn2_b64 exec, exec, s[36:37]
	s_cbranch_execnz .LBB6_1454
; %bb.1455:                             ;   in Loop: Header=BB6_1362 Depth=2
	s_or_b64 exec, exec, s[36:37]
	v_accvgpr_read_b32 v22, a24
	v_accvgpr_read_b32 v23, a25
.LBB6_1456:                             ;   in Loop: Header=BB6_1362 Depth=2
	s_or_b64 exec, exec, s[26:27]
	v_lshlrev_b32_e32 v12, 11, v3
	v_cmp_ne_u32_e32 vcc, v17, v12
	s_mov_b64 s[38:39], 0
	v_mov_b32_e32 v11, 0
                                        ; implicit-def: $vgpr18
                                        ; implicit-def: $vgpr3
	s_and_saveexec_b64 s[36:37], vcc
	s_cbranch_execz .LBB6_1464
; %bb.1457:                             ;   in Loop: Header=BB6_1362 Depth=2
	v_lshlrev_b32_e32 v0, 6, v13
	v_accvgpr_read_b32 v4, a18
	v_sub_u32_e32 v0, v4, v0
	v_ashrrev_i32_e32 v4, 31, v0
	v_lshrrev_b32_e32 v4, 26, v4
	v_add_u32_e32 v4, v0, v4
	v_sub_u32_e32 v3, v17, v12
	v_ashrrev_i32_e32 v5, 6, v4
	v_and_b32_e32 v4, 0xffffffc0, v4
	v_sub_u32_e32 v13, v0, v4
	v_ashrrev_i32_e32 v4, 31, v3
	v_lshrrev_b32_e32 v4, 22, v4
	v_add_u32_e32 v4, v3, v4
	v_and_b32_e32 v19, 0xfffffc00, v4
	v_lshlrev_b32_e32 v0, 4, v13
	v_sub_u32_e32 v21, v3, v19
	v_lshl_add_u32 v0, v5, 10, v0
	v_ashrrev_i32_e32 v10, 10, v4
	v_cmp_lt_i32_e32 vcc, 15, v21
	v_sub_u32_e32 v11, v3, v0
	v_addc_co_u32_e64 v3, s[26:27], 0, v10, vcc
	v_sub_u32_e32 v20, v3, v5
	v_cmp_lt_i32_e64 s[26:27], 15, v11
	s_and_saveexec_b64 s[38:39], s[26:27]
	s_cbranch_execz .LBB6_1461
; %bb.1458:                             ;   in Loop: Header=BB6_1362 Depth=2
	s_trap 2
	ds_read_b64 v[4:5], v0
	v_add_u32_e32 v10, v0, v12
	v_ashrrev_i32_e32 v3, 31, v10
	s_mov_b64 s[56:57], 0
.LBB6_1459:                             ;   Parent Loop BB6_47 Depth=1
                                        ;     Parent Loop BB6_1362 Depth=2
                                        ; =>    This Inner Loop Header: Depth=3
	s_waitcnt lgkmcnt(0)
	v_add_co_u32_e64 v28, s[26:27], v4, v10
	v_addc_co_u32_e64 v29, s[26:27], v5, v3, s[26:27]
	global_load_dwordx4 v[22:25], v[28:29], off glc slc
	v_add_co_u32_e64 v10, s[26:27], v10, v1
	v_sub_u32_e32 v11, v11, v46
	v_addc_co_u32_e64 v3, s[26:27], v3, v58, s[26:27]
	v_cmp_gt_i32_e64 s[26:27], 16, v11
	v_sub_u32_e32 v20, v20, v54
	s_or_b64 s[56:57], s[26:27], s[56:57]
	s_waitcnt vmcnt(0)
	global_store_dwordx4 v[28:29], v[22:25], off glc slc
	s_andn2_b64 exec, exec, s[56:57]
	s_cbranch_execnz .LBB6_1459
; %bb.1460:                             ;   in Loop: Header=BB6_1362 Depth=2
	s_or_b64 exec, exec, s[56:57]
	v_accvgpr_read_b32 v22, a24
	v_accvgpr_read_b32 v23, a25
.LBB6_1461:                             ;   in Loop: Header=BB6_1362 Depth=2
	s_or_b64 exec, exec, s[38:39]
	v_and_b32_e32 v0, 14, v17
	v_cndmask_b32_e32 v17, v21, v0, vcc
	v_cmp_ne_u32_e64 s[26:27], 0, v17
	s_mov_b64 s[38:39], 0
	v_mov_b32_e32 v11, 0
                                        ; implicit-def: $vgpr18
                                        ; implicit-def: $vgpr3
	s_and_saveexec_b64 s[56:57], s[26:27]
	s_cbranch_execz .LBB6_1463
; %bb.1462:                             ;   in Loop: Header=BB6_1362 Depth=2
	v_sub_u32_e32 v0, v21, v0
	v_cndmask_b32_e32 v0, 0, v0, vcc
	v_cmp_lt_i32_e32 vcc, 0, v20
	v_add3_u32 v11, v19, v12, v0
	v_cndmask_b32_e32 v0, 0, v54, vcc
	v_sub_u32_e32 v0, v0, v20
	v_lshl_add_u32 v18, v0, 6, v13
	v_ashrrev_i32_e32 v0, 31, v18
	v_lshrrev_b32_e32 v0, 26, v0
	v_add_u32_e32 v0, v18, v0
	s_mov_b64 s[38:39], exec
	v_ashrrev_i32_e32 v3, 6, v0
.LBB6_1463:                             ;   in Loop: Header=BB6_1362 Depth=2
	s_or_b64 exec, exec, s[56:57]
	s_and_b64 s[38:39], s[38:39], exec
.LBB6_1464:                             ;   in Loop: Header=BB6_1362 Depth=2
	s_or_b64 exec, exec, s[36:37]
	s_and_saveexec_b64 s[26:27], s[38:39]
	s_cbranch_execnz .LBB6_1431
.LBB6_1465:                             ;   in Loop: Header=BB6_1362 Depth=2
	s_or_b64 exec, exec, s[26:27]
	s_and_saveexec_b64 s[26:27], s[10:11]
	s_cbranch_execnz .LBB6_1441
.LBB6_1466:                             ;   in Loop: Header=BB6_1362 Depth=2
	s_or_b64 exec, exec, s[26:27]
	s_and_saveexec_b64 s[26:27], s[24:25]
	s_xor_b64 s[36:37], exec, s[26:27]
	s_cbranch_execz .LBB6_1477
.LBB6_1467:                             ;   in Loop: Header=BB6_1362 Depth=2
	v_and_b32_e32 v0, 16, v62
	v_cmp_lt_i32_e32 vcc, 0, v16
	v_cmp_ne_u32_e64 s[26:27], 0, v0
	s_and_b64 vcc, s[26:27], vcc
	s_and_saveexec_b64 s[26:27], vcc
	s_cbranch_execz .LBB6_1469
; %bb.1468:                             ;   in Loop: Header=BB6_1362 Depth=2
	s_waitcnt vmcnt(0) lgkmcnt(0)
	buffer_wbinvl1_vol
.LBB6_1469:                             ;   in Loop: Header=BB6_1362 Depth=2
	s_or_b64 exec, exec, s[26:27]
	s_andn2_saveexec_b64 s[26:27], s[36:37]
	s_cbranch_execz .LBB6_1496
	s_branch .LBB6_1478
.LBB6_1470:                             ;   in Loop: Header=BB6_1362 Depth=2
	s_or_b64 exec, exec, s[58:59]
	s_and_saveexec_b64 vcc, s[60:61]
	s_xor_b64 vcc, exec, vcc
	s_cbranch_execz .LBB6_1472
; %bb.1471:                             ;   in Loop: Header=BB6_1362 Depth=2
	ds_write_b32 v0, v40
	s_trap 2
.LBB6_1472:                             ;   in Loop: Header=BB6_1362 Depth=2
	s_or_b64 exec, exec, s[56:57]
	;;#ASMSTART
	s_wakeup
	;;#ASMEND
.LBB6_1473:                             ;   in Loop: Header=BB6_1362 Depth=2
	s_or_b64 exec, exec, s[38:39]
.LBB6_1474:                             ;   in Loop: Header=BB6_1362 Depth=2
	s_andn2_saveexec_b64 vcc, s[36:37]
	s_cbranch_execz .LBB6_1476
; %bb.1475:                             ;   in Loop: Header=BB6_1362 Depth=2
	s_waitcnt vmcnt(0) lgkmcnt(0)
	buffer_wbinvl1_vol
	s_barrier
.LBB6_1476:                             ;   in Loop: Header=BB6_1362 Depth=2
	s_or_b64 exec, exec, vcc
	s_or_b64 exec, exec, s[26:27]
	s_and_saveexec_b64 s[26:27], s[24:25]
	s_xor_b64 s[36:37], exec, s[26:27]
	s_cbranch_execnz .LBB6_1467
.LBB6_1477:                             ;   in Loop: Header=BB6_1362 Depth=2
	s_andn2_saveexec_b64 s[26:27], s[36:37]
	s_cbranch_execz .LBB6_1496
.LBB6_1478:                             ;   in Loop: Header=BB6_1362 Depth=2
	s_and_saveexec_b64 vcc, s[48:49]
	s_xor_b64 s[36:37], exec, vcc
	s_cbranch_execz .LBB6_1493
; %bb.1479:                             ;   in Loop: Header=BB6_1362 Depth=2
	s_and_saveexec_b64 s[38:39], s[16:17]
	s_cbranch_execz .LBB6_1492
; %bb.1480:                             ;   in Loop: Header=BB6_1362 Depth=2
	s_mov_b64 s[58:59], exec
	v_mbcnt_lo_u32_b32 v0, s58, 0
	v_mbcnt_hi_u32_b32 v0, s59, v0
	v_cmp_eq_u32_e32 vcc, 0, v0
	;;#ASMSTART
	s_waitcnt lgkmcnt(0) vmcnt(0)
	;;#ASMEND
	s_and_saveexec_b64 s[56:57], vcc
	s_cbranch_execz .LBB6_1482
; %bb.1481:                             ;   in Loop: Header=BB6_1362 Depth=2
	s_bcnt1_i32_b64 vcc_lo, s[58:59]
	v_mov_b32_e32 v4, vcc_lo
	v_mov_b32_e32 v5, v52
	ds_add_u64 v0, v[4:5]
	s_trap 2
.LBB6_1482:                             ;   in Loop: Header=BB6_1362 Depth=2
	s_or_b64 exec, exec, s[56:57]
	s_trap 2
	ds_read_b64 v[4:5], v0
	v_add_co_u32_e32 v48, vcc, v48, v54
	v_addc_co_u32_e32 v49, vcc, 0, v49, vcc
	s_waitcnt lgkmcnt(0)
	v_cmp_lt_u64_e32 vcc, v[4:5], v[48:49]
	s_and_saveexec_b64 s[56:57], vcc
	s_cbranch_execz .LBB6_1491
; %bb.1483:                             ;   in Loop: Header=BB6_1362 Depth=2
	s_mov_b32 s68, 0
	s_mov_b64 s[58:59], 0
                                        ; implicit-def: $sgpr60_sgpr61
                                        ; implicit-def: $sgpr62_sgpr63
	s_branch .LBB6_1485
.LBB6_1484:                             ;   in Loop: Header=BB6_1485 Depth=3
	s_or_b64 exec, exec, s[66:67]
	s_and_b64 vcc, exec, vcc
	s_or_b64 s[58:59], vcc, s[58:59]
	s_andn2_b64 vcc, s[60:61], exec
	s_and_b64 s[60:61], s[62:63], exec
	s_or_b64 s[60:61], vcc, s[60:61]
	s_andn2_b64 exec, exec, s[58:59]
	s_cbranch_execz .LBB6_1489
.LBB6_1485:                             ;   Parent Loop BB6_47 Depth=1
                                        ;     Parent Loop BB6_1362 Depth=2
                                        ; =>    This Inner Loop Header: Depth=3
	s_add_i32 s68, s68, 1
	s_cmpk_lg_i32 s68, 0x2710
	s_cselect_b64 s[64:65], -1, 0
	s_and_b64 vcc, exec, s[64:65]
                                        ; implicit-def: $sgpr66_sgpr67
	s_cbranch_vccnz .LBB6_1487
; %bb.1486:                             ;   in Loop: Header=BB6_1485 Depth=3
	s_trap 2
	ds_read_b64 v[4:5], v0
	s_andn2_b64 s[64:65], s[64:65], exec
	s_mov_b32 s68, 0
	s_mov_b64 s[66:67], -1
	s_waitcnt vmcnt(0) lgkmcnt(0)
	flat_load_dword v0, v[4:5] glc
	s_waitcnt vmcnt(0) lgkmcnt(0)
	buffer_invl2
	buffer_wbinvl1_vol
	v_cmp_eq_u32_e32 vcc, 0, v0
	s_and_b64 vcc, vcc, exec
	s_or_b64 s[64:65], s[64:65], vcc
.LBB6_1487:                             ;   in Loop: Header=BB6_1485 Depth=3
	s_andn2_b64 s[62:63], s[62:63], exec
	s_and_b64 s[66:67], s[66:67], exec
	s_mov_b64 vcc, -1
	s_or_b64 s[62:63], s[62:63], s[66:67]
	s_and_saveexec_b64 s[66:67], s[64:65]
	s_cbranch_execz .LBB6_1484
; %bb.1488:                             ;   in Loop: Header=BB6_1485 Depth=3
	s_sleep 1
	s_trap 2
	ds_read_b64 v[4:5], v0
	s_andn2_b64 s[62:63], s[62:63], exec
	s_waitcnt lgkmcnt(0)
	v_cmp_ge_u64_e32 vcc, v[4:5], v[48:49]
	s_orn2_b64 vcc, vcc, exec
	s_branch .LBB6_1484
.LBB6_1489:                             ;   in Loop: Header=BB6_1362 Depth=2
	s_or_b64 exec, exec, s[58:59]
	s_and_saveexec_b64 vcc, s[60:61]
	s_xor_b64 vcc, exec, vcc
	s_cbranch_execz .LBB6_1491
; %bb.1490:                             ;   in Loop: Header=BB6_1362 Depth=2
	ds_write_b32 v0, v40
	s_trap 2
.LBB6_1491:                             ;   in Loop: Header=BB6_1362 Depth=2
	s_or_b64 exec, exec, s[56:57]
	;;#ASMSTART
	s_wakeup
	;;#ASMEND
.LBB6_1492:                             ;   in Loop: Header=BB6_1362 Depth=2
	s_or_b64 exec, exec, s[38:39]
.LBB6_1493:                             ;   in Loop: Header=BB6_1362 Depth=2
	s_andn2_saveexec_b64 vcc, s[36:37]
	s_cbranch_execz .LBB6_1495
; %bb.1494:                             ;   in Loop: Header=BB6_1362 Depth=2
	;;#ASMSTART
	s_waitcnt lgkmcnt(0) vmcnt(0)
	;;#ASMEND
	s_barrier
.LBB6_1495:                             ;   in Loop: Header=BB6_1362 Depth=2
	s_or_b64 exec, exec, vcc
.LBB6_1496:                             ;   in Loop: Header=BB6_1362 Depth=2
	s_or_b64 exec, exec, s[26:27]
	v_and_b32_e32 v0, 32, v62
	v_cmp_ne_u32_e32 vcc, 0, v0
	s_and_saveexec_b64 s[26:27], vcc
	s_cbranch_execz .LBB6_1361
; %bb.1497:                             ;   in Loop: Header=BB6_1362 Depth=2
	v_add_co_u32_e32 v32, vcc, 2, v32
	v_addc_co_u32_e32 v33, vcc, 0, v33, vcc
	flat_store_dwordx2 v[34:35], v[32:33]
	s_branch .LBB6_1361
.LBB6_1498:                             ;   in Loop: Header=BB6_47 Depth=1
	s_or_b64 exec, exec, s[30:31]
.LBB6_1499:                             ;   in Loop: Header=BB6_47 Depth=1
	s_or_b64 exec, exec, s[28:29]
	v_cmp_gt_i32_e32 vcc, 2, v3
	s_and_saveexec_b64 s[28:29], vcc
	s_cbranch_execz .LBB6_46
; %bb.1500:                             ;   in Loop: Header=BB6_47 Depth=1
	v_cmp_eq_u32_e64 s[26:27], 0, v3
	s_mov_b64 s[30:31], 0
	s_branch .LBB6_1502
.LBB6_1501:                             ;   in Loop: Header=BB6_1502 Depth=2
	s_or_b64 exec, exec, s[26:27]
	v_add_u32_e32 v2, v15, v2
	s_mov_b64 s[26:27], 0
	s_andn2_b64 exec, exec, s[30:31]
	s_cbranch_execz .LBB6_45
.LBB6_1502:                             ;   Parent Loop BB6_47 Depth=1
                                        ; =>  This Loop Header: Depth=2
                                        ;       Child Loop BB6_1508 Depth 3
                                        ;       Child Loop BB6_1532 Depth 3
	;; [unrolled: 1-line block ×3, first 2 shown]
	v_and_b32_e32 v0, 4, v62
	s_mov_b64 s[36:37], -1
	v_cmp_ne_u32_e32 vcc, 0, v0
	s_and_saveexec_b64 s[34:35], vcc
	s_cbranch_execz .LBB6_1514
; %bb.1503:                             ;   in Loop: Header=BB6_1502 Depth=2
	v_add_co_u32_e32 v4, vcc, 2, v32
	v_addc_co_u32_e32 v5, vcc, 0, v33, vcc
	v_cmp_lt_u64_e32 vcc, v[50:51], v[4:5]
	v_mov_b32_e32 v0, 1
	s_and_saveexec_b64 s[36:37], vcc
	s_cbranch_execz .LBB6_1513
; %bb.1504:                             ;   in Loop: Header=BB6_1502 Depth=2
	s_mov_b64 s[38:39], 0
	v_mov_b32_e32 v3, 0
                                        ; implicit-def: $sgpr56_sgpr57
	s_branch .LBB6_1508
.LBB6_1505:                             ;   in Loop: Header=BB6_1508 Depth=3
	s_or_b64 exec, exec, s[64:65]
	v_mov_b32_e32 v0, 0
	s_orn2_b64 s[62:63], s[62:63], exec
.LBB6_1506:                             ;   in Loop: Header=BB6_1508 Depth=3
	s_or_b64 exec, exec, s[60:61]
	s_andn2_b64 vcc, s[56:57], exec
	s_and_b64 s[56:57], s[62:63], exec
	s_or_b64 s[56:57], vcc, s[56:57]
	v_mov_b32_e32 v3, v0
.LBB6_1507:                             ;   in Loop: Header=BB6_1508 Depth=3
	s_or_b64 exec, exec, s[58:59]
	s_waitcnt vmcnt(0) lgkmcnt(0)
	v_cmp_ge_u64_e32 vcc, v[50:51], v[4:5]
	s_xor_b64 s[58:59], s[56:57], -1
	s_or_b64 vcc, s[58:59], vcc
	s_and_b64 vcc, exec, vcc
	s_or_b64 s[38:39], vcc, s[38:39]
	s_andn2_b64 exec, exec, s[38:39]
	s_cbranch_execz .LBB6_1512
.LBB6_1508:                             ;   Parent Loop BB6_47 Depth=1
                                        ;     Parent Loop BB6_1502 Depth=2
                                        ; =>    This Inner Loop Header: Depth=3
	s_sleep 1
	flat_load_dwordx2 v[50:51], v[34:35] glc
	v_and_b32_e32 v0, 64, v62
	v_cmp_eq_u32_e32 vcc, 0, v0
	s_andn2_b64 s[56:57], s[56:57], exec
	s_and_saveexec_b64 s[58:59], vcc
	s_cbranch_execz .LBB6_1507
; %bb.1509:                             ;   in Loop: Header=BB6_1508 Depth=3
	v_add_u32_e32 v0, 1, v3
	v_cmp_lt_i32_e32 vcc, s85, v3
	s_mov_b64 s[62:63], -1
	s_and_saveexec_b64 s[60:61], vcc
	s_cbranch_execz .LBB6_1506
; %bb.1510:                             ;   in Loop: Header=BB6_1508 Depth=3
	s_trap 2
	ds_read_b64 v[8:9], v0
	s_waitcnt vmcnt(0) lgkmcnt(0)
	flat_load_dword v0, v[8:9] glc
	s_waitcnt vmcnt(0) lgkmcnt(0)
	buffer_invl2
	buffer_wbinvl1_vol
	v_cmp_ne_u32_e32 vcc, 0, v0
	s_and_saveexec_b64 s[64:65], vcc
	s_cbranch_execz .LBB6_1505
; %bb.1511:                             ;   in Loop: Header=BB6_1508 Depth=3
	v_or_b32_e32 v62, 64, v62
	s_xor_b64 s[62:63], exec, -1
	ds_write_b32 v0, v0
	s_trap 2
	s_branch .LBB6_1505
.LBB6_1512:                             ;   in Loop: Header=BB6_1502 Depth=2
	s_or_b64 exec, exec, s[38:39]
	v_and_b32_e32 v0, 4, v62
.LBB6_1513:                             ;   in Loop: Header=BB6_1502 Depth=2
	s_or_b64 exec, exec, s[36:37]
	v_cmp_eq_u32_e32 vcc, 0, v0
	s_orn2_b64 s[36:37], vcc, exec
	;;#ASMSTART
	s_wakeup
	;;#ASMEND
.LBB6_1514:                             ;   in Loop: Header=BB6_1502 Depth=2
	s_or_b64 exec, exec, s[34:35]
	s_xor_b64 s[26:27], s[26:27], -1
	s_and_b64 s[26:27], exec, s[26:27]
	s_or_b64 s[30:31], s[26:27], s[30:31]
	s_xor_b64 s[26:27], s[36:37], -1
	s_and_saveexec_b64 s[34:35], s[26:27]
	s_cbranch_execz .LBB6_1524
; %bb.1515:                             ;   in Loop: Header=BB6_1502 Depth=2
	v_and_b32_e32 v0, 0x100, v62
	v_cmp_ne_u32_e32 vcc, 0, v0
	v_and_b32_e32 v3, 7, v32
	s_mov_b64 s[26:27], -1
                                        ; implicit-def: $vgpr4_vgpr5
	s_and_saveexec_b64 s[36:37], vcc
	s_cbranch_execz .LBB6_1519
; %bb.1516:                             ;   in Loop: Header=BB6_1502 Depth=2
	v_mad_u64_u32 v[8:9], s[26:27], v3, 24, v[6:7]
	flat_load_dword v0, v[8:9]
                                        ; implicit-def: $vgpr4_vgpr5
	s_waitcnt vmcnt(0) lgkmcnt(0)
	v_cmp_ne_u32_e32 vcc, 1, v0
	v_cmp_eq_u32_e64 s[26:27], 1, v0
	s_and_saveexec_b64 s[38:39], s[26:27]
	s_cbranch_execz .LBB6_1518
; %bb.1517:                             ;   in Loop: Header=BB6_1502 Depth=2
	flat_load_dword v4, v[8:9] offset:4 glc
	s_waitcnt vmcnt(0) lgkmcnt(0)
	v_ashrrev_i32_e32 v5, 31, v4
	v_lshrrev_b64 v[4:5], 1, v[4:5]
.LBB6_1518:                             ;   in Loop: Header=BB6_1502 Depth=2
	s_or_b64 exec, exec, s[38:39]
	s_orn2_b64 s[26:27], vcc, exec
.LBB6_1519:                             ;   in Loop: Header=BB6_1502 Depth=2
	s_or_b64 exec, exec, s[36:37]
	s_and_saveexec_b64 vcc, s[26:27]
; %bb.1520:                             ;   in Loop: Header=BB6_1502 Depth=2
	v_mad_i64_i32 v[4:5], s[26:27], v3, v30, 0
; %bb.1521:                             ;   in Loop: Header=BB6_1502 Depth=2
	s_or_b64 exec, exec, vcc
	v_lshlrev_b64 v[4:5], 1, v[4:5]
	v_add_co_u32_e32 v4, vcc, v36, v4
	v_addc_co_u32_e32 v5, vcc, v37, v5, vcc
	ds_write_b64 v0, v[4:5] offset:720
	v_and_b32_e32 v0, 0x2000, v62
	v_cmp_ne_u32_e32 vcc, 0, v0
	s_and_saveexec_b64 s[26:27], vcc
	s_cbranch_execz .LBB6_1523
; %bb.1522:                             ;   in Loop: Header=BB6_1502 Depth=2
	ds_read_b64 v[4:5], v0 offset:584
	s_waitcnt lgkmcnt(0)
	v_add_co_u32_e32 v4, vcc, 1, v4
	v_addc_co_u32_e32 v5, vcc, 0, v5, vcc
	ds_write_b64 v0, v[4:5] offset:584
.LBB6_1523:                             ;   in Loop: Header=BB6_1502 Depth=2
	s_or_b64 exec, exec, s[26:27]
	v_add_co_u32_e32 v32, vcc, 2, v32
	v_addc_co_u32_e32 v33, vcc, 0, v33, vcc
.LBB6_1524:                             ;   in Loop: Header=BB6_1502 Depth=2
	s_or_b64 exec, exec, s[34:35]
	s_and_saveexec_b64 s[26:27], s[10:11]
	s_cbranch_execz .LBB6_1543
; %bb.1525:                             ;   in Loop: Header=BB6_1502 Depth=2
	s_and_saveexec_b64 vcc, s[48:49]
	s_xor_b64 s[34:35], exec, vcc
	s_cbranch_execz .LBB6_1540
; %bb.1526:                             ;   in Loop: Header=BB6_1502 Depth=2
	s_and_saveexec_b64 s[36:37], s[16:17]
	s_cbranch_execz .LBB6_1539
; %bb.1527:                             ;   in Loop: Header=BB6_1502 Depth=2
	s_mov_b64 s[56:57], exec
	v_mbcnt_lo_u32_b32 v0, s56, 0
	v_mbcnt_hi_u32_b32 v0, s57, v0
	v_cmp_eq_u32_e32 vcc, 0, v0
	s_waitcnt vmcnt(0) lgkmcnt(0)
	buffer_wbinvl1_vol
	s_and_saveexec_b64 s[38:39], vcc
	s_cbranch_execz .LBB6_1529
; %bb.1528:                             ;   in Loop: Header=BB6_1502 Depth=2
	s_bcnt1_i32_b64 vcc_lo, s[56:57]
	v_mov_b32_e32 v4, vcc_lo
	v_mov_b32_e32 v5, v52
	ds_add_u64 v0, v[4:5]
	s_trap 2
.LBB6_1529:                             ;   in Loop: Header=BB6_1502 Depth=2
	s_or_b64 exec, exec, s[38:39]
	s_trap 2
	ds_read_b64 v[4:5], v0
	v_add_co_u32_e32 v48, vcc, v48, v54
	v_addc_co_u32_e32 v49, vcc, 0, v49, vcc
	s_waitcnt lgkmcnt(0)
	v_cmp_lt_u64_e32 vcc, v[4:5], v[48:49]
	s_and_saveexec_b64 s[38:39], vcc
	s_cbranch_execz .LBB6_1538
; %bb.1530:                             ;   in Loop: Header=BB6_1502 Depth=2
	s_mov_b32 s46, 0
	s_mov_b64 s[56:57], 0
                                        ; implicit-def: $sgpr58_sgpr59
                                        ; implicit-def: $sgpr60_sgpr61
	s_branch .LBB6_1532
.LBB6_1531:                             ;   in Loop: Header=BB6_1532 Depth=3
	s_or_b64 exec, exec, s[64:65]
	s_and_b64 vcc, exec, vcc
	s_or_b64 s[56:57], vcc, s[56:57]
	s_andn2_b64 vcc, s[58:59], exec
	s_and_b64 s[58:59], s[60:61], exec
	s_or_b64 s[58:59], vcc, s[58:59]
	s_andn2_b64 exec, exec, s[56:57]
	s_cbranch_execz .LBB6_1536
.LBB6_1532:                             ;   Parent Loop BB6_47 Depth=1
                                        ;     Parent Loop BB6_1502 Depth=2
                                        ; =>    This Inner Loop Header: Depth=3
	s_add_i32 s46, s46, 1
	s_cmpk_lg_i32 s46, 0x2710
	s_cselect_b64 s[62:63], -1, 0
	s_and_b64 vcc, exec, s[62:63]
                                        ; implicit-def: $sgpr64_sgpr65
	s_cbranch_vccnz .LBB6_1534
; %bb.1533:                             ;   in Loop: Header=BB6_1532 Depth=3
	s_trap 2
	ds_read_b64 v[4:5], v0
	s_andn2_b64 s[62:63], s[62:63], exec
	s_mov_b32 s46, 0
	s_mov_b64 s[64:65], -1
	s_waitcnt lgkmcnt(0)
	flat_load_dword v0, v[4:5] glc
	s_waitcnt vmcnt(0) lgkmcnt(0)
	buffer_invl2
	buffer_wbinvl1_vol
	v_cmp_eq_u32_e32 vcc, 0, v0
	s_and_b64 vcc, vcc, exec
	s_or_b64 s[62:63], s[62:63], vcc
.LBB6_1534:                             ;   in Loop: Header=BB6_1532 Depth=3
	s_andn2_b64 s[60:61], s[60:61], exec
	s_and_b64 s[64:65], s[64:65], exec
	s_mov_b64 vcc, -1
	s_or_b64 s[60:61], s[60:61], s[64:65]
	s_and_saveexec_b64 s[64:65], s[62:63]
	s_cbranch_execz .LBB6_1531
; %bb.1535:                             ;   in Loop: Header=BB6_1532 Depth=3
	s_sleep 1
	s_trap 2
	ds_read_b64 v[4:5], v0
	s_andn2_b64 s[60:61], s[60:61], exec
	s_waitcnt lgkmcnt(0)
	v_cmp_ge_u64_e32 vcc, v[4:5], v[48:49]
	s_orn2_b64 vcc, vcc, exec
	s_branch .LBB6_1531
.LBB6_1536:                             ;   in Loop: Header=BB6_1502 Depth=2
	s_or_b64 exec, exec, s[56:57]
	s_and_saveexec_b64 vcc, s[58:59]
	s_xor_b64 vcc, exec, vcc
	s_cbranch_execz .LBB6_1538
; %bb.1537:                             ;   in Loop: Header=BB6_1502 Depth=2
	ds_write_b32 v0, v40
	s_trap 2
.LBB6_1538:                             ;   in Loop: Header=BB6_1502 Depth=2
	s_or_b64 exec, exec, s[38:39]
	;;#ASMSTART
	s_wakeup
	;;#ASMEND
.LBB6_1539:                             ;   in Loop: Header=BB6_1502 Depth=2
	s_or_b64 exec, exec, s[36:37]
.LBB6_1540:                             ;   in Loop: Header=BB6_1502 Depth=2
	s_andn2_saveexec_b64 vcc, s[34:35]
	s_cbranch_execz .LBB6_1542
; %bb.1541:                             ;   in Loop: Header=BB6_1502 Depth=2
	s_waitcnt vmcnt(0) lgkmcnt(0)
	buffer_wbinvl1_vol
	s_barrier
.LBB6_1542:                             ;   in Loop: Header=BB6_1502 Depth=2
	s_or_b64 exec, exec, vcc
.LBB6_1543:                             ;   in Loop: Header=BB6_1502 Depth=2
	s_or_b64 exec, exec, s[26:27]
	v_sub_u32_e32 v0, v14, v2
	v_min_i32_e32 v15, v15, v0
	s_and_saveexec_b64 s[26:27], s[24:25]
	s_xor_b64 s[26:27], exec, s[26:27]
	s_cbranch_execz .LBB6_1547
; %bb.1544:                             ;   in Loop: Header=BB6_1502 Depth=2
	s_trap 2
	ds_read_b32 v0, v0
	v_cmp_lt_i32_e32 vcc, 0, v15
	v_and_b32_e32 v3, 16, v62
	s_waitcnt lgkmcnt(0)
	v_readfirstlane_b32 s34, v0
	s_cmp_eq_u32 s34, 0
	s_cselect_b64 s[34:35], -1, 0
	s_and_b64 s[34:35], vcc, s[34:35]
	v_cmp_ne_u32_e32 vcc, 0, v3
	s_and_b64 s[34:35], vcc, s[34:35]
	s_and_saveexec_b64 vcc, s[34:35]
	s_cbranch_execz .LBB6_1546
; %bb.1545:                             ;   in Loop: Header=BB6_1502 Depth=2
	s_waitcnt vmcnt(0)
	buffer_wbinvl1_vol
.LBB6_1546:                             ;   in Loop: Header=BB6_1502 Depth=2
	s_or_b64 exec, exec, vcc
.LBB6_1547:                             ;   in Loop: Header=BB6_1502 Depth=2
	s_andn2_saveexec_b64 s[26:27], s[26:27]
	s_cbranch_execz .LBB6_1566
; %bb.1548:                             ;   in Loop: Header=BB6_1502 Depth=2
	s_and_saveexec_b64 vcc, s[48:49]
	s_xor_b64 s[34:35], exec, vcc
	s_cbranch_execz .LBB6_1563
; %bb.1549:                             ;   in Loop: Header=BB6_1502 Depth=2
	s_and_saveexec_b64 s[36:37], s[16:17]
	s_cbranch_execz .LBB6_1562
; %bb.1550:                             ;   in Loop: Header=BB6_1502 Depth=2
	s_mov_b64 s[56:57], exec
	v_mbcnt_lo_u32_b32 v0, s56, 0
	v_mbcnt_hi_u32_b32 v0, s57, v0
	v_cmp_eq_u32_e32 vcc, 0, v0
	;;#ASMSTART
	s_waitcnt lgkmcnt(0) vmcnt(0)
	;;#ASMEND
	s_and_saveexec_b64 s[38:39], vcc
	s_cbranch_execz .LBB6_1552
; %bb.1551:                             ;   in Loop: Header=BB6_1502 Depth=2
	s_bcnt1_i32_b64 vcc_lo, s[56:57]
	v_mov_b32_e32 v4, vcc_lo
	v_mov_b32_e32 v5, v52
	ds_add_u64 v0, v[4:5]
	s_trap 2
.LBB6_1552:                             ;   in Loop: Header=BB6_1502 Depth=2
	s_or_b64 exec, exec, s[38:39]
	s_trap 2
	ds_read_b64 v[4:5], v0
	v_add_co_u32_e32 v48, vcc, v48, v54
	v_addc_co_u32_e32 v49, vcc, 0, v49, vcc
	s_waitcnt lgkmcnt(0)
	v_cmp_lt_u64_e32 vcc, v[4:5], v[48:49]
	s_and_saveexec_b64 s[38:39], vcc
	s_cbranch_execz .LBB6_1561
; %bb.1553:                             ;   in Loop: Header=BB6_1502 Depth=2
	s_mov_b32 s46, 0
	s_mov_b64 s[56:57], 0
                                        ; implicit-def: $sgpr58_sgpr59
                                        ; implicit-def: $sgpr60_sgpr61
	s_branch .LBB6_1555
.LBB6_1554:                             ;   in Loop: Header=BB6_1555 Depth=3
	s_or_b64 exec, exec, s[64:65]
	s_and_b64 vcc, exec, vcc
	s_or_b64 s[56:57], vcc, s[56:57]
	s_andn2_b64 vcc, s[58:59], exec
	s_and_b64 s[58:59], s[60:61], exec
	s_or_b64 s[58:59], vcc, s[58:59]
	s_andn2_b64 exec, exec, s[56:57]
	s_cbranch_execz .LBB6_1559
.LBB6_1555:                             ;   Parent Loop BB6_47 Depth=1
                                        ;     Parent Loop BB6_1502 Depth=2
                                        ; =>    This Inner Loop Header: Depth=3
	s_add_i32 s46, s46, 1
	s_cmpk_lg_i32 s46, 0x2710
	s_cselect_b64 s[62:63], -1, 0
	s_and_b64 vcc, exec, s[62:63]
                                        ; implicit-def: $sgpr64_sgpr65
	s_cbranch_vccnz .LBB6_1557
; %bb.1556:                             ;   in Loop: Header=BB6_1555 Depth=3
	s_trap 2
	ds_read_b64 v[4:5], v0
	s_andn2_b64 s[62:63], s[62:63], exec
	s_mov_b32 s46, 0
	s_mov_b64 s[64:65], -1
	s_waitcnt vmcnt(0) lgkmcnt(0)
	flat_load_dword v0, v[4:5] glc
	s_waitcnt vmcnt(0) lgkmcnt(0)
	buffer_invl2
	buffer_wbinvl1_vol
	v_cmp_eq_u32_e32 vcc, 0, v0
	s_and_b64 vcc, vcc, exec
	s_or_b64 s[62:63], s[62:63], vcc
.LBB6_1557:                             ;   in Loop: Header=BB6_1555 Depth=3
	s_andn2_b64 s[60:61], s[60:61], exec
	s_and_b64 s[64:65], s[64:65], exec
	s_mov_b64 vcc, -1
	s_or_b64 s[60:61], s[60:61], s[64:65]
	s_and_saveexec_b64 s[64:65], s[62:63]
	s_cbranch_execz .LBB6_1554
; %bb.1558:                             ;   in Loop: Header=BB6_1555 Depth=3
	s_sleep 1
	s_trap 2
	ds_read_b64 v[4:5], v0
	s_andn2_b64 s[60:61], s[60:61], exec
	s_waitcnt lgkmcnt(0)
	v_cmp_ge_u64_e32 vcc, v[4:5], v[48:49]
	s_orn2_b64 vcc, vcc, exec
	s_branch .LBB6_1554
.LBB6_1559:                             ;   in Loop: Header=BB6_1502 Depth=2
	s_or_b64 exec, exec, s[56:57]
	s_and_saveexec_b64 vcc, s[58:59]
	s_xor_b64 vcc, exec, vcc
	s_cbranch_execz .LBB6_1561
; %bb.1560:                             ;   in Loop: Header=BB6_1502 Depth=2
	ds_write_b32 v0, v40
	s_trap 2
.LBB6_1561:                             ;   in Loop: Header=BB6_1502 Depth=2
	s_or_b64 exec, exec, s[38:39]
	;;#ASMSTART
	s_wakeup
	;;#ASMEND
.LBB6_1562:                             ;   in Loop: Header=BB6_1502 Depth=2
	s_or_b64 exec, exec, s[36:37]
.LBB6_1563:                             ;   in Loop: Header=BB6_1502 Depth=2
	s_andn2_saveexec_b64 vcc, s[34:35]
	s_cbranch_execz .LBB6_1565
; %bb.1564:                             ;   in Loop: Header=BB6_1502 Depth=2
	;;#ASMSTART
	s_waitcnt lgkmcnt(0) vmcnt(0)
	;;#ASMEND
	s_barrier
.LBB6_1565:                             ;   in Loop: Header=BB6_1502 Depth=2
	s_or_b64 exec, exec, vcc
.LBB6_1566:                             ;   in Loop: Header=BB6_1502 Depth=2
	s_or_b64 exec, exec, s[26:27]
	v_and_b32_e32 v0, 32, v62
	v_cmp_ne_u32_e32 vcc, 0, v0
	s_and_saveexec_b64 s[26:27], vcc
	s_cbranch_execz .LBB6_1501
; %bb.1567:                             ;   in Loop: Header=BB6_1502 Depth=2
	v_add_co_u32_e32 v32, vcc, 2, v32
	v_addc_co_u32_e32 v33, vcc, 0, v33, vcc
	flat_store_dwordx2 v[34:35], v[32:33]
	s_branch .LBB6_1501
.LBB6_1568:
	s_or_b64 exec, exec, s[44:45]
	v_accvgpr_read_b32 v21, a11
	v_accvgpr_read_b32 v18, a0
	;; [unrolled: 1-line block ×5, first 2 shown]
.LBB6_1569:
	s_or_b64 exec, exec, s[42:43]
	v_and_b32_e32 v0, 0x800, v62
	v_cmp_eq_u32_e32 vcc, 0, v0
	s_and_saveexec_b64 s[4:5], vcc
	s_cbranch_execz .LBB6_1604
; %bb.1570:
	v_and_b32_e32 v0, 48, v62
	v_cmp_ne_u32_e32 vcc, 0, v0
	s_and_saveexec_b64 s[6:7], vcc
	s_cbranch_execz .LBB6_1572
; %bb.1571:
	flat_store_dwordx2 v[20:21], v[32:33] offset:104
.LBB6_1572:
	s_or_b64 exec, exec, s[6:7]
	s_movk_i32 s6, 0x88
	v_and_b32_e32 v0, 0x88, v62
	v_cmp_eq_u32_e32 vcc, s6, v0
	s_and_saveexec_b64 s[6:7], vcc
	s_cbranch_execz .LBB6_1584
; %bb.1573:
	v_add_u32_e32 v0, 6, v32
	v_and_b32_e32 v0, 7, v0
	v_mad_u64_u32 v[0:1], s[10:11], v0, 24, v[6:7]
	v_add_co_u32_e32 v2, vcc, 8, v0
	v_addc_co_u32_e32 v3, vcc, 0, v1, vcc
	s_mov_b64 s[10:11], 0
	v_mov_b32_e32 v0, 0
	s_movk_i32 s24, 0x270e
                                        ; implicit-def: $sgpr12_sgpr13
	s_branch .LBB6_1578
.LBB6_1574:                             ;   in Loop: Header=BB6_1578 Depth=1
	s_or_b64 exec, exec, s[22:23]
	v_mov_b32_e32 v1, 0
	s_orn2_b64 s[20:21], s[20:21], exec
.LBB6_1575:                             ;   in Loop: Header=BB6_1578 Depth=1
	s_or_b64 exec, exec, s[18:19]
	s_and_b64 s[18:19], s[20:21], exec
	v_mov_b32_e32 v0, v1
.LBB6_1576:                             ;   in Loop: Header=BB6_1578 Depth=1
	s_or_b64 exec, exec, s[16:17]
	s_xor_b64 s[16:17], s[18:19], -1
	s_andn2_b64 s[12:13], s[12:13], exec
	s_and_b64 s[16:17], s[16:17], exec
	s_or_b64 s[12:13], s[12:13], s[16:17]
.LBB6_1577:                             ;   in Loop: Header=BB6_1578 Depth=1
	s_or_b64 exec, exec, s[14:15]
	s_and_b64 s[14:15], exec, s[12:13]
	s_or_b64 s[10:11], s[14:15], s[10:11]
	s_andn2_b64 exec, exec, s[10:11]
	s_cbranch_execz .LBB6_1583
.LBB6_1578:                             ; =>This Inner Loop Header: Depth=1
	flat_load_dwordx2 v[4:5], v[2:3] glc
	s_waitcnt vmcnt(0)
	s_or_b64 s[12:13], s[12:13], exec
	s_waitcnt lgkmcnt(0)
	v_cmp_ne_u64_e32 vcc, -1, v[4:5]
	s_and_saveexec_b64 s[14:15], vcc
	s_cbranch_execz .LBB6_1577
; %bb.1579:                             ;   in Loop: Header=BB6_1578 Depth=1
	v_and_b32_e32 v1, 64, v62
	v_cmp_eq_u32_e32 vcc, 0, v1
	s_mov_b64 s[18:19], 0
	s_and_saveexec_b64 s[16:17], vcc
	s_cbranch_execz .LBB6_1576
; %bb.1580:                             ;   in Loop: Header=BB6_1578 Depth=1
	v_add_u32_e32 v1, 1, v0
	v_cmp_lt_i32_e32 vcc, s24, v0
	s_mov_b64 s[20:21], -1
	s_and_saveexec_b64 s[18:19], vcc
	s_cbranch_execz .LBB6_1575
; %bb.1581:                             ;   in Loop: Header=BB6_1578 Depth=1
	s_trap 2
	ds_read_b64 v[0:1], v0
	s_waitcnt lgkmcnt(0)
	flat_load_dword v0, v[0:1] glc
	s_waitcnt vmcnt(0) lgkmcnt(0)
	buffer_invl2
	buffer_wbinvl1_vol
	v_cmp_ne_u32_e32 vcc, 0, v0
	s_and_saveexec_b64 s[22:23], vcc
	s_cbranch_execz .LBB6_1574
; %bb.1582:                             ;   in Loop: Header=BB6_1578 Depth=1
	v_or_b32_e32 v62, 64, v62
	s_xor_b64 s[20:21], exec, -1
	ds_write_b32 v0, v0
	s_trap 2
	s_branch .LBB6_1574
.LBB6_1583:
	s_or_b64 exec, exec, s[10:11]
.LBB6_1584:
	s_or_b64 exec, exec, s[6:7]
	v_and_b32_e32 v0, 0x2000, v62
	v_cmp_ne_u32_e32 vcc, 0, v0
	s_and_saveexec_b64 s[6:7], vcc
	s_cbranch_execz .LBB6_1586
; %bb.1585:
	s_trap 2
	ds_read_b64 v[0:1], v0
	v_accvgpr_read_b32 v2, a8
	v_accvgpr_read_b32 v3, a9
	s_waitcnt lgkmcnt(0)
	flat_store_dwordx2 v[2:3], v[0:1] offset:16
.LBB6_1586:
	s_or_b64 exec, exec, s[6:7]
	v_cmp_ne_u32_e32 vcc, 64, v18
	s_and_b64 exec, exec, vcc
	s_cbranch_execz .LBB6_1604
; %bb.1587:
	v_cmp_ne_u32_sdwa s[6:7], v19, v18 src0_sel:WORD_0 src1_sel:DWORD
	s_and_saveexec_b64 s[10:11], s[6:7]
	s_xor_b64 s[6:7], exec, s[10:11]
	s_cbranch_execz .LBB6_1602
; %bb.1588:
	v_and_b32_e32 v0, 63, v31
	v_cmp_eq_u32_e32 vcc, 0, v0
	s_and_saveexec_b64 s[10:11], vcc
	s_cbranch_execz .LBB6_1601
; %bb.1589:
	s_mov_b64 s[14:15], exec
	v_mbcnt_lo_u32_b32 v0, s14, 0
	v_mbcnt_hi_u32_b32 v0, s15, v0
	v_cmp_eq_u32_e32 vcc, 0, v0
	s_waitcnt vmcnt(0) lgkmcnt(0)
	buffer_wbinvl1_vol
	s_and_saveexec_b64 s[12:13], vcc
	s_cbranch_execz .LBB6_1591
; %bb.1590:
	s_bcnt1_i32_b64 s14, s[14:15]
	v_mov_b32_e32 v0, s14
	v_mov_b32_e32 v1, 0
	ds_add_u64 v0, v[0:1]
	s_trap 2
.LBB6_1591:
	s_or_b64 exec, exec, s[12:13]
	v_ashrrev_i32_e32 v0, 31, v18
	v_lshrrev_b32_e32 v0, 26, v0
	v_add_u32_e32 v0, v18, v0
	v_ashrrev_i32_e32 v0, 6, v0
	s_trap 2
	ds_read_b64 v[2:3], v0
	v_ashrrev_i32_e32 v1, 31, v0
	v_add_co_u32_e32 v0, vcc, v48, v0
	v_addc_co_u32_e32 v1, vcc, v49, v1, vcc
	s_waitcnt lgkmcnt(0)
	v_cmp_lt_u64_e32 vcc, v[2:3], v[0:1]
	s_and_saveexec_b64 s[12:13], vcc
	s_cbranch_execz .LBB6_1600
; %bb.1592:
	s_mov_b32 s26, 0
	s_mov_b64 s[14:15], 0
                                        ; implicit-def: $sgpr16_sgpr17
                                        ; implicit-def: $sgpr18_sgpr19
	s_branch .LBB6_1594
.LBB6_1593:                             ;   in Loop: Header=BB6_1594 Depth=1
	s_or_b64 exec, exec, s[24:25]
	s_and_b64 s[20:21], exec, s[22:23]
	s_or_b64 s[14:15], s[20:21], s[14:15]
	s_andn2_b64 s[16:17], s[16:17], exec
	s_and_b64 s[20:21], s[18:19], exec
	s_or_b64 s[16:17], s[16:17], s[20:21]
	s_andn2_b64 exec, exec, s[14:15]
	s_cbranch_execz .LBB6_1598
.LBB6_1594:                             ; =>This Inner Loop Header: Depth=1
	s_add_i32 s26, s26, 1
	s_cmpk_lg_i32 s26, 0x2710
	s_cselect_b64 s[20:21], -1, 0
	s_and_b64 vcc, exec, s[20:21]
                                        ; implicit-def: $sgpr24_sgpr25
	s_cbranch_vccnz .LBB6_1596
; %bb.1595:                             ;   in Loop: Header=BB6_1594 Depth=1
	s_trap 2
	ds_read_b64 v[2:3], v0
	s_andn2_b64 s[20:21], s[20:21], exec
	s_mov_b32 s26, 0
	s_mov_b64 s[24:25], -1
	s_waitcnt lgkmcnt(0)
	flat_load_dword v2, v[2:3] glc
	s_waitcnt vmcnt(0) lgkmcnt(0)
	buffer_invl2
	buffer_wbinvl1_vol
	v_cmp_eq_u32_e32 vcc, 0, v2
	s_and_b64 s[22:23], vcc, exec
	s_or_b64 s[20:21], s[20:21], s[22:23]
.LBB6_1596:                             ;   in Loop: Header=BB6_1594 Depth=1
	s_andn2_b64 s[18:19], s[18:19], exec
	s_and_b64 s[24:25], s[24:25], exec
	s_mov_b64 s[22:23], -1
	s_or_b64 s[18:19], s[18:19], s[24:25]
	s_and_saveexec_b64 s[24:25], s[20:21]
	s_cbranch_execz .LBB6_1593
; %bb.1597:                             ;   in Loop: Header=BB6_1594 Depth=1
	s_sleep 1
	s_trap 2
	ds_read_b64 v[2:3], v0
	s_andn2_b64 s[18:19], s[18:19], exec
	s_waitcnt lgkmcnt(0)
	v_cmp_ge_u64_e32 vcc, v[2:3], v[0:1]
	s_orn2_b64 s[22:23], vcc, exec
	s_branch .LBB6_1593
.LBB6_1598:
	s_or_b64 exec, exec, s[14:15]
	s_and_saveexec_b64 s[14:15], s[16:17]
	s_xor_b64 s[14:15], exec, s[14:15]
	s_cbranch_execz .LBB6_1600
; %bb.1599:
	v_mov_b32_e32 v0, 1
	ds_write_b32 v0, v0
	s_trap 2
.LBB6_1600:
	s_or_b64 exec, exec, s[12:13]
	;;#ASMSTART
	s_wakeup
	;;#ASMEND
.LBB6_1601:
	s_or_b64 exec, exec, s[10:11]
.LBB6_1602:
	s_andn2_saveexec_b64 s[6:7], s[6:7]
	s_cbranch_execz .LBB6_1604
; %bb.1603:
	s_waitcnt vmcnt(0) lgkmcnt(0)
	buffer_wbinvl1_vol
	s_barrier
.LBB6_1604:
	s_or_b64 exec, exec, s[4:5]
.LBB6_1605:
	s_andn2_saveexec_b64 s[26:27], s[40:41]
	s_cbranch_execz .LBB6_1607
; %bb.1606:
	s_getpc_b64 s[4:5]
	s_add_u32 s4, s4, __PRETTY_FUNCTION__._ZN10PrimitivesI12hip_bfloat1610FuncMinMaxIS0_E12FanSymmetricILi1EELi0E11ProtoSimpleILi2ELi2ELi0ELi2ELi0ELi0EELi0ELb0ELi0ELi0ELi0EEC2EiiPKiS9_PKvPvmhhhP15ncclDevWorkCollP14ncclDevWorkP2pii@rel32@lo+4
	s_addc_u32 s5, s5, __PRETTY_FUNCTION__._ZN10PrimitivesI12hip_bfloat1610FuncMinMaxIS0_E12FanSymmetricILi1EELi0E11ProtoSimpleILi2ELi2ELi0ELi2ELi0ELi0EELi0ELb0ELi0ELi0ELi0EEC2EiiPKiS9_PKvPvmhhhP15ncclDevWorkCollP14ncclDevWorkP2pii@rel32@hi+12
	v_mov_b32_e32 v0, s4
	v_mov_b32_e32 v1, s5
	s_getpc_b64 s[6:7]
	s_add_u32 s6, s6, __assert_fail@rel32@lo+4
	s_addc_u32 s7, s7, __assert_fail@rel32@hi+12
	s_swappc_b64 s[30:31], s[6:7]
	; divergent unreachable
.LBB6_1607:
	s_or_b64 exec, exec, s[26:27]
	buffer_load_dword a33, off, s[0:3], s33 ; 4-byte Folded Reload
	buffer_load_dword a32, off, s[0:3], s33 offset:4 ; 4-byte Folded Reload
	buffer_load_dword v62, off, s[0:3], s33 offset:8 ; 4-byte Folded Reload
	;; [unrolled: 1-line block ×10, first 2 shown]
	s_waitcnt lgkmcnt(0)
	buffer_load_dword v45, off, s[0:3], s33 offset:44 ; 4-byte Folded Reload
	buffer_load_dword v44, off, s[0:3], s33 offset:48 ; 4-byte Folded Reload
	;; [unrolled: 1-line block ×6, first 2 shown]
	v_readlane_b32 s30, v63, 58
	v_readlane_b32 s31, v63, 59
	;; [unrolled: 1-line block ×61, first 2 shown]
	s_or_saveexec_b64 s[6:7], -1
	buffer_load_dword v63, off, s[0:3], s33 offset:68 ; 4-byte Folded Reload
	s_mov_b64 exec, s[6:7]
	s_addk_i32 s32, 0xec00
	s_mov_b32 s33, s4
	s_waitcnt vmcnt(0)
	s_setpc_b64 s[30:31]
.Lfunc_end6:
	.size	_ZN12_GLOBAL__N_17runRingI12hip_bfloat1610FuncMinMaxIS1_E11ProtoSimpleILi2ELi2ELi0ELi2ELi0ELi0EELi0ELi0ELi2ELi0EEEviiP15ncclDevWorkColl, .Lfunc_end6-_ZN12_GLOBAL__N_17runRingI12hip_bfloat1610FuncMinMaxIS1_E11ProtoSimpleILi2ELi2ELi0ELi2ELi0ELi0EELi0ELi0ELi2ELi0EEEviiP15ncclDevWorkColl
                                        ; -- End function
	.section	.AMDGPU.csdata,"",@progbits
; Function info:
; codeLenInByte = 48016
; NumSgprs: 96
; NumVgprs: 64
; NumAgprs: 34
; TotalNumVgprs: 98
; ScratchSize: 144
; MemoryBound: 1
	.text
	.p2align	2                               ; -- Begin function _Z51ncclDevFunc_AllReduce_RING_SIMPLE_MinMax_bf16_0_0_2v
	.type	_Z51ncclDevFunc_AllReduce_RING_SIMPLE_MinMax_bf16_0_0_2v,@function
_Z51ncclDevFunc_AllReduce_RING_SIMPLE_MinMax_bf16_0_0_2v: ; @_Z51ncclDevFunc_AllReduce_RING_SIMPLE_MinMax_bf16_0_0_2v
; %bb.0:
	s_waitcnt vmcnt(0) expcnt(0) lgkmcnt(0)
	s_mov_b32 s4, s33
	s_mov_b32 s33, s32
	s_or_saveexec_b64 s[6:7], -1
	buffer_store_dword v43, off, s[0:3], s33 offset:16 ; 4-byte Folded Spill
	buffer_store_dword v44, off, s[0:3], s33 offset:20 ; 4-byte Folded Spill
	s_mov_b64 exec, s[6:7]
	v_writelane_b32 v44, s4, 4
	s_addk_i32 s32, 0x800
	buffer_store_dword v40, off, s[0:3], s33 offset:12 ; 4-byte Folded Spill
	buffer_store_dword v41, off, s[0:3], s33 offset:8 ; 4-byte Folded Spill
	;; [unrolled: 1-line block ×3, first 2 shown]
	buffer_store_dword v63, off, s[0:3], s33 ; 4-byte Folded Spill
	v_writelane_b32 v43, s34, 0
	v_writelane_b32 v43, s35, 1
	;; [unrolled: 1-line block ×68, first 2 shown]
	s_trap 2
	ds_read_b32 v0, v0
	v_mov_b32_e32 v40, v31
	v_and_b32_e32 v41, 0x3ff, v40
	s_mov_b32 s94, s12
	s_mov_b64 s[92:93], s[8:9]
	s_waitcnt lgkmcnt(0)
	v_cmp_lt_i32_e32 vcc, v41, v0
	s_and_saveexec_b64 s[4:5], vcc
	s_cbranch_execz .LBB7_5
; %bb.1:
	s_load_dword s6, s[92:93], 0x0
	v_mov_b32_e32 v1, 0
	s_mov_b32 s10, 0
	v_mov_b32_e32 v4, v41
                                        ; implicit-def: $vgpr2
	s_waitcnt lgkmcnt(0)
	s_cmp_lt_u32 s94, s6
	s_cselect_b32 s6, 12, 18
	s_add_u32 s6, s92, s6
	s_addc_u32 s7, s93, 0
	global_load_ushort v1, v1, s[6:7]
	s_trap 2
	ds_read_b32 v3, v0
	s_mov_b64 s[6:7], 0
	s_waitcnt vmcnt(0) lgkmcnt(0)
	v_mul_lo_u32 v3, v3, v1
	s_branch .LBB7_3
.LBB7_2:                                ;   in Loop: Header=BB7_3 Depth=1
	s_or_b64 exec, exec, s[8:9]
	v_add_u32_e32 v4, v4, v1
	v_cmp_ge_i32_e32 vcc, v4, v0
	s_or_b64 s[6:7], vcc, s[6:7]
	v_add_u32_e32 v2, v2, v3
	s_andn2_b64 exec, exec, s[6:7]
	s_cbranch_execz .LBB7_5
.LBB7_3:                                ; =>This Inner Loop Header: Depth=1
	ds_read_b32 v5, v2
	s_waitcnt lgkmcnt(0)
	v_and_b32_e32 v5, 0x1000000, v5
	v_cmp_ne_u32_e32 vcc, 0, v5
	s_and_saveexec_b64 s[8:9], vcc
	s_cbranch_execz .LBB7_2
; %bb.4:                                ;   in Loop: Header=BB7_3 Depth=1
	ds_read_b64 v[6:7], v2 offset:104
	s_waitcnt lgkmcnt(0)
	flat_load_ushort v5, v[6:7]
	v_mov_b32_e32 v7, s10
	s_waitcnt vmcnt(0) lgkmcnt(0)
	v_and_b32_e32 v6, 0xffff, v5
	ds_write_b64 v2, v[6:7] offset:104
	s_branch .LBB7_2
.LBB7_5:
	s_or_b64 exec, exec, s[4:5]
	s_waitcnt lgkmcnt(0)
	s_barrier
	s_trap 2
	ds_read_b32 v0, v0
	s_waitcnt lgkmcnt(0)
	v_cmp_gt_i32_e32 vcc, 1, v0
	s_cbranch_vccnz .LBB7_13
; %bb.6:
	s_mov_b32 s95, 0
	s_mov_b64 s[96:97], src_shared_base
	v_mov_b32_e32 v42, 6
	s_branch .LBB7_8
.LBB7_7:                                ;   in Loop: Header=BB7_8 Depth=1
	s_or_b64 exec, exec, s[98:99]
	s_trap 2
	ds_read_b32 v0, v0
	s_add_i32 s95, s95, 1
	s_waitcnt lgkmcnt(0)
	v_cmp_lt_i32_e32 vcc, s95, v0
	s_cbranch_vccz .LBB7_13
.LBB7_8:                                ; =>This Inner Loop Header: Depth=1
	s_trap 2
	ds_read_b32 v0, v0
	s_cmp_eq_u32 s95, 0
	s_cbranch_scc1 .LBB7_11
; %bb.9:                                ;   in Loop: Header=BB7_8 Depth=1
	s_trap 2
	s_waitcnt lgkmcnt(0)
	ds_read_b32 v1, v0
	s_waitcnt lgkmcnt(0)
	v_xor_b32_e32 v1, v1, v0
	v_and_b32_e32 v1, 0xff0000, v1
	v_cmp_eq_u32_e32 vcc, 0, v1
	s_cbranch_vccnz .LBB7_11
; %bb.10:                               ;   in Loop: Header=BB7_8 Depth=1
	s_barrier
	ds_read_b32 v0, v0
.LBB7_11:                               ;   in Loop: Header=BB7_8 Depth=1
	s_waitcnt lgkmcnt(0)
	v_lshlrev_b32_sdwa v1, v42, v0 dst_sel:DWORD dst_unused:UNUSED_PAD src0_sel:DWORD src1_sel:BYTE_2
	v_cmp_lt_u32_e32 vcc, v41, v1
	s_and_saveexec_b64 s[98:99], vcc
	s_cbranch_execz .LBB7_7
; %bb.12:                               ;   in Loop: Header=BB7_8 Depth=1
	s_mov_b64 s[8:9], s[92:93]
	s_mov_b32 s12, s94
	v_mov_b32_e32 v31, v40
	v_mov_b32_e32 v0, v41
	;; [unrolled: 1-line block ×3, first 2 shown]
	s_getpc_b64 s[4:5]
	s_add_u32 s4, s4, _ZN12_GLOBAL__N_17runRingI12hip_bfloat1610FuncMinMaxIS1_E11ProtoSimpleILi2ELi2ELi0ELi2ELi0ELi0EELi0ELi0ELi2ELi0EEEviiP15ncclDevWorkColl@rel32@lo+4
	s_addc_u32 s5, s5, _ZN12_GLOBAL__N_17runRingI12hip_bfloat1610FuncMinMaxIS1_E11ProtoSimpleILi2ELi2ELi0ELi2ELi0ELi0EELi0ELi0ELi2ELi0EEEviiP15ncclDevWorkColl@rel32@hi+12
	s_swappc_b64 s[30:31], s[4:5]
	s_branch .LBB7_7
.LBB7_13:
	buffer_load_dword v63, off, s[0:3], s33 ; 4-byte Folded Reload
	buffer_load_dword v42, off, s[0:3], s33 offset:4 ; 4-byte Folded Reload
	buffer_load_dword v41, off, s[0:3], s33 offset:8 ; 4-byte Folded Reload
	;; [unrolled: 1-line block ×3, first 2 shown]
	v_readlane_b32 s30, v44, 2
	v_readlane_b32 s31, v44, 3
	;; [unrolled: 1-line block ×69, first 2 shown]
	s_or_saveexec_b64 s[6:7], -1
	buffer_load_dword v43, off, s[0:3], s33 offset:16 ; 4-byte Folded Reload
	buffer_load_dword v44, off, s[0:3], s33 offset:20 ; 4-byte Folded Reload
	s_mov_b64 exec, s[6:7]
	s_addk_i32 s32, 0xf800
	s_mov_b32 s33, s4
	s_waitcnt vmcnt(0)
	s_setpc_b64 s[30:31]
.Lfunc_end7:
	.size	_Z51ncclDevFunc_AllReduce_RING_SIMPLE_MinMax_bf16_0_0_2v, .Lfunc_end7-_Z51ncclDevFunc_AllReduce_RING_SIMPLE_MinMax_bf16_0_0_2v
                                        ; -- End function
	.section	.AMDGPU.csdata,"",@progbits
; Function info:
; codeLenInByte = 1712
; NumSgprs: 104
; NumVgprs: 64
; NumAgprs: 34
; TotalNumVgprs: 98
; ScratchSize: 176
; MemoryBound: 0
	.text
	.p2align	2                               ; -- Begin function _ZN12_GLOBAL__N_17runRingI12hip_bfloat1610FuncMinMaxIS1_E11ProtoSimpleILi2ELi2ELi0ELi2ELi0ELi0EELi0ELi0ELi2ELi1EEEviiP15ncclDevWorkColl
	.type	_ZN12_GLOBAL__N_17runRingI12hip_bfloat1610FuncMinMaxIS1_E11ProtoSimpleILi2ELi2ELi0ELi2ELi0ELi0EELi0ELi0ELi2ELi1EEEviiP15ncclDevWorkColl,@function
_ZN12_GLOBAL__N_17runRingI12hip_bfloat1610FuncMinMaxIS1_E11ProtoSimpleILi2ELi2ELi0ELi2ELi0ELi0EELi0ELi0ELi2ELi1EEEviiP15ncclDevWorkColl: ; @_ZN12_GLOBAL__N_17runRingI12hip_bfloat1610FuncMinMaxIS1_E11ProtoSimpleILi2ELi2ELi0ELi2ELi0ELi0EELi0ELi0ELi2ELi1EEEviiP15ncclDevWorkColl
; %bb.0:
	s_waitcnt vmcnt(0) expcnt(0) lgkmcnt(0)
	s_mov_b32 s4, s33
	s_mov_b32 s33, s32
	s_or_saveexec_b64 s[6:7], -1
	buffer_store_dword v63, off, s[0:3], s33 offset:280 ; 4-byte Folded Spill
	s_mov_b64 exec, s[6:7]
	v_mov_b32_e32 v4, s4
	buffer_store_dword v4, off, s[0:3], s33 offset:284 ; 4-byte Folded Spill
	s_addk_i32 s32, 0x4c00
	buffer_store_dword v40, off, s[0:3], s33 offset:184 ; 4-byte Folded Spill
	buffer_store_dword v41, off, s[0:3], s33 offset:180 ; 4-byte Folded Spill
	;; [unrolled: 1-line block ×46, first 2 shown]
	buffer_store_dword a63, off, s[0:3], s33 ; 4-byte Folded Spill
	v_writelane_b32 v63, s34, 0
	v_writelane_b32 v63, s35, 1
	;; [unrolled: 1-line block ×64, first 2 shown]
	s_trap 2
	flat_load_dword v6, v[2:3]
	ds_read_b32 v7, v0
	v_mov_b32_e32 v22, v1
                                        ; implicit-def: $vgpr4_vgpr5
                                        ; implicit-def: $agpr2_agpr3
                                        ; implicit-def: $vgpr18_vgpr19
	s_waitcnt lgkmcnt(0)
	v_readfirstlane_b32 s76, v7
	s_waitcnt vmcnt(0)
	v_cmp_ne_u32_sdwa s[4:5], v6, v7 src0_sel:BYTE_0 src1_sel:DWORD
	s_and_saveexec_b64 s[6:7], s[4:5]
	s_xor_b64 s[4:5], exec, s[6:7]
	s_cbranch_execz .LBB8_6
; %bb.1:
	v_not_b32_sdwa v1, v6 dst_sel:DWORD dst_unused:UNUSED_PAD src0_sel:BYTE_0
	v_cmp_ne_u32_sdwa s[6:7], v6, v7 src0_sel:BYTE_1 src1_sel:DWORD
                                        ; implicit-def: $vgpr4_vgpr5
                                        ; implicit-def: $agpr2_agpr3
                                        ; implicit-def: $vgpr18_vgpr19
	s_and_saveexec_b64 s[10:11], s[6:7]
	s_xor_b64 s[6:7], exec, s[10:11]
	s_cbranch_execz .LBB8_3
; %bb.2:
	flat_load_dwordx4 v[8:11], v[2:3] offset:72
	flat_load_dwordx2 v[4:5], v[2:3] offset:96
	v_add_u32_e32 v1, v7, v1
	v_ashrrev_i32_e32 v6, 31, v1
	s_waitcnt vmcnt(0) lgkmcnt(0)
	v_mul_lo_u32 v6, v10, v6
	v_mad_u64_u32 v[8:9], s[10:11], v10, v1, v[8:9]
	v_mul_lo_u32 v1, v11, v1
	v_add3_u32 v9, v1, v9, v6
	v_accvgpr_write_b32 a2, v8
	v_lshrrev_b64 v[4:5], 13, v[4:5]
	v_accvgpr_write_b32 a3, v9
	v_pk_mov_b32 v[18:19], v[10:11], v[10:11] op_sel:[0,1]
                                        ; implicit-def: $vgpr6
                                        ; implicit-def: $vgpr1
.LBB8_3:
	s_andn2_saveexec_b64 s[6:7], s[6:7]
	s_cbranch_execz .LBB8_5
; %bb.4:
	flat_load_dwordx4 v[8:11], v[2:3] offset:72
	flat_load_dwordx4 v[18:21], v[2:3] offset:88
	v_add_u32_sdwa v1, v6, v1 dst_sel:DWORD dst_unused:UNUSED_PAD src0_sel:BYTE_1 src1_sel:DWORD
	v_ashrrev_i32_e32 v4, 31, v1
	s_waitcnt vmcnt(0) lgkmcnt(0)
	v_mul_lo_u32 v4, v10, v4
	v_mad_u64_u32 v[6:7], s[10:11], v10, v1, v[8:9]
	v_mul_lo_u32 v1, v11, v1
	v_add3_u32 v7, v1, v7, v4
	v_accvgpr_write_b32 a2, v6
	v_accvgpr_write_b32 a3, v7
	v_lshrrev_b32_e32 v4, 2, v21
.LBB8_5:
	s_or_b64 exec, exec, s[6:7]
.LBB8_6:
	s_andn2_saveexec_b64 s[4:5], s[4:5]
	s_cbranch_execz .LBB8_8
; %bb.7:
	flat_load_dwordx2 v[4:5], v[2:3] offset:96
	flat_load_dwordx2 v[18:19], v[2:3] offset:72
	v_pk_mov_b32 v[6:7], 0, 0
	v_accvgpr_write_b32 a2, v6
	v_accvgpr_write_b32 a3, v7
	s_waitcnt vmcnt(0) lgkmcnt(0)
	v_lshlrev_b64 v[4:5], 8, v[4:5]
.LBB8_8:
	s_or_b64 exec, exec, s[4:5]
	s_trap 2
	ds_read_b64 v[6:7], v0
	s_waitcnt lgkmcnt(0)
	v_cmp_ne_u32_e32 vcc, -1, v6
	v_cndmask_b32_e64 v1, 0, 1, vcc
	v_cmp_ne_u32_e32 vcc, -1, v7
	v_addc_co_u32_e64 v5, s[4:5], 0, v1, vcc
	v_lshlrev_b32_e32 v6, 1, v5
	v_cmp_le_i32_e64 s[4:5], v6, v22
	s_and_saveexec_b64 s[6:7], s[4:5]
	s_xor_b64 s[38:39], exec, s[6:7]
	s_cbranch_execz .LBB8_2539
; %bb.9:
	flat_load_dwordx2 v[6:7], v[2:3] offset:104
	flat_load_dwordx4 v[10:13], v[2:3] offset:16
	flat_load_ushort v15, v[2:3] offset:8
	flat_load_dword v14, v[2:3] offset:4
	s_trap 2
	s_load_dword s4, s[8:9], 0x0
	v_mov_b32_e32 v8, 0
	v_mov_b32_e32 v62, 4
	s_waitcnt lgkmcnt(0)
	s_cmp_lt_u32 s12, s4
	s_cselect_b32 s4, 12, 18
	s_add_u32 s4, s8, s4
	s_addc_u32 s5, s9, 0
	global_load_ushort a1, v8, s[4:5]
	ds_read_b32 v8, v0
	v_cmp_ge_i32_e64 s[4:5], v0, v1
	s_waitcnt lgkmcnt(0)
	v_readfirstlane_b32 s18, v8
	s_and_saveexec_b64 s[6:7], s[4:5]
	s_cbranch_execz .LBB8_19
; %bb.10:
	v_cmp_le_u32_e64 s[4:5], v5, v0
                                        ; implicit-def: $vgpr62
	s_and_saveexec_b64 s[10:11], s[4:5]
	s_xor_b64 s[4:5], exec, s[10:11]
	s_cbranch_execz .LBB8_16
; %bb.11:
	v_cndmask_b32_e64 v8, 0, 1, vcc
	v_sub_u32_e32 v8, v22, v8
	v_cmp_ge_u32_e32 vcc, v0, v8
                                        ; implicit-def: $sgpr12
	s_and_saveexec_b64 s[10:11], vcc
	s_xor_b64 s[10:11], exec, s[10:11]
; %bb.12:
	s_mov_b32 s12, 16
                                        ; implicit-def: $vgpr5
; %bb.13:
	s_or_saveexec_b64 s[10:11], s[10:11]
	v_mov_b32_e32 v62, s12
	s_xor_b64 exec, exec, s[10:11]
; %bb.14:
	v_sub_u32_e32 v5, v22, v5
	v_cmp_ge_i32_e32 vcc, v0, v5
	v_cndmask_b32_e64 v5, 0, 1, vcc
	v_lshlrev_b32_e32 v62, 5, v5
; %bb.15:
	s_or_b64 exec, exec, s[10:11]
.LBB8_16:
	s_andn2_saveexec_b64 s[4:5], s[4:5]
; %bb.17:
	v_mov_b32_e32 v62, 8
; %bb.18:
	s_or_b64 exec, exec, s[4:5]
.LBB8_19:
	s_or_b64 exec, exec, s[6:7]
	v_and_b32_e32 v5, 36, v62
	v_cmp_ne_u32_e32 vcc, 0, v5
	v_mov_b32_e32 v8, -1
	s_and_saveexec_b64 s[4:5], vcc
	s_cbranch_execz .LBB8_21
; %bb.20:
	s_trap 2
	ds_read_b32 v8, v0
.LBB8_21:
	s_or_b64 exec, exec, s[4:5]
	v_and_b32_e32 v5, 24, v62
	v_cmp_ne_u32_e64 s[4:5], 0, v5
	s_and_saveexec_b64 s[6:7], s[4:5]
	s_cbranch_execz .LBB8_23
; %bb.22:
	s_trap 2
	s_waitcnt lgkmcnt(0)
	ds_read_b32 v8, v0
.LBB8_23:
	s_or_b64 exec, exec, s[6:7]
	v_pk_mov_b32 v[20:21], 0, 0
	s_waitcnt vmcnt(0)
	v_lshrrev_b64 v[14:15], 31, v[14:15]
	v_accvgpr_write_b32 a10, v20
	v_and_b32_e32 v5, 3, v14
	s_waitcnt lgkmcnt(0)
	v_ashrrev_i32_e32 v9, 31, v8
	v_accvgpr_write_b32 a11, v21
                                        ; implicit-def: $vgpr14_vgpr15
                                        ; kill: killed $vgpr14_vgpr15
                                        ; implicit-def: $agpr14
                                        ; implicit-def: $vgpr44_vgpr45
                                        ; implicit-def: $agpr16_agpr17
                                        ; implicit-def: $vgpr60_vgpr61
                                        ; implicit-def: $vgpr46_vgpr47
	s_and_saveexec_b64 s[4:5], vcc
	s_cbranch_execz .LBB8_33
; %bb.24:
	s_trap 2
	ds_read_b64 v[14:15], v0
	v_lshlrev_b64 v[16:17], 3, v[8:9]
	s_movk_i32 s6, 0xa8
	s_waitcnt lgkmcnt(0)
	v_add_co_u32_e32 v14, vcc, v14, v16
	v_addc_co_u32_e32 v15, vcc, v15, v17, vcc
	flat_load_dwordx2 v[14:15], v[14:15]
	v_and_b32_e32 v16, 0xffff, v5
	s_waitcnt vmcnt(0) lgkmcnt(0)
	v_mad_u64_u32 v[14:15], s[6:7], v16, s6, v[14:15]
	flat_load_dword v16, v[14:15] offset:640
	v_add_co_u32_e32 v20, vcc, 0x1f8, v14
	v_addc_co_u32_e32 v21, vcc, 0, v15, vcc
                                        ; implicit-def: $vgpr14_vgpr15
                                        ; kill: killed $vgpr14_vgpr15
	s_waitcnt vmcnt(0) lgkmcnt(0)
	v_cmp_eq_u32_e32 vcc, 1, v16
	s_and_saveexec_b64 s[6:7], vcc
	s_cbranch_execz .LBB8_26
; %bb.25:
	flat_load_dwordx2 v[16:17], v[20:21] offset:144
	v_or_b32_e32 v62, 0x2000, v62
	s_waitcnt vmcnt(0) lgkmcnt(0)
	flat_load_dwordx2 v[14:15], v[16:17]
	s_trap 2
	s_waitcnt vmcnt(0) lgkmcnt(0)
	ds_write_b64 v0, v[14:15]
	flat_load_dwordx2 v[14:15], v[16:17] offset:8
	s_waitcnt vmcnt(0) lgkmcnt(0)
	ds_write_b64 v0, v[14:15]
	buffer_store_dword v16, off, s[0:3], s33 offset:272 ; 4-byte Folded Spill
	s_nop 0
	buffer_store_dword v17, off, s[0:3], s33 offset:276 ; 4-byte Folded Spill
	flat_load_dwordx2 v[14:15], v[16:17] offset:16
	s_waitcnt vmcnt(0) lgkmcnt(0)
	ds_write_b64 v0, v[14:15]
.LBB8_26:
	s_or_b64 exec, exec, s[6:7]
	flat_load_dwordx2 v[14:15], v[20:21] offset:104
	v_and_b32_e32 v16, 32, v62
                                        ; implicit-def: $vgpr46_vgpr47
	s_waitcnt vmcnt(0) lgkmcnt(0)
	v_add_co_u32_e32 v14, vcc, 3, v14
	v_addc_co_u32_e32 v45, vcc, 0, v15, vcc
	v_and_b32_e32 v44, -4, v14
	v_cmp_ne_u32_e32 vcc, 0, v16
	s_and_saveexec_b64 s[6:7], vcc
	s_cbranch_execz .LBB8_28
; %bb.27:
	flat_load_dwordx2 v[46:47], v[20:21] offset:56
	s_waitcnt vmcnt(0) lgkmcnt(0)
	flat_store_dwordx2 v[46:47], v[44:45]
.LBB8_28:
	s_or_b64 exec, exec, s[6:7]
	v_and_b32_e32 v14, 4, v62
	v_cmp_ne_u32_e32 vcc, 0, v14
	v_pk_mov_b32 v[14:15], 0, 0
	v_accvgpr_write_b32 a10, v14
	v_accvgpr_write_b32 a11, v15
                                        ; implicit-def: $agpr14
                                        ; implicit-def: $agpr16_agpr17
                                        ; implicit-def: $vgpr60_vgpr61
	s_and_saveexec_b64 s[6:7], vcc
	s_cbranch_execz .LBB8_32
; %bb.29:
	v_and_b32_e32 v14, 0x800, v62
	v_cmp_eq_u32_e32 vcc, 0, v14
	s_and_saveexec_b64 s[10:11], vcc
	s_cbranch_execz .LBB8_31
; %bb.30:
	s_trap 2
	ds_write_b64 v0, v[20:21]
.LBB8_31:
	s_or_b64 exec, exec, s[10:11]
	flat_load_dwordx2 v[46:47], v[20:21] offset:48
	v_or_b32_e32 v15, 0x100, v62
	s_waitcnt vmcnt(0) lgkmcnt(0)
	flat_load_dwordx2 v[60:61], v[46:47] glc
	flat_load_dword v14, v[20:21] offset:72
	flat_load_dwordx2 v[16:17], v[20:21] offset:96
	flat_load_dwordx2 a[16:17], v[20:21] offset:16
	s_waitcnt vmcnt(0) lgkmcnt(0)
	v_ashrrev_i32_e32 v14, 1, v14
	v_accvgpr_write_b32 a10, v16
	v_cmp_eq_u64_e32 vcc, 0, v[16:17]
	v_accvgpr_write_b32 a14, v14
	v_accvgpr_write_b32 a11, v17
	v_cndmask_b32_e32 v62, v15, v62, vcc
.LBB8_32:
	s_or_b64 exec, exec, s[6:7]
.LBB8_33:
	s_or_b64 exec, exec, s[4:5]
	v_and_b32_e32 v14, 24, v62
	v_cmp_ne_u32_e32 vcc, 0, v14
                                        ; implicit-def: $agpr18_agpr19
	s_and_saveexec_b64 s[4:5], vcc
	s_cbranch_execz .LBB8_41
; %bb.34:
	s_trap 2
	ds_read_b64 v[14:15], v0
	v_lshlrev_b64 v[8:9], 3, v[8:9]
	v_and_b32_e32 v5, 0xffff, v5
	s_movk_i32 s6, 0xa8
                                        ; implicit-def: $agpr18_agpr19
	s_waitcnt lgkmcnt(0)
	v_add_co_u32_e32 v8, vcc, v14, v8
	v_addc_co_u32_e32 v9, vcc, v15, v9, vcc
	flat_load_dwordx2 v[8:9], v[8:9]
	s_waitcnt vmcnt(0) lgkmcnt(0)
	v_mad_u64_u32 v[20:21], s[6:7], v5, s6, v[8:9]
	flat_load_dwordx4 v[14:17], v[20:21] offset:96
	v_or_b32_e32 v5, 0x100, v62
	s_waitcnt vmcnt(0) lgkmcnt(0)
	v_cmp_eq_u64_e32 vcc, 0, v[14:15]
	v_cndmask_b32_e32 v62, v5, v62, vcc
	v_accvgpr_write_b32 a10, v14
	v_and_b32_e32 v5, 16, v62
	v_accvgpr_write_b32 a11, v15
	v_accvgpr_write_b32 a12, v16
	;; [unrolled: 1-line block ×3, first 2 shown]
	v_cmp_ne_u32_e32 vcc, 0, v5
	s_and_saveexec_b64 s[6:7], vcc
	s_cbranch_execz .LBB8_36
; %bb.35:
	flat_load_dwordx2 a[18:19], v[20:21] offset:120
	flat_load_dwordx2 v[46:47], v[20:21] offset:48
	;; [unrolled: 1-line block ×3, first 2 shown]
.LBB8_36:
	s_or_b64 exec, exec, s[6:7]
	v_accvgpr_read_b32 v17, a13
	v_accvgpr_read_b32 v16, a12
	v_add_co_u32_e32 v5, vcc, 3, v16
	v_addc_co_u32_e32 v45, vcc, 0, v17, vcc
	v_and_b32_e32 v44, -4, v5
	v_and_b32_e32 v5, 8, v62
	v_cmp_ne_u32_e32 vcc, 0, v5
	v_accvgpr_read_b32 v15, a11
	v_accvgpr_read_b32 v14, a10
	s_and_saveexec_b64 s[6:7], vcc
	s_cbranch_execz .LBB8_40
; %bb.37:
	v_and_b32_e32 v5, 0x800, v62
	v_cmp_eq_u32_e32 vcc, 0, v5
	s_and_saveexec_b64 s[10:11], vcc
	s_cbranch_execz .LBB8_39
; %bb.38:
	s_trap 2
	ds_write_b64 v0, v[20:21]
.LBB8_39:
	s_or_b64 exec, exec, s[10:11]
	s_waitcnt vmcnt(0) lgkmcnt(0)
	flat_load_dwordx2 v[46:47], v[20:21] offset:56
	s_waitcnt vmcnt(0) lgkmcnt(0)
	flat_load_dwordx2 v[60:61], v[46:47] glc
	flat_load_dword v5, v[20:21] offset:72
	flat_load_dwordx2 a[16:17], v[20:21] offset:16
	s_waitcnt vmcnt(0) lgkmcnt(0)
	v_ashrrev_i32_e32 v8, 1, v5
	v_accvgpr_write_b32 a14, v8
.LBB8_40:
	s_or_b64 exec, exec, s[6:7]
.LBB8_41:
	s_or_b64 exec, exec, s[4:5]
	v_cmp_eq_u32_e64 s[4:5], 0, v0
	s_and_saveexec_b64 s[6:7], s[4:5]
	s_cbranch_execz .LBB8_43
; %bb.42:
	flat_load_dwordx2 v[8:9], v[2:3] offset:32
	ds_write2_b64 v0, v[12:13], v[10:11] offset1:1
	s_trap 2
	s_waitcnt vmcnt(0) lgkmcnt(0)
	ds_write_b64 v0, v[8:9]
	ds_write_b64 v0, v[6:7]
.LBB8_43:
	s_or_b64 exec, exec, s[6:7]
	v_pk_mov_b32 v[6:7], 0, 0
	v_accvgpr_write_b32 a13, v7
	s_mov_b64 s[42:43], 0
	v_cmp_lt_i64_e32 vcc, 0, v[18:19]
	v_accvgpr_write_b32 a12, v6
	s_and_saveexec_b64 s[40:41], vcc
	s_cbranch_execz .LBB8_2503
; %bb.44:
	buffer_store_dword v20, off, s[0:3], s33 offset:256 ; 4-byte Folded Spill
	s_nop 0
	buffer_store_dword v21, off, s[0:3], s33 offset:260 ; 4-byte Folded Spill
	flat_load_dword v2, v[2:3] offset:4
	v_mov_b32_e32 v42, 0
	s_waitcnt vmcnt(0) lgkmcnt(0)
	v_accvgpr_read_b32 v6, a18
	v_and_b32_e32 v12, 0x1fffff00, v4
	v_accvgpr_read_b32 v4, a14
	v_accvgpr_read_b32 v7, a19
	v_mov_b32_e32 v13, v42
	v_ashrrev_i32_e32 v5, 31, v4
	v_accvgpr_read_b32 v4, a1
	v_cmp_eq_u64_e64 s[12:13], 0, v[6:7]
	v_cmp_ne_u64_e64 s[14:15], 0, v[6:7]
	v_lshrrev_b32_e64 v7, 6, s33
	v_accvgpr_write_b32 a51, v13
	v_and_b32_e32 v3, 63, v31
	v_accvgpr_write_b32 a15, v5
	v_cmp_ne_u32_sdwa s[44:45], v4, v22 src0_sel:WORD_0 src1_sel:DWORD
	v_lshrrev_b32_e32 v10, 6, v22
	v_ashrrev_i32_e32 v4, 31, v0
	v_mov_b32_e32 v5, 0xfffff800
	v_add_u32_e32 v7, 0xe0, v7
	v_accvgpr_write_b32 a50, v12
	v_mad_i64_i32 v[12:13], s[16:17], v12, s76, 0
	v_lshrrev_b32_e64 v8, 6, s33
	v_cmp_eq_u32_e64 s[16:17], 0, v3
	v_lshrrev_b32_e32 v3, 26, v4
	v_lshl_add_u32 v4, v10, 11, v5
	v_add_u32_e32 v5, 16, v7
	v_add_u32_e32 v8, 0xc0, v8
	v_accvgpr_write_b32 a26, v5
	v_add_u32_e32 v5, 16, v7
	s_ashr_i32 s19, s18, 31
	v_accvgpr_write_b32 a27, v5
	v_add_u32_e32 v5, 16, v8
	s_lshr_b32 s19, s19, 29
	v_accvgpr_write_b32 a28, v5
	v_add_u32_e32 v5, 16, v7
	v_accvgpr_write_b32 a29, v5
	v_add_u32_e32 v5, 16, v8
	s_add_i32 s24, s18, s19
	s_ashr_i32 s77, s76, 31
	s_movk_i32 s78, 0x800
	v_accvgpr_write_b32 a30, v5
	v_lshlrev_b32_e32 v7, 7, v10
	v_ashrrev_i32_e32 v5, 31, v4
	s_ashr_i32 s25, s24, 4
	v_lshlrev_b32_e32 v9, 10, v10
	v_add_u32_e32 v3, v0, v3
	v_accvgpr_write_b32 a31, v7
	v_add_u32_e32 v14, 0xffffff80, v7
	v_add_co_u32_e64 v7, s[18:19], s78, v4
	v_accvgpr_write_b32 a25, v5
	s_add_u32 s80, s76, -1
	s_movk_i32 s79, 0x400
	v_add_u32_e32 v6, 16, v8
	v_add_u32_e32 v8, 0xfffffc00, v9
	v_ashrrev_i32_e32 v11, 6, v3
	v_and_b32_e32 v3, 0xffffffc0, v3
	v_accvgpr_write_b32 a24, v4
	v_addc_co_u32_e64 v4, s[18:19], 0, v5, s[18:19]
	s_addc_u32 s81, s77, -1
	s_add_i32 s82, s76, s76
	s_not_b32 s27, s76
	v_cmp_ge_i32_e32 vcc, v0, v22
	v_accvgpr_write_b32 a21, v9
	v_ashrrev_i32_e32 v9, 31, v8
	v_sub_u32_e32 v3, v0, v3
	v_add_co_u32_e64 v0, s[18:19], s79, v8
	s_cmp_gt_i32 s76, 0
	v_accvgpr_write_b32 a38, v0
	v_addc_co_u32_e64 v0, s[18:19], 0, v9, s[18:19]
	s_cselect_b32 s27, s27, -1
	s_ashr_i32 s24, s24, 31
	v_accvgpr_write_b32 a39, v0
	v_lshlrev_b32_e32 v0, 4, v3
	s_lshr_b32 s24, s24, 28
	v_lshl_add_u32 v0, v11, 11, v0
	s_add_i32 s83, s27, s82
	s_add_i32 s25, s25, s24
	v_cmp_lt_i32_e64 s[20:21], v3, v1
	v_cmp_le_i32_e64 s[22:23], v3, v1
	v_accvgpr_write_b32 a40, v0
	v_ashrrev_i32_e32 v1, 31, v0
	s_ashr_i32 s84, s83, 31
	s_ashr_i32 s85, s25, 4
	v_and_b32_e32 v0, 1, v2
	s_cmp_gt_i32 s76, 2
	v_cmp_eq_u32_e64 s[24:25], 1, v0
	s_cselect_b64 s[46:47], -1, 0
	s_add_i32 s27, s76, 1
	s_xor_b64 s[48:49], s[24:25], -1
	s_cmp_le_i32 s76, s27
	s_movk_i32 s26, 0x80
	s_cselect_b32 s28, s76, 0
	v_ashrrev_i32_e32 v15, 31, v14
	s_sub_i32 s86, s27, s28
	v_add_co_u32_e64 v0, s[26:27], s26, v14
	v_accvgpr_write_b32 a42, v0
	v_addc_co_u32_e64 v0, s[26:27], 0, v15, s[26:27]
	v_accvgpr_write_b32 a43, v0
	v_mov_b32_e32 v0, 0xfffffe00
	v_lshl_add_u32 v0, v10, 9, v0
	s_movk_i32 s26, 0x200
	v_accvgpr_write_b32 a41, v1
	v_ashrrev_i32_e32 v1, 31, v0
	v_accvgpr_write_b32 a44, v0
	v_add_co_u32_e64 v0, s[26:27], s26, v0
	v_accvgpr_write_b32 a46, v0
	v_addc_co_u32_e64 v0, s[26:27], 0, v1, s[26:27]
	v_accvgpr_write_b32 a45, v1
	v_accvgpr_write_b32 a47, v0
	v_pk_mov_b32 v[0:1], 0, 0
	v_accvgpr_write_b32 a33, v9
	v_accvgpr_write_b32 a35, v15
	;; [unrolled: 1-line block ×3, first 2 shown]
	v_cmp_eq_u32_e64 s[6:7], 64, v22
	v_cmp_ne_u32_e64 s[10:11], 64, v22
	v_accvgpr_write_b32 a32, v8
	v_cmp_gt_i32_e64 s[18:19], 1, v3
	v_accvgpr_write_b32 a37, v3
	v_accvgpr_write_b32 a36, v11
	s_ashr_i32 s87, s86, 31
	v_accvgpr_write_b32 a34, v14
	v_accvgpr_write_b32 a20, v10
	s_add_i32 s88, s76, -2
	s_xor_b64 s[50:51], vcc, -1
	s_movk_i32 s89, 0x270e
	s_movk_i32 s90, 0x108
	s_mov_b32 s91, 0x7f800000
	s_movk_i32 s92, 0x7fff
	s_mov_b32 s93, 0xffff0000
	v_accvgpr_write_b32 a12, v0
	buffer_store_dword v31, off, s[0:3], s33 offset:264 ; 4-byte Folded Spill
	s_trap 2
	buffer_store_dword v22, off, s[0:3], s33 offset:268 ; 4-byte Folded Spill
	s_branch .LBB8_47
.LBB8_45:                               ;   in Loop: Header=BB8_47 Depth=1
	s_or_b64 exec, exec, s[30:31]
.LBB8_46:                               ;   in Loop: Header=BB8_47 Depth=1
	s_or_b64 exec, exec, s[28:29]
	v_accvgpr_read_b32 v12, a22
	v_accvgpr_read_b32 v0, a48
	;; [unrolled: 1-line block ×4, first 2 shown]
	v_add_co_u32_e32 v0, vcc, v0, v12
	v_addc_co_u32_e32 v1, vcc, v1, v13, vcc
	v_cmp_ge_i64_e32 vcc, v[0:1], v[18:19]
	s_or_b64 s[42:43], vcc, s[42:43]
	s_andn2_b64 exec, exec, s[42:43]
	s_cbranch_execz .LBB8_2502
.LBB8_47:                               ; =>This Loop Header: Depth=1
                                        ;     Child Loop BB8_57 Depth 2
                                        ;       Child Loop BB8_65 Depth 3
                                        ;       Child Loop BB8_89 Depth 3
	;; [unrolled: 1-line block ×9, first 2 shown]
                                        ;     Child Loop BB8_228 Depth 2
                                        ;       Child Loop BB8_234 Depth 3
                                        ;       Child Loop BB8_258 Depth 3
	;; [unrolled: 1-line block ×3, first 2 shown]
                                        ;     Child Loop BB8_300 Depth 2
                                        ;       Child Loop BB8_303 Depth 3
                                        ;         Child Loop BB8_311 Depth 4
                                        ;         Child Loop BB8_339 Depth 4
	;; [unrolled: 1-line block ×5, first 2 shown]
                                        ;           Child Loop BB8_585 Depth 5
                                        ;           Child Loop BB8_622 Depth 5
                                        ;         Child Loop BB8_699 Depth 4
                                        ;         Child Loop BB8_758 Depth 4
                                        ;           Child Loop BB8_759 Depth 5
                                        ;           Child Loop BB8_768 Depth 5
                                        ;         Child Loop BB8_790 Depth 4
                                        ;         Child Loop BB8_813 Depth 4
                                        ;       Child Loop BB8_832 Depth 3
                                        ;         Child Loop BB8_838 Depth 4
                                        ;         Child Loop BB8_878 Depth 4
	;; [unrolled: 1-line block ×3, first 2 shown]
                                        ;     Child Loop BB8_907 Depth 2
                                        ;       Child Loop BB8_915 Depth 3
                                        ;       Child Loop BB8_943 Depth 3
	;; [unrolled: 1-line block ×5, first 2 shown]
                                        ;         Child Loop BB8_1619 Depth 4
                                        ;         Child Loop BB8_1656 Depth 4
                                        ;       Child Loop BB8_1733 Depth 3
                                        ;       Child Loop BB8_1792 Depth 3
                                        ;         Child Loop BB8_1793 Depth 4
                                        ;         Child Loop BB8_1802 Depth 4
                                        ;       Child Loop BB8_984 Depth 3
                                        ;       Child Loop BB8_1192 Depth 3
                                        ;         Child Loop BB8_1193 Depth 4
                                        ;         Child Loop BB8_1228 Depth 4
	;; [unrolled: 1-line block ×4, first 2 shown]
                                        ;       Child Loop BB8_1304 Depth 3
                                        ;       Child Loop BB8_1312 Depth 3
	;; [unrolled: 1-line block ×3, first 2 shown]
                                        ;         Child Loop BB8_1374 Depth 4
                                        ;         Child Loop BB8_1381 Depth 4
	;; [unrolled: 1-line block ×4, first 2 shown]
                                        ;       Child Loop BB8_1401 Depth 3
                                        ;       Child Loop BB8_1824 Depth 3
	;; [unrolled: 1-line block ×3, first 2 shown]
                                        ;     Child Loop BB8_1865 Depth 2
                                        ;       Child Loop BB8_1871 Depth 3
                                        ;       Child Loop BB8_1899 Depth 3
	;; [unrolled: 1-line block ×3, first 2 shown]
                                        ;     Child Loop BB8_1941 Depth 2
                                        ;       Child Loop BB8_1944 Depth 3
                                        ;         Child Loop BB8_1952 Depth 4
                                        ;         Child Loop BB8_1980 Depth 4
	;; [unrolled: 1-line block ×9, first 2 shown]
                                        ;           Child Loop BB8_2037 Depth 5
                                        ;           Child Loop BB8_2042 Depth 5
                                        ;         Child Loop BB8_2048 Depth 4
                                        ;         Child Loop BB8_2056 Depth 4
	;; [unrolled: 1-line block ×3, first 2 shown]
                                        ;           Child Loop BB8_2068 Depth 5
                                        ;           Child Loop BB8_2073 Depth 5
                                        ;         Child Loop BB8_2078 Depth 4
                                        ;         Child Loop BB8_2147 Depth 4
	;; [unrolled: 1-line block ×3, first 2 shown]
                                        ;       Child Loop BB8_2188 Depth 3
                                        ;         Child Loop BB8_2194 Depth 4
                                        ;         Child Loop BB8_2222 Depth 4
	;; [unrolled: 1-line block ×3, first 2 shown]
                                        ;     Child Loop BB8_2267 Depth 2
                                        ;       Child Loop BB8_2275 Depth 3
                                        ;       Child Loop BB8_2299 Depth 3
	;; [unrolled: 1-line block ×9, first 2 shown]
                                        ;     Child Loop BB8_2436 Depth 2
                                        ;       Child Loop BB8_2442 Depth 3
                                        ;       Child Loop BB8_2466 Depth 3
	;; [unrolled: 1-line block ×3, first 2 shown]
	v_sub_co_u32_e32 v2, vcc, v18, v0
	v_subb_co_u32_e32 v3, vcc, v19, v1, vcc
	v_accvgpr_write_b32 a49, v1
	v_accvgpr_write_b32 a23, v13
	;; [unrolled: 1-line block ×6, first 2 shown]
	v_cmp_lt_i64_e32 vcc, v[2:3], v[12:13]
	s_and_saveexec_b64 s[28:29], vcc
	s_cbranch_execz .LBB8_53
; %bb.48:                               ;   in Loop: Header=BB8_47 Depth=1
	v_accvgpr_read_b32 v2, a52
	v_mov_b32_e32 v0, s81
	v_accvgpr_read_b32 v3, a53
	v_add_co_u32_e32 v2, vcc, s80, v2
	v_addc_co_u32_e32 v3, vcc, v0, v3, vcc
	v_or_b32_e32 v43, s77, v3
	v_cmp_ne_u64_e32 vcc, 0, v[42:43]
                                        ; implicit-def: $vgpr0_vgpr1
	s_and_saveexec_b64 s[26:27], vcc
	s_xor_b64 s[30:31], exec, s[26:27]
	s_cbranch_execz .LBB8_50
; %bb.49:                               ;   in Loop: Header=BB8_47 Depth=1
	s_add_u32 s26, s76, s77
	s_mov_b32 s34, s77
	s_mov_b32 s35, s77
	s_addc_u32 s27, s77, s77
	s_xor_b64 s[36:37], s[26:27], s[34:35]
	v_cvt_f32_u32_e32 v0, s36
	v_cvt_f32_u32_e32 v1, s37
	s_sub_u32 s26, 0, s36
	s_subb_u32 s27, 0, s37
	v_mac_f32_e32 v0, 0x4f800000, v1
	v_rcp_f32_e32 v0, v0
	v_mul_f32_e32 v0, 0x5f7ffffc, v0
	v_mul_f32_e32 v1, 0x2f800000, v0
	v_trunc_f32_e32 v1, v1
	v_mac_f32_e32 v0, 0xcf800000, v1
	v_cvt_u32_f32_e32 v1, v1
	v_cvt_u32_f32_e32 v0, v0
	v_mul_lo_u32 v5, s26, v1
	v_mul_hi_u32 v9, s26, v0
	v_mul_lo_u32 v8, s27, v0
	v_add_u32_e32 v5, v9, v5
	v_mul_lo_u32 v10, s26, v0
	v_add_u32_e32 v5, v5, v8
	v_mul_lo_u32 v9, v0, v5
	v_mul_hi_u32 v11, v0, v10
	v_mul_hi_u32 v8, v0, v5
	v_add_co_u32_e32 v9, vcc, v11, v9
	v_addc_co_u32_e32 v8, vcc, 0, v8, vcc
	v_mul_hi_u32 v12, v1, v10
	v_mul_lo_u32 v10, v1, v10
	v_add_co_u32_e32 v9, vcc, v9, v10
	v_mul_hi_u32 v11, v1, v5
	v_addc_co_u32_e32 v8, vcc, v8, v12, vcc
	v_addc_co_u32_e32 v9, vcc, 0, v11, vcc
	v_mul_lo_u32 v5, v1, v5
	v_add_co_u32_e32 v5, vcc, v8, v5
	v_addc_co_u32_e32 v8, vcc, 0, v9, vcc
	v_add_co_u32_e32 v0, vcc, v0, v5
	v_addc_co_u32_e32 v1, vcc, v1, v8, vcc
	v_mul_lo_u32 v5, s26, v1
	v_mul_hi_u32 v8, s26, v0
	v_add_u32_e32 v5, v8, v5
	v_mul_lo_u32 v8, s27, v0
	v_add_u32_e32 v5, v5, v8
	v_mul_lo_u32 v9, s26, v0
	v_mul_hi_u32 v10, v1, v9
	v_mul_lo_u32 v11, v1, v9
	v_mul_lo_u32 v13, v0, v5
	v_mul_hi_u32 v9, v0, v9
	v_mul_hi_u32 v12, v0, v5
	v_add_co_u32_e32 v9, vcc, v9, v13
	v_addc_co_u32_e32 v12, vcc, 0, v12, vcc
	v_add_co_u32_e32 v9, vcc, v9, v11
	v_mul_hi_u32 v8, v1, v5
	v_addc_co_u32_e32 v9, vcc, v12, v10, vcc
	v_addc_co_u32_e32 v8, vcc, 0, v8, vcc
	v_mul_lo_u32 v5, v1, v5
	v_add_co_u32_e32 v5, vcc, v9, v5
	v_addc_co_u32_e32 v8, vcc, 0, v8, vcc
	v_add_co_u32_e32 v5, vcc, v0, v5
	v_addc_co_u32_e32 v8, vcc, v1, v8, vcc
	v_ashrrev_i32_e32 v9, 31, v3
	v_add_co_u32_e32 v0, vcc, v2, v9
	v_addc_co_u32_e32 v1, vcc, v3, v9, vcc
	v_xor_b32_e32 v11, v0, v9
	v_xor_b32_e32 v10, v1, v9
	v_mad_u64_u32 v[0:1], s[26:27], v11, v8, 0
	v_mul_hi_u32 v2, v11, v5
	v_add_co_u32_e32 v12, vcc, v2, v0
	v_addc_co_u32_e32 v13, vcc, 0, v1, vcc
	v_mad_u64_u32 v[2:3], s[26:27], v10, v5, 0
	v_add_co_u32_e32 v2, vcc, v12, v2
	v_mad_u64_u32 v[0:1], s[26:27], v10, v8, 0
	v_addc_co_u32_e32 v2, vcc, v13, v3, vcc
	v_addc_co_u32_e32 v1, vcc, 0, v1, vcc
	v_add_co_u32_e32 v2, vcc, v2, v0
	v_addc_co_u32_e32 v3, vcc, 0, v1, vcc
	v_mul_lo_u32 v5, s37, v2
	v_mul_lo_u32 v8, s36, v3
	v_mad_u64_u32 v[0:1], s[26:27], s36, v2, 0
	v_add3_u32 v1, v1, v8, v5
	v_sub_u32_e32 v5, v10, v1
	v_mov_b32_e32 v8, s37
	v_sub_co_u32_e32 v0, vcc, v11, v0
	v_subb_co_u32_e64 v5, s[26:27], v5, v8, vcc
	v_subrev_co_u32_e64 v8, s[26:27], s36, v0
	v_subbrev_co_u32_e64 v5, s[26:27], 0, v5, s[26:27]
	v_cmp_le_u32_e64 s[26:27], s37, v5
	v_cndmask_b32_e64 v11, 0, -1, s[26:27]
	v_cmp_le_u32_e64 s[26:27], s36, v8
	v_cndmask_b32_e64 v8, 0, -1, s[26:27]
	v_cmp_eq_u32_e64 s[26:27], s37, v5
	v_cndmask_b32_e64 v5, v11, v8, s[26:27]
	v_add_co_u32_e64 v8, s[26:27], 2, v2
	v_subb_co_u32_e32 v1, vcc, v10, v1, vcc
	v_addc_co_u32_e64 v11, s[26:27], 0, v3, s[26:27]
	v_cmp_le_u32_e32 vcc, s37, v1
	v_add_co_u32_e64 v12, s[26:27], 1, v2
	v_cndmask_b32_e64 v10, 0, -1, vcc
	v_cmp_le_u32_e32 vcc, s36, v0
	v_addc_co_u32_e64 v13, s[26:27], 0, v3, s[26:27]
	v_cndmask_b32_e64 v0, 0, -1, vcc
	v_cmp_eq_u32_e32 vcc, s37, v1
	v_cmp_ne_u32_e64 s[26:27], 0, v5
	v_cndmask_b32_e32 v0, v10, v0, vcc
	v_cndmask_b32_e64 v5, v13, v11, s[26:27]
	v_cmp_ne_u32_e32 vcc, 0, v0
	v_cndmask_b32_e64 v1, v12, v8, s[26:27]
	v_cndmask_b32_e32 v0, v3, v5, vcc
	v_cndmask_b32_e32 v1, v2, v1, vcc
	v_xor_b32_e32 v2, s35, v9
	v_xor_b32_e32 v3, s34, v9
	v_xor_b32_e32 v5, v0, v2
	v_xor_b32_e32 v0, v1, v3
	v_sub_co_u32_e32 v0, vcc, v0, v3
	v_subb_co_u32_e32 v1, vcc, v5, v2, vcc
                                        ; implicit-def: $vgpr2
.LBB8_50:                               ;   in Loop: Header=BB8_47 Depth=1
	s_andn2_saveexec_b64 s[26:27], s[30:31]
	s_cbranch_execz .LBB8_52
; %bb.51:                               ;   in Loop: Header=BB8_47 Depth=1
	v_cvt_f32_u32_e32 v0, s76
	s_sub_i32 vcc_lo, 0, s76
	v_rcp_iflag_f32_e32 v0, v0
	v_mul_f32_e32 v0, 0x4f7ffffe, v0
	v_cvt_u32_f32_e32 v0, v0
	v_mul_lo_u32 v1, vcc_lo, v0
	v_mul_hi_u32 v1, v0, v1
	v_add_u32_e32 v0, v0, v1
	v_mul_hi_u32 v0, v2, v0
	v_mul_lo_u32 v1, v0, s76
	v_sub_u32_e32 v1, v2, v1
	v_add_u32_e32 v3, 1, v0
	v_subrev_u32_e32 v2, s76, v1
	v_cmp_le_u32_e32 vcc, s76, v1
	v_cndmask_b32_e32 v1, v1, v2, vcc
	v_cndmask_b32_e32 v0, v0, v3, vcc
	v_add_u32_e32 v2, 1, v0
	v_cmp_le_u32_e32 vcc, s76, v1
	v_cndmask_b32_e32 v0, v0, v2, vcc
	v_mov_b32_e32 v1, v42
.LBB8_52:                               ;   in Loop: Header=BB8_47 Depth=1
	s_or_b64 exec, exec, s[26:27]
	v_add_co_u32_e32 v0, vcc, 7, v0
	v_addc_co_u32_e32 v1, vcc, 0, v1, vcc
	v_and_b32_e32 v0, -8, v0
	v_accvgpr_write_b32 a51, v1
	v_accvgpr_write_b32 a50, v0
.LBB8_53:                               ;   in Loop: Header=BB8_47 Depth=1
	s_or_b64 exec, exec, s[28:29]
	v_accvgpr_read_b32 v10, a50
	v_accvgpr_read_b32 v11, a51
	v_mul_lo_u32 v2, v11, s83
	v_mul_lo_u32 v3, v10, s84
	v_mad_u64_u32 v[0:1], s[26:27], v10, s83, 0
	v_add3_u32 v1, v1, v3, v2
	v_accvgpr_read_b32 v2, a2
	v_accvgpr_read_b32 v8, a48
	;; [unrolled: 1-line block ×4, first 2 shown]
	v_add_co_u32_e32 v2, vcc, v8, v2
	v_addc_co_u32_e32 v3, vcc, v9, v3, vcc
	v_accvgpr_write_b32 a55, v3
	v_accvgpr_write_b32 a54, v2
	v_accvgpr_read_b32 v2, a52
	v_accvgpr_read_b32 v3, a53
	v_sub_co_u32_e32 v2, vcc, v2, v0
	v_subb_co_u32_e32 v3, vcc, v3, v1, vcc
	v_cmp_lt_i64_e32 vcc, v[10:11], v[2:3]
	v_cndmask_b32_e32 v3, v2, v10, vcc
	v_max_i32_e32 v36, 0, v3
	v_add_u32_e32 v2, 31, v36
	v_lshrrev_b32_e32 v2, 1, v2
	v_accvgpr_write_b32 a4, v18
	v_and_b32_e32 v2, 0x3ffffff0, v2
	v_cmp_lt_i32_e32 vcc, 0, v3
	v_accvgpr_write_b32 a5, v19
	v_max_i32_e32 v2, s85, v2
	s_and_b64 s[26:27], s[50:51], vcc
	v_mov_b32_e32 v3, 0
	v_mov_b32_e32 v24, 0
	s_and_saveexec_b64 s[28:29], s[26:27]
	s_cbranch_execz .LBB8_224
; %bb.54:                               ;   in Loop: Header=BB8_47 Depth=1
	s_mov_b32 s66, 1
	s_mov_b64 s[34:35], -1
	s_mov_b64 s[30:31], 0
	v_mov_b32_e32 v24, 0
	s_waitcnt lgkmcnt(0)
	v_lshlrev_b64 v[26:27], 1, v[0:1]
	s_branch .LBB8_57
.LBB8_55:                               ;   in Loop: Header=BB8_57 Depth=2
	s_or_b64 exec, exec, vcc
	v_add_co_u32_e32 v44, vcc, 2, v44
	v_addc_co_u32_e32 v45, vcc, 0, v45, vcc
	flat_store_dwordx2 v[46:47], v[44:45]
.LBB8_56:                               ;   in Loop: Header=BB8_57 Depth=2
	s_or_b64 exec, exec, s[26:27]
	v_add_u32_e32 v24, v2, v24
	v_cmp_ge_i32_e32 vcc, v24, v36
	s_xor_b64 s[26:27], s[34:35], -1
	s_or_b64 s[26:27], s[26:27], vcc
	s_and_b64 s[26:27], exec, s[26:27]
	s_or_b64 s[30:31], s[26:27], s[30:31]
	s_mov_b64 s[34:35], 0
	v_mov_b32_e32 v3, s66
	s_mov_b32 s66, 2
	s_andn2_b64 exec, exec, s[30:31]
	s_cbranch_execz .LBB8_223
.LBB8_57:                               ;   Parent Loop BB8_47 Depth=1
                                        ; =>  This Loop Header: Depth=2
                                        ;       Child Loop BB8_65 Depth 3
                                        ;       Child Loop BB8_89 Depth 3
	;; [unrolled: 1-line block ×9, first 2 shown]
	s_and_saveexec_b64 s[26:27], s[4:5]
	s_cbranch_execz .LBB8_59
; %bb.58:                               ;   in Loop: Header=BB8_57 Depth=2
	s_trap 2
	ds_read_b64 v[0:1], v0
	v_accvgpr_read_b32 v8, a54
	v_accvgpr_read_b32 v9, a55
	v_lshlrev_b64 v[8:9], 1, v[8:9]
	v_ashrrev_i32_e32 v25, 31, v24
	s_waitcnt lgkmcnt(0)
	v_add_co_u32_e32 v0, vcc, v0, v8
	v_addc_co_u32_e32 v1, vcc, v1, v9, vcc
	v_add_co_u32_e32 v3, vcc, v0, v26
	v_addc_co_u32_e32 v5, vcc, v1, v27, vcc
	v_lshlrev_b64 v[0:1], 1, v[24:25]
	v_add_co_u32_e32 v0, vcc, v3, v0
	v_addc_co_u32_e32 v1, vcc, v5, v1, vcc
	v_mov_b32_e32 v43, v42
	ds_write_b64 v0, v[0:1]
	ds_write_b64 v0, v[42:43]
.LBB8_59:                               ;   in Loop: Header=BB8_57 Depth=2
	s_or_b64 exec, exec, s[26:27]
	v_and_b32_e32 v0, 8, v62
	v_cmp_ne_u32_e32 vcc, 0, v0
	s_mov_b64 s[36:37], -1
	s_and_saveexec_b64 s[26:27], vcc
	s_cbranch_execz .LBB8_71
; %bb.60:                               ;   in Loop: Header=BB8_57 Depth=2
	v_add_co_u32_e32 v8, vcc, 8, v60
	v_addc_co_u32_e32 v9, vcc, 0, v61, vcc
	v_add_co_u32_e32 v0, vcc, 2, v44
	v_addc_co_u32_e32 v1, vcc, 0, v45, vcc
	v_cmp_lt_u64_e32 vcc, v[8:9], v[0:1]
	v_mov_b32_e32 v3, 1
	s_and_saveexec_b64 s[36:37], vcc
	s_cbranch_execz .LBB8_70
; %bb.61:                               ;   in Loop: Header=BB8_57 Depth=2
	s_mov_b64 s[52:53], 0
	v_mov_b32_e32 v3, 0
                                        ; implicit-def: $sgpr54_sgpr55
	s_branch .LBB8_65
.LBB8_62:                               ;   in Loop: Header=BB8_65 Depth=3
	s_or_b64 exec, exec, s[62:63]
	v_mov_b32_e32 v5, 0
	s_orn2_b64 s[60:61], s[60:61], exec
.LBB8_63:                               ;   in Loop: Header=BB8_65 Depth=3
	s_or_b64 exec, exec, s[58:59]
	s_andn2_b64 vcc, s[54:55], exec
	s_and_b64 s[54:55], s[60:61], exec
	s_or_b64 s[54:55], vcc, s[54:55]
	v_mov_b32_e32 v3, v5
.LBB8_64:                               ;   in Loop: Header=BB8_65 Depth=3
	s_or_b64 exec, exec, s[56:57]
	s_waitcnt vmcnt(0) lgkmcnt(0)
	v_add_co_u32_e32 v8, vcc, 8, v60
	v_addc_co_u32_e32 v9, vcc, 0, v61, vcc
	v_cmp_ge_u64_e32 vcc, v[8:9], v[0:1]
	s_xor_b64 s[56:57], s[54:55], -1
	s_or_b64 vcc, s[56:57], vcc
	s_and_b64 vcc, exec, vcc
	s_or_b64 s[52:53], vcc, s[52:53]
	s_andn2_b64 exec, exec, s[52:53]
	s_cbranch_execz .LBB8_69
.LBB8_65:                               ;   Parent Loop BB8_47 Depth=1
                                        ;     Parent Loop BB8_57 Depth=2
                                        ; =>    This Inner Loop Header: Depth=3
	s_sleep 1
	flat_load_dwordx2 v[60:61], v[46:47] glc
	v_and_b32_e32 v5, 64, v62
	v_cmp_eq_u32_e32 vcc, 0, v5
	s_andn2_b64 s[54:55], s[54:55], exec
	s_and_saveexec_b64 s[56:57], vcc
	s_cbranch_execz .LBB8_64
; %bb.66:                               ;   in Loop: Header=BB8_65 Depth=3
	v_add_u32_e32 v5, 1, v3
	v_cmp_lt_i32_e32 vcc, s89, v3
	s_mov_b64 s[60:61], -1
	s_and_saveexec_b64 s[58:59], vcc
	s_cbranch_execz .LBB8_63
; %bb.67:                               ;   in Loop: Header=BB8_65 Depth=3
	s_trap 2
	ds_read_b64 v[8:9], v0
	s_waitcnt vmcnt(0) lgkmcnt(0)
	flat_load_dword v3, v[8:9] glc
	s_waitcnt vmcnt(0) lgkmcnt(0)
	buffer_invl2
	buffer_wbinvl1_vol
	v_cmp_ne_u32_e32 vcc, 0, v3
	s_and_saveexec_b64 s[62:63], vcc
	s_cbranch_execz .LBB8_62
; %bb.68:                               ;   in Loop: Header=BB8_65 Depth=3
	v_or_b32_e32 v62, 64, v62
	s_xor_b64 s[60:61], exec, -1
	ds_write_b32 v0, v3
	s_trap 2
	s_branch .LBB8_62
.LBB8_69:                               ;   in Loop: Header=BB8_57 Depth=2
	s_or_b64 exec, exec, s[52:53]
	v_and_b32_e32 v3, 8, v62
.LBB8_70:                               ;   in Loop: Header=BB8_57 Depth=2
	s_or_b64 exec, exec, s[36:37]
	v_cmp_eq_u32_e32 vcc, 0, v3
	s_orn2_b64 s[36:37], vcc, exec
	;;#ASMSTART
	s_wakeup
	;;#ASMEND
.LBB8_71:                               ;   in Loop: Header=BB8_57 Depth=2
	s_or_b64 exec, exec, s[26:27]
	v_sub_u32_e32 v0, v36, v24
	s_xor_b64 s[26:27], s[36:37], -1
	v_min_i32_e32 v2, v2, v0
	s_and_saveexec_b64 s[36:37], s[26:27]
	s_cbranch_execz .LBB8_81
; %bb.72:                               ;   in Loop: Header=BB8_57 Depth=2
	v_and_b32_e32 v0, 0x100, v62
	v_cmp_ne_u32_e32 vcc, 0, v0
	v_and_b32_e32 v5, 7, v44
	s_mov_b64 s[26:27], -1
                                        ; implicit-def: $vgpr0_vgpr1
	s_and_saveexec_b64 s[52:53], vcc
	s_cbranch_execz .LBB8_76
; %bb.73:                               ;   in Loop: Header=BB8_57 Depth=2
	v_accvgpr_read_b32 v0, a10
	v_accvgpr_read_b32 v1, a11
	v_mad_u64_u32 v[8:9], s[26:27], v5, 24, v[0:1]
	flat_load_dword v10, v[8:9]
	v_ashrrev_i32_e32 v3, 31, v2
	v_lshlrev_b64 v[0:1], 1, v[2:3]
	flat_store_dwordx2 v[8:9], v[0:1] offset:8
                                        ; implicit-def: $vgpr0_vgpr1
	s_waitcnt vmcnt(0) lgkmcnt(0)
	v_cmp_ne_u32_e32 vcc, 1, v10
	v_cmp_eq_u32_e64 s[26:27], 1, v10
	s_and_saveexec_b64 s[54:55], s[26:27]
	s_cbranch_execz .LBB8_75
; %bb.74:                               ;   in Loop: Header=BB8_57 Depth=2
	flat_load_dword v0, v[8:9] offset:4 glc
	s_waitcnt vmcnt(0) lgkmcnt(0)
	v_ashrrev_i32_e32 v1, 31, v0
	v_lshrrev_b64 v[0:1], 1, v[0:1]
.LBB8_75:                               ;   in Loop: Header=BB8_57 Depth=2
	s_or_b64 exec, exec, s[54:55]
	s_orn2_b64 s[26:27], vcc, exec
.LBB8_76:                               ;   in Loop: Header=BB8_57 Depth=2
	s_or_b64 exec, exec, s[52:53]
	s_and_saveexec_b64 vcc, s[26:27]
; %bb.77:                               ;   in Loop: Header=BB8_57 Depth=2
	v_accvgpr_read_b32 v0, a14
	v_mad_i64_i32 v[0:1], s[26:27], v5, v0, 0
; %bb.78:                               ;   in Loop: Header=BB8_57 Depth=2
	s_or_b64 exec, exec, vcc
	v_lshlrev_b64 v[0:1], 1, v[0:1]
	v_accvgpr_read_b32 v8, a16
	v_accvgpr_read_b32 v9, a17
	v_add_co_u32_e32 v0, vcc, v8, v0
	v_addc_co_u32_e32 v1, vcc, v9, v1, vcc
	ds_write_b64 v0, v[0:1] offset:784
	v_and_b32_e32 v0, 0x2000, v62
	v_cmp_ne_u32_e32 vcc, 0, v0
	s_and_saveexec_b64 s[26:27], vcc
	s_cbranch_execz .LBB8_80
; %bb.79:                               ;   in Loop: Header=BB8_57 Depth=2
	ds_read_b64 v[0:1], v0 offset:584
	s_waitcnt lgkmcnt(0)
	v_add_co_u32_e32 v0, vcc, 1, v0
	v_addc_co_u32_e32 v1, vcc, 0, v1, vcc
	ds_write_b64 v0, v[0:1] offset:584
.LBB8_80:                               ;   in Loop: Header=BB8_57 Depth=2
	s_or_b64 exec, exec, s[26:27]
	v_add_co_u32_e32 v44, vcc, 2, v44
	v_addc_co_u32_e32 v45, vcc, 0, v45, vcc
.LBB8_81:                               ;   in Loop: Header=BB8_57 Depth=2
	s_or_b64 exec, exec, s[36:37]
	s_and_saveexec_b64 s[26:27], s[10:11]
	s_cbranch_execz .LBB8_100
; %bb.82:                               ;   in Loop: Header=BB8_57 Depth=2
	s_and_saveexec_b64 vcc, s[44:45]
	s_xor_b64 s[36:37], exec, vcc
	s_cbranch_execz .LBB8_97
; %bb.83:                               ;   in Loop: Header=BB8_57 Depth=2
	s_and_saveexec_b64 s[52:53], s[16:17]
	s_cbranch_execz .LBB8_96
; %bb.84:                               ;   in Loop: Header=BB8_57 Depth=2
	s_mov_b64 s[56:57], exec
	v_mbcnt_lo_u32_b32 v0, s56, 0
	v_mbcnt_hi_u32_b32 v0, s57, v0
	v_cmp_eq_u32_e32 vcc, 0, v0
	s_waitcnt vmcnt(0) lgkmcnt(0)
	buffer_wbinvl1_vol
	s_and_saveexec_b64 s[54:55], vcc
	s_cbranch_execz .LBB8_86
; %bb.85:                               ;   in Loop: Header=BB8_57 Depth=2
	s_bcnt1_i32_b64 vcc_lo, s[56:57]
	v_mov_b32_e32 v0, vcc_lo
	v_mov_b32_e32 v1, v42
	ds_add_u64 v0, v[0:1]
	s_trap 2
.LBB8_86:                               ;   in Loop: Header=BB8_57 Depth=2
	s_or_b64 exec, exec, s[54:55]
	s_trap 2
	ds_read_b64 v[0:1], v0
	v_accvgpr_read_b32 v8, a12
	v_accvgpr_read_b32 v10, a20
	;; [unrolled: 1-line block ×3, first 2 shown]
	v_add_co_u32_e32 v8, vcc, v8, v10
	v_addc_co_u32_e32 v9, vcc, 0, v9, vcc
	v_accvgpr_write_b32 a13, v9
	v_accvgpr_write_b32 a12, v8
	s_waitcnt lgkmcnt(0)
	v_cmp_lt_u64_e32 vcc, v[0:1], v[8:9]
	s_and_saveexec_b64 s[54:55], vcc
	s_cbranch_execz .LBB8_95
; %bb.87:                               ;   in Loop: Header=BB8_57 Depth=2
	s_mov_b32 s67, 0
	s_mov_b64 s[56:57], 0
                                        ; implicit-def: $sgpr58_sgpr59
                                        ; implicit-def: $sgpr60_sgpr61
	s_branch .LBB8_89
.LBB8_88:                               ;   in Loop: Header=BB8_89 Depth=3
	s_or_b64 exec, exec, s[64:65]
	s_and_b64 vcc, exec, vcc
	s_or_b64 s[56:57], vcc, s[56:57]
	s_andn2_b64 vcc, s[58:59], exec
	s_and_b64 s[58:59], s[60:61], exec
	s_or_b64 s[58:59], vcc, s[58:59]
	s_andn2_b64 exec, exec, s[56:57]
	s_cbranch_execz .LBB8_93
.LBB8_89:                               ;   Parent Loop BB8_47 Depth=1
                                        ;     Parent Loop BB8_57 Depth=2
                                        ; =>    This Inner Loop Header: Depth=3
	s_add_i32 s67, s67, 1
	s_cmpk_lg_i32 s67, 0x2710
	s_cselect_b64 s[62:63], -1, 0
	s_and_b64 vcc, exec, s[62:63]
                                        ; implicit-def: $sgpr64_sgpr65
	s_cbranch_vccnz .LBB8_91
; %bb.90:                               ;   in Loop: Header=BB8_89 Depth=3
	s_trap 2
	ds_read_b64 v[0:1], v0
	s_andn2_b64 s[62:63], s[62:63], exec
	s_mov_b32 s67, 0
	s_mov_b64 s[64:65], -1
	s_waitcnt lgkmcnt(0)
	flat_load_dword v0, v[0:1] glc
	s_waitcnt vmcnt(0) lgkmcnt(0)
	buffer_invl2
	buffer_wbinvl1_vol
	v_cmp_eq_u32_e32 vcc, 0, v0
	s_and_b64 vcc, vcc, exec
	s_or_b64 s[62:63], s[62:63], vcc
.LBB8_91:                               ;   in Loop: Header=BB8_89 Depth=3
	s_andn2_b64 s[60:61], s[60:61], exec
	s_and_b64 s[64:65], s[64:65], exec
	s_mov_b64 vcc, -1
	s_or_b64 s[60:61], s[60:61], s[64:65]
	s_and_saveexec_b64 s[64:65], s[62:63]
	s_cbranch_execz .LBB8_88
; %bb.92:                               ;   in Loop: Header=BB8_89 Depth=3
	s_sleep 1
	s_trap 2
	ds_read_b64 v[0:1], v0
	v_accvgpr_read_b32 v8, a12
	v_accvgpr_read_b32 v9, a13
	s_andn2_b64 s[60:61], s[60:61], exec
	s_waitcnt lgkmcnt(0)
	v_cmp_ge_u64_e32 vcc, v[0:1], v[8:9]
	s_orn2_b64 vcc, vcc, exec
	s_branch .LBB8_88
.LBB8_93:                               ;   in Loop: Header=BB8_57 Depth=2
	s_or_b64 exec, exec, s[56:57]
	s_and_saveexec_b64 vcc, s[58:59]
	s_xor_b64 vcc, exec, vcc
	s_cbranch_execz .LBB8_95
; %bb.94:                               ;   in Loop: Header=BB8_57 Depth=2
	v_mov_b32_e32 v0, 1
	ds_write_b32 v0, v0
	s_trap 2
.LBB8_95:                               ;   in Loop: Header=BB8_57 Depth=2
	s_or_b64 exec, exec, s[54:55]
	;;#ASMSTART
	s_wakeup
	;;#ASMEND
.LBB8_96:                               ;   in Loop: Header=BB8_57 Depth=2
	s_or_b64 exec, exec, s[52:53]
.LBB8_97:                               ;   in Loop: Header=BB8_57 Depth=2
	s_andn2_saveexec_b64 vcc, s[36:37]
	s_cbranch_execz .LBB8_99
; %bb.98:                               ;   in Loop: Header=BB8_57 Depth=2
	s_waitcnt vmcnt(0) lgkmcnt(0)
	buffer_wbinvl1_vol
	s_barrier
.LBB8_99:                               ;   in Loop: Header=BB8_57 Depth=2
	s_or_b64 exec, exec, vcc
.LBB8_100:                              ;   in Loop: Header=BB8_57 Depth=2
	s_or_b64 exec, exec, s[26:27]
	s_trap 2
	ds_read_b32 v0, v0
	v_and_b32_e32 v1, 0x4000, v62
	v_cmp_ne_u32_e32 vcc, 0, v1
	s_xor_b64 s[26:27], s[6:7], -1
	s_and_b64 vcc, s[26:27], vcc
	s_and_saveexec_b64 s[26:27], vcc
	s_cbranch_execz .LBB8_119
; %bb.101:                              ;   in Loop: Header=BB8_57 Depth=2
	s_and_saveexec_b64 vcc, s[44:45]
	s_xor_b64 s[36:37], exec, vcc
	s_cbranch_execz .LBB8_116
; %bb.102:                              ;   in Loop: Header=BB8_57 Depth=2
	s_and_saveexec_b64 s[52:53], s[16:17]
	s_cbranch_execz .LBB8_115
; %bb.103:                              ;   in Loop: Header=BB8_57 Depth=2
	s_mov_b64 s[56:57], exec
	v_mbcnt_lo_u32_b32 v1, s56, 0
	v_mbcnt_hi_u32_b32 v1, s57, v1
	v_cmp_eq_u32_e32 vcc, 0, v1
	s_waitcnt vmcnt(0) lgkmcnt(0)
	buffer_wbinvl1_vol
	s_and_saveexec_b64 s[54:55], vcc
	s_cbranch_execz .LBB8_105
; %bb.104:                              ;   in Loop: Header=BB8_57 Depth=2
	s_bcnt1_i32_b64 vcc_lo, s[56:57]
	v_mov_b32_e32 v8, vcc_lo
	v_mov_b32_e32 v9, v42
	ds_add_u64 v0, v[8:9]
	s_trap 2
.LBB8_105:                              ;   in Loop: Header=BB8_57 Depth=2
	s_or_b64 exec, exec, s[54:55]
	s_trap 2
	ds_read_b64 v[8:9], v0
	v_accvgpr_read_b32 v10, a12
	v_accvgpr_read_b32 v12, a20
	;; [unrolled: 1-line block ×3, first 2 shown]
	v_add_co_u32_e32 v10, vcc, v10, v12
	v_addc_co_u32_e32 v11, vcc, 0, v11, vcc
	v_accvgpr_write_b32 a13, v11
	v_accvgpr_write_b32 a12, v10
	s_waitcnt lgkmcnt(0)
	v_cmp_lt_u64_e32 vcc, v[8:9], v[10:11]
	s_and_saveexec_b64 s[54:55], vcc
	s_cbranch_execz .LBB8_114
; %bb.106:                              ;   in Loop: Header=BB8_57 Depth=2
	s_mov_b32 s67, 0
	s_mov_b64 s[56:57], 0
                                        ; implicit-def: $sgpr58_sgpr59
                                        ; implicit-def: $sgpr60_sgpr61
	s_branch .LBB8_108
.LBB8_107:                              ;   in Loop: Header=BB8_108 Depth=3
	s_or_b64 exec, exec, s[64:65]
	s_and_b64 vcc, exec, vcc
	s_or_b64 s[56:57], vcc, s[56:57]
	s_andn2_b64 vcc, s[58:59], exec
	s_and_b64 s[58:59], s[60:61], exec
	s_or_b64 s[58:59], vcc, s[58:59]
	s_andn2_b64 exec, exec, s[56:57]
	s_cbranch_execz .LBB8_112
.LBB8_108:                              ;   Parent Loop BB8_47 Depth=1
                                        ;     Parent Loop BB8_57 Depth=2
                                        ; =>    This Inner Loop Header: Depth=3
	s_add_i32 s67, s67, 1
	s_cmpk_lg_i32 s67, 0x2710
	s_cselect_b64 s[62:63], -1, 0
	s_and_b64 vcc, exec, s[62:63]
                                        ; implicit-def: $sgpr64_sgpr65
	s_cbranch_vccnz .LBB8_110
; %bb.109:                              ;   in Loop: Header=BB8_108 Depth=3
	s_trap 2
	ds_read_b64 v[8:9], v0
	s_andn2_b64 s[62:63], s[62:63], exec
	s_mov_b32 s67, 0
	s_mov_b64 s[64:65], -1
	s_waitcnt lgkmcnt(0)
	flat_load_dword v1, v[8:9] glc
	s_waitcnt vmcnt(0) lgkmcnt(0)
	buffer_invl2
	buffer_wbinvl1_vol
	v_cmp_eq_u32_e32 vcc, 0, v1
	s_and_b64 vcc, vcc, exec
	s_or_b64 s[62:63], s[62:63], vcc
.LBB8_110:                              ;   in Loop: Header=BB8_108 Depth=3
	s_andn2_b64 s[60:61], s[60:61], exec
	s_and_b64 s[64:65], s[64:65], exec
	s_mov_b64 vcc, -1
	s_or_b64 s[60:61], s[60:61], s[64:65]
	s_and_saveexec_b64 s[64:65], s[62:63]
	s_cbranch_execz .LBB8_107
; %bb.111:                              ;   in Loop: Header=BB8_108 Depth=3
	s_sleep 1
	s_trap 2
	ds_read_b64 v[8:9], v0
	v_accvgpr_read_b32 v10, a12
	v_accvgpr_read_b32 v11, a13
	s_andn2_b64 s[60:61], s[60:61], exec
	s_waitcnt lgkmcnt(0)
	v_cmp_ge_u64_e32 vcc, v[8:9], v[10:11]
	s_orn2_b64 vcc, vcc, exec
	s_branch .LBB8_107
.LBB8_112:                              ;   in Loop: Header=BB8_57 Depth=2
	s_or_b64 exec, exec, s[56:57]
	s_and_saveexec_b64 vcc, s[58:59]
	s_xor_b64 vcc, exec, vcc
	s_cbranch_execz .LBB8_114
; %bb.113:                              ;   in Loop: Header=BB8_57 Depth=2
	v_mov_b32_e32 v1, 1
	ds_write_b32 v0, v1
	s_trap 2
.LBB8_114:                              ;   in Loop: Header=BB8_57 Depth=2
	s_or_b64 exec, exec, s[54:55]
	;;#ASMSTART
	s_wakeup
	;;#ASMEND
.LBB8_115:                              ;   in Loop: Header=BB8_57 Depth=2
	s_or_b64 exec, exec, s[52:53]
.LBB8_116:                              ;   in Loop: Header=BB8_57 Depth=2
	s_andn2_saveexec_b64 vcc, s[36:37]
	s_cbranch_execz .LBB8_118
; %bb.117:                              ;   in Loop: Header=BB8_57 Depth=2
	s_waitcnt vmcnt(0) lgkmcnt(0)
	buffer_wbinvl1_vol
	s_barrier
.LBB8_118:                              ;   in Loop: Header=BB8_57 Depth=2
	s_or_b64 exec, exec, vcc
.LBB8_119:                              ;   in Loop: Header=BB8_57 Depth=2
	s_or_b64 exec, exec, s[26:27]
	s_trap 2
	s_waitcnt lgkmcnt(0)
	ds_read_b64 v[8:9], v0
	v_mov_b32_e32 v25, 0
	s_waitcnt lgkmcnt(0)
	v_readfirstlane_b32 s26, v8
	v_readfirstlane_b32 s27, v9
	s_cmp_eq_u64 s[26:27], 0
	s_cselect_b64 s[26:27], -1, 0
	s_or_b64 s[26:27], s[26:27], s[26:27]
	s_and_b64 vcc, exec, s[26:27]
	s_cbranch_vccnz .LBB8_178
; %bb.120:                              ;   in Loop: Header=BB8_57 Depth=2
	s_mov_b64 s[26:27], -1
	s_and_saveexec_b64 s[36:37], s[18:19]
	s_cbranch_execz .LBB8_122
; %bb.121:                              ;   in Loop: Header=BB8_57 Depth=2
	ds_read_b32 v1, v0 offset:720
	s_waitcnt lgkmcnt(0)
	v_and_b32_e32 v1, 15, v1
	v_cmp_eq_u32_e32 vcc, 0, v1
	s_orn2_b64 s[26:27], vcc, exec
.LBB8_122:                              ;   in Loop: Header=BB8_57 Depth=2
	s_or_b64 exec, exec, s[36:37]
	s_and_saveexec_b64 s[36:37], s[20:21]
	s_cbranch_execz .LBB8_124
; %bb.123:                              ;   in Loop: Header=BB8_57 Depth=2
	ds_read_b32 v1, v0 offset:784
	s_waitcnt lgkmcnt(0)
	v_and_b32_e32 v1, 15, v1
	v_cmp_eq_u32_e32 vcc, 0, v1
	s_and_b64 vcc, s[26:27], vcc
	s_andn2_b64 s[26:27], s[26:27], exec
	s_and_b64 vcc, vcc, exec
	s_or_b64 s[26:27], s[26:27], vcc
.LBB8_124:                              ;   in Loop: Header=BB8_57 Depth=2
	s_or_b64 exec, exec, s[36:37]
	s_xor_b64 s[26:27], s[26:27], -1
	v_cmp_eq_u32_e32 vcc, 0, v0
	v_cndmask_b32_e64 v0, 0, 1, s[26:27]
	;;#ASMSTART
	;;#ASMEND
	s_trap 2
	ds_read_b64 v[30:31], v0
	v_cndmask_b32_e32 v25, 0, v2, vcc
	v_lshlrev_b32_e32 v37, 1, v25
	s_mov_b64 s[26:27], -1
	v_cmp_ne_u32_e32 vcc, 0, v0
	s_cbranch_vccz .LBB8_133
; %bb.125:                              ;   in Loop: Header=BB8_57 Depth=2
	s_mov_b64 s[36:37], -1
	s_mov_b32 s52, 0
	s_cbranch_execnz .LBB8_134
.LBB8_126:                              ;   in Loop: Header=BB8_57 Depth=2
	v_ashrrev_i32_e32 v0, 31, v37
	v_lshrrev_b32_e32 v0, 21, v0
	v_add_u32_e32 v0, v37, v0
	v_ashrrev_i32_e32 v3, 11, v0
	v_accvgpr_read_b32 v0, a36
	v_sub_u32_e32 v29, v3, v0
	v_accvgpr_read_b32 v0, a40
	s_waitcnt lgkmcnt(0)
	v_add_co_u32_e32 v0, vcc, v30, v0
	v_accvgpr_read_b32 v1, a41
	v_addc_co_u32_e32 v1, vcc, v31, v1, vcc
	v_cmp_lt_i32_e32 vcc, 0, v29
	s_mov_b64 s[52:53], 0
                                        ; implicit-def: $vgpr8_vgpr9
                                        ; implicit-def: $vgpr12_vgpr13
	s_and_saveexec_b64 s[26:27], vcc
	s_cbranch_execz .LBB8_136
; %bb.127:                              ;   in Loop: Header=BB8_57 Depth=2
	s_trap 2
	ds_read_b64 v[8:9], v0
	v_accvgpr_read_b32 v10, a40
	v_accvgpr_read_b32 v5, a41
	s_mov_b64 s[56:57], 0
                                        ; implicit-def: $sgpr54_sgpr55
                                        ; implicit-def: $vgpr12_vgpr13
	s_waitcnt lgkmcnt(0)
	v_add_co_u32_e32 v32, vcc, v8, v10
	v_addc_co_u32_e32 v33, vcc, v9, v5, vcc
                                        ; implicit-def: $vgpr8_vgpr9
	s_branch .LBB8_129
.LBB8_128:                              ;   in Loop: Header=BB8_129 Depth=3
	s_or_b64 exec, exec, s[58:59]
	s_waitcnt vmcnt(0)
	global_store_dwordx4 v[0:1], v[16:19], off glc slc
	s_waitcnt vmcnt(1)
	global_store_dwordx4 v[0:1], v[20:23], off offset:1024 glc slc
	v_add_co_u32_e32 v0, vcc, v0, v34
	v_addc_co_u32_e32 v1, vcc, v1, v35, vcc
	v_add_co_u32_e32 v0, vcc, 0x800, v0
	v_addc_co_u32_e32 v1, vcc, 0, v1, vcc
	;; [unrolled: 2-line block ×3, first 2 shown]
	v_sub_u32_e32 v29, v5, v29
	v_cmp_gt_i32_e32 vcc, 1, v29
	s_or_b64 s[52:53], vcc, s[52:53]
	s_andn2_b64 vcc, s[54:55], exec
	s_and_b64 s[54:55], s[56:57], exec
	s_or_b64 s[54:55], vcc, s[54:55]
	s_andn2_b64 exec, exec, s[52:53]
	s_cbranch_execz .LBB8_135
.LBB8_129:                              ;   Parent Loop BB8_47 Depth=1
                                        ;     Parent Loop BB8_57 Depth=2
                                        ; =>    This Inner Loop Header: Depth=3
	global_load_dwordx4 v[16:19], v[32:33], off glc slc
	global_load_dwordx4 v[20:23], v[32:33], off offset:1024 glc slc
	s_and_saveexec_b64 s[58:59], s[56:57]
	s_cbranch_execz .LBB8_131
; %bb.130:                              ;   in Loop: Header=BB8_129 Depth=3
	v_add_co_u32_e32 v34, vcc, v0, v7
	v_addc_co_u32_e32 v35, vcc, v1, v4, vcc
	global_store_dwordx4 v[0:1], v[8:11], off glc slc
	global_store_dwordx4 v[0:1], v[12:15], off offset:1024 glc slc
	v_pk_mov_b32 v[0:1], v[34:35], v[34:35] op_sel:[0,1]
.LBB8_131:                              ;   in Loop: Header=BB8_129 Depth=3
	s_or_b64 exec, exec, s[58:59]
	v_accvgpr_read_b32 v28, a20
	v_add_co_u32_e32 v32, vcc, v32, v7
	v_sub_u32_e32 v5, v29, v28
	v_addc_co_u32_e32 v33, vcc, v33, v4, vcc
	v_cmp_lt_i32_e64 s[56:57], 0, v5
	v_mov_b32_e32 v29, 0
	v_pk_mov_b32 v[34:35], 0, 0
	s_and_saveexec_b64 s[58:59], s[56:57]
	s_cbranch_execz .LBB8_128
; %bb.132:                              ;   in Loop: Header=BB8_129 Depth=3
	global_load_dwordx4 v[8:11], v[32:33], off glc slc
	global_load_dwordx4 v[12:15], v[32:33], off offset:1024 glc slc
	v_add_co_u32_e32 v32, vcc, 0x800, v32
	v_accvgpr_read_b32 v35, a25
	v_addc_co_u32_e32 v33, vcc, 0, v33, vcc
	v_accvgpr_read_b32 v29, a20
	v_accvgpr_read_b32 v34, a24
	s_branch .LBB8_128
.LBB8_133:                              ;   in Loop: Header=BB8_57 Depth=2
	s_mov_b64 s[36:37], 0
                                        ; implicit-def: $sgpr52
	s_andn2_b64 vcc, exec, s[26:27]
	s_cbranch_vccz .LBB8_126
.LBB8_134:                              ;   in Loop: Header=BB8_57 Depth=2
	v_mov_b32_e32 v5, s52
	v_accvgpr_read_b32 v12, a37
	v_accvgpr_read_b32 v0, a36
	s_and_saveexec_b64 s[26:27], s[36:37]
	s_cbranch_execnz .LBB8_155
	s_branch .LBB8_177
.LBB8_135:                              ;   in Loop: Header=BB8_57 Depth=2
	s_or_b64 exec, exec, s[52:53]
	s_and_b64 s[52:53], s[54:55], exec
.LBB8_136:                              ;   in Loop: Header=BB8_57 Depth=2
	s_or_b64 exec, exec, s[26:27]
	s_and_saveexec_b64 s[26:27], s[52:53]
	s_cbranch_execz .LBB8_138
; %bb.137:                              ;   in Loop: Header=BB8_57 Depth=2
	global_store_dwordx4 v[0:1], v[8:11], off glc slc
	global_store_dwordx4 v[0:1], v[12:15], off offset:1024 glc slc
.LBB8_138:                              ;   in Loop: Header=BB8_57 Depth=2
	s_or_b64 exec, exec, s[26:27]
	v_lshlrev_b32_e32 v18, 11, v3
	v_cmp_ne_u32_e32 vcc, v37, v18
                                        ; implicit-def: $vgpr5
                                        ; implicit-def: $vgpr12
                                        ; implicit-def: $vgpr0
	s_and_saveexec_b64 s[52:53], vcc
	s_cbranch_execz .LBB8_154
; %bb.139:                              ;   in Loop: Header=BB8_57 Depth=2
	v_lshlrev_b32_e32 v1, 6, v29
	v_accvgpr_read_b32 v3, a37
	v_sub_u32_e32 v1, v3, v1
	v_ashrrev_i32_e32 v3, 31, v1
	v_lshrrev_b32_e32 v3, 26, v3
	v_add_u32_e32 v3, v1, v3
	v_ashrrev_i32_e32 v8, 6, v3
	v_and_b32_e32 v3, 0xffffffc0, v3
	v_sub_u32_e32 v19, v1, v3
	v_lshlrev_b32_e32 v1, 4, v19
	v_sub_u32_e32 v0, v37, v18
	v_lshl_add_u32 v1, v8, 10, v1
	v_add_u32_e32 v10, v1, v18
	v_sub_u32_e32 v5, v0, v1
	v_ashrrev_i32_e32 v1, 31, v0
	v_lshrrev_b32_e32 v1, 22, v1
	v_add_u32_e32 v1, v0, v1
	v_and_b32_e32 v20, 0xfffffc00, v1
	v_sub_u32_e32 v22, v0, v20
	v_ashrrev_i32_e32 v3, 10, v1
	v_cmp_lt_i32_e64 s[26:27], 15, v22
	v_addc_co_u32_e64 v0, vcc, 0, v3, s[26:27]
	v_sub_u32_e32 v21, v0, v8
	v_ashrrev_i32_e32 v3, 31, v10
	v_add_co_u32_e32 v0, vcc, v10, v30
	v_addc_co_u32_e32 v1, vcc, v3, v31, vcc
	v_cmp_lt_i32_e32 vcc, 15, v5
	s_mov_b64 s[56:57], 0
                                        ; implicit-def: $vgpr8_vgpr9
	s_and_saveexec_b64 s[54:55], vcc
	s_cbranch_execz .LBB8_149
; %bb.140:                              ;   in Loop: Header=BB8_57 Depth=2
	s_trap 2
	ds_read_b64 v[8:9], v0
	s_mov_b64 s[60:61], 0
                                        ; implicit-def: $sgpr58_sgpr59
	s_waitcnt lgkmcnt(0)
	v_add_co_u32_e32 v16, vcc, v8, v10
	v_addc_co_u32_e32 v17, vcc, v9, v3, vcc
                                        ; implicit-def: $vgpr8_vgpr9
	s_branch .LBB8_142
.LBB8_141:                              ;   in Loop: Header=BB8_142 Depth=3
	s_or_b64 exec, exec, s[62:63]
	v_cmp_gt_i32_e32 vcc, 16, v5
	s_or_b64 s[56:57], vcc, s[56:57]
	s_andn2_b64 vcc, s[58:59], exec
	s_and_b64 s[58:59], s[60:61], exec
	s_or_b64 s[58:59], vcc, s[58:59]
	s_andn2_b64 exec, exec, s[56:57]
	s_cbranch_execz .LBB8_148
.LBB8_142:                              ;   Parent Loop BB8_47 Depth=1
                                        ;     Parent Loop BB8_57 Depth=2
                                        ; =>    This Inner Loop Header: Depth=3
	global_load_dwordx4 v[12:15], v[16:17], off glc slc
	s_and_saveexec_b64 s[62:63], s[60:61]
	s_cbranch_execz .LBB8_144
; %bb.143:                              ;   in Loop: Header=BB8_142 Depth=3
	v_accvgpr_read_b32 v3, a38
	v_add_co_u32_e32 v28, vcc, v0, v3
	v_accvgpr_read_b32 v3, a39
	v_addc_co_u32_e32 v29, vcc, v1, v3, vcc
	global_store_dwordx4 v[0:1], v[8:11], off glc slc
	v_pk_mov_b32 v[0:1], v[28:29], v[28:29] op_sel:[0,1]
.LBB8_144:                              ;   in Loop: Header=BB8_142 Depth=3
	s_or_b64 exec, exec, s[62:63]
	v_accvgpr_read_b32 v3, a38
	v_add_co_u32_e32 v16, vcc, v16, v3
	v_accvgpr_read_b32 v3, a39
	v_addc_co_u32_e32 v17, vcc, v17, v3, vcc
	v_accvgpr_read_b32 v3, a21
	v_sub_u32_e32 v5, v5, v3
	v_cmp_lt_i32_e64 s[60:61], 15, v5
	s_and_saveexec_b64 s[62:63], s[60:61]
	s_cbranch_execz .LBB8_146
; %bb.145:                              ;   in Loop: Header=BB8_142 Depth=3
	global_load_dwordx4 v[8:11], v[16:17], off glc slc
	v_add_co_u32_e32 v16, vcc, 0x400, v16
	v_addc_co_u32_e32 v17, vcc, 0, v17, vcc
.LBB8_146:                              ;   in Loop: Header=BB8_142 Depth=3
	s_or_b64 exec, exec, s[62:63]
	v_accvgpr_read_b32 v28, a20
	s_waitcnt vmcnt(0)
	global_store_dwordx4 v[0:1], v[12:15], off glc slc
	v_add_co_u32_e32 v0, vcc, 0x400, v0
	v_sub_u32_e32 v21, v21, v28
	v_addc_co_u32_e32 v1, vcc, 0, v1, vcc
	s_and_saveexec_b64 s[62:63], s[60:61]
	s_cbranch_execz .LBB8_141
; %bb.147:                              ;   in Loop: Header=BB8_142 Depth=3
	v_accvgpr_read_b32 v12, a32
	v_accvgpr_read_b32 v13, a33
	v_add_co_u32_e32 v0, vcc, v0, v12
	v_addc_co_u32_e32 v1, vcc, v1, v13, vcc
	v_add_co_u32_e32 v16, vcc, v16, v12
	v_accvgpr_read_b32 v3, a21
	v_accvgpr_read_b32 v12, a20
	v_addc_co_u32_e32 v17, vcc, v17, v13, vcc
	v_sub_u32_e32 v5, v5, v3
	v_sub_u32_e32 v21, v21, v12
	s_branch .LBB8_141
.LBB8_148:                              ;   in Loop: Header=BB8_57 Depth=2
	s_or_b64 exec, exec, s[56:57]
	s_and_b64 s[56:57], s[58:59], exec
.LBB8_149:                              ;   in Loop: Header=BB8_57 Depth=2
	s_or_b64 exec, exec, s[54:55]
	s_and_saveexec_b64 vcc, s[56:57]
	s_cbranch_execz .LBB8_151
; %bb.150:                              ;   in Loop: Header=BB8_57 Depth=2
	global_store_dwordx4 v[0:1], v[8:11], off glc slc
.LBB8_151:                              ;   in Loop: Header=BB8_57 Depth=2
	s_or_b64 exec, exec, vcc
	v_and_b32_e32 v1, 14, v37
	v_cndmask_b32_e64 v37, v22, v1, s[26:27]
	v_cmp_ne_u32_e32 vcc, 0, v37
	s_mov_b64 s[54:55], s[36:37]
                                        ; implicit-def: $vgpr5
                                        ; implicit-def: $vgpr12
                                        ; implicit-def: $vgpr0
	s_and_saveexec_b64 s[56:57], vcc
	s_cbranch_execz .LBB8_153
; %bb.152:                              ;   in Loop: Header=BB8_57 Depth=2
	v_sub_u32_e32 v0, v22, v1
	v_cndmask_b32_e64 v0, 0, v0, s[26:27]
	v_add3_u32 v5, v20, v18, v0
	v_cmp_lt_i32_e32 vcc, 0, v21
	v_accvgpr_read_b32 v0, a20
	v_cndmask_b32_e32 v0, 0, v0, vcc
	v_sub_u32_e32 v0, v0, v21
	v_lshl_add_u32 v1, v0, 6, v19
	v_ashrrev_i32_e32 v0, 31, v1
	v_lshrrev_b32_e32 v0, 26, v0
	v_add_u32_e32 v3, v1, v0
	v_ashrrev_i32_e32 v0, 6, v3
	v_and_b32_e32 v3, 0xffffffc0, v3
	v_sub_u32_e32 v12, v1, v3
	s_or_b64 s[54:55], s[36:37], exec
.LBB8_153:                              ;   in Loop: Header=BB8_57 Depth=2
	s_or_b64 exec, exec, s[56:57]
	s_andn2_b64 s[26:27], s[36:37], exec
	s_and_b64 vcc, s[54:55], exec
	s_or_b64 s[36:37], s[26:27], vcc
.LBB8_154:                              ;   in Loop: Header=BB8_57 Depth=2
	s_or_b64 exec, exec, s[52:53]
	s_and_saveexec_b64 s[26:27], s[36:37]
	s_cbranch_execz .LBB8_177
.LBB8_155:                              ;   in Loop: Header=BB8_57 Depth=2
	v_lshlrev_b32_e32 v1, 10, v0
	v_lshlrev_b32_e32 v3, 1, v12
	v_add3_u32 v8, v5, v3, v1
	v_ashrrev_i32_e32 v1, 31, v37
	v_lshrrev_b32_e32 v1, 22, v1
	v_add_u32_e32 v1, v37, v1
	v_ashrrev_i32_e32 v13, 10, v1
	v_sub_u32_e32 v10, v13, v0
	v_ashrrev_i32_e32 v3, 31, v8
	s_waitcnt lgkmcnt(0)
	v_add_co_u32_e32 v0, vcc, v30, v8
	v_addc_co_u32_e32 v1, vcc, v31, v3, vcc
	v_cmp_lt_i32_e32 vcc, 0, v10
	s_mov_b64 s[52:53], 0
                                        ; implicit-def: $vgpr14
                                        ; implicit-def: $vgpr15
                                        ; implicit-def: $vgpr16
                                        ; implicit-def: $vgpr17
                                        ; implicit-def: $vgpr18
                                        ; implicit-def: $vgpr19
                                        ; implicit-def: $vgpr20
                                        ; implicit-def: $vgpr21
	s_and_saveexec_b64 s[36:37], vcc
	s_cbranch_execz .LBB8_163
; %bb.156:                              ;   in Loop: Header=BB8_57 Depth=2
	s_trap 2
	ds_read_b64 v[14:15], v0
	s_mov_b64 s[56:57], 0
                                        ; implicit-def: $sgpr54_sgpr55
                                        ; implicit-def: $vgpr16
                                        ; implicit-def: $vgpr17
                                        ; implicit-def: $vgpr18
                                        ; implicit-def: $vgpr19
                                        ; implicit-def: $vgpr20
                                        ; implicit-def: $vgpr21
	s_waitcnt lgkmcnt(0)
	v_add_co_u32_e32 v8, vcc, v14, v8
	v_addc_co_u32_e32 v9, vcc, v15, v3, vcc
                                        ; implicit-def: $vgpr14
                                        ; implicit-def: $vgpr15
	s_branch .LBB8_158
.LBB8_157:                              ;   in Loop: Header=BB8_158 Depth=3
	s_or_b64 exec, exec, s[58:59]
	s_waitcnt vmcnt(0) lgkmcnt(0)
	flat_store_short v[0:1], v3 glc slc
	flat_store_short v[0:1], v22 offset:128 glc slc
	flat_store_short v[0:1], v23 offset:256 glc slc
	;; [unrolled: 1-line block ×7, first 2 shown]
	v_add_co_u32_e32 v0, vcc, v0, v10
	v_addc_co_u32_e32 v1, vcc, v1, v11, vcc
	v_add_co_u32_e32 v0, vcc, s79, v0
	v_addc_co_u32_e32 v1, vcc, 0, v1, vcc
	;; [unrolled: 2-line block ×3, first 2 shown]
	v_sub_u32_e32 v10, v38, v39
	v_cmp_gt_i32_e32 vcc, 1, v10
	s_or_b64 s[52:53], vcc, s[52:53]
	s_andn2_b64 vcc, s[54:55], exec
	s_and_b64 s[54:55], s[56:57], exec
	s_or_b64 s[54:55], vcc, s[54:55]
	s_andn2_b64 exec, exec, s[52:53]
	s_cbranch_execz .LBB8_162
.LBB8_158:                              ;   Parent Loop BB8_47 Depth=1
                                        ;     Parent Loop BB8_57 Depth=2
                                        ; =>    This Inner Loop Header: Depth=3
	flat_load_ushort v3, v[8:9] glc slc
	flat_load_ushort v22, v[8:9] offset:128 glc slc
	flat_load_ushort v23, v[8:9] offset:256 glc slc
	;; [unrolled: 1-line block ×7, first 2 shown]
	s_and_saveexec_b64 s[58:59], s[56:57]
	s_cbranch_execz .LBB8_160
; %bb.159:                              ;   in Loop: Header=BB8_158 Depth=3
	v_accvgpr_read_b32 v11, a38
	flat_store_short v[0:1], v14 glc slc
	flat_store_short v[0:1], v15 offset:128 glc slc
	flat_store_short v[0:1], v16 offset:256 glc slc
	;; [unrolled: 1-line block ×7, first 2 shown]
	v_add_co_u32_e32 v0, vcc, v0, v11
	v_accvgpr_read_b32 v11, a39
	v_addc_co_u32_e32 v1, vcc, v1, v11, vcc
.LBB8_160:                              ;   in Loop: Header=BB8_158 Depth=3
	s_or_b64 exec, exec, s[58:59]
	v_accvgpr_read_b32 v11, a38
	v_accvgpr_read_b32 v28, a20
	v_add_co_u32_e32 v8, vcc, v8, v11
	v_accvgpr_read_b32 v11, a39
	v_sub_u32_e32 v38, v10, v28
	v_addc_co_u32_e32 v9, vcc, v9, v11, vcc
	v_cmp_lt_i32_e64 s[56:57], 0, v38
	v_mov_b32_e32 v39, 0
	v_pk_mov_b32 v[10:11], 0, 0
	s_and_saveexec_b64 s[58:59], s[56:57]
	s_cbranch_execz .LBB8_157
; %bb.161:                              ;   in Loop: Header=BB8_158 Depth=3
	flat_load_ushort v14, v[8:9] glc slc
	flat_load_ushort v15, v[8:9] offset:128 glc slc
	flat_load_ushort v16, v[8:9] offset:256 glc slc
	;; [unrolled: 1-line block ×7, first 2 shown]
	v_add_co_u32_e32 v8, vcc, 0x400, v8
	v_accvgpr_read_b32 v10, a32
	v_addc_co_u32_e32 v9, vcc, 0, v9, vcc
	v_accvgpr_read_b32 v39, a20
	v_accvgpr_read_b32 v11, a33
	s_branch .LBB8_157
.LBB8_162:                              ;   in Loop: Header=BB8_57 Depth=2
	s_or_b64 exec, exec, s[52:53]
	s_and_b64 s[52:53], s[54:55], exec
.LBB8_163:                              ;   in Loop: Header=BB8_57 Depth=2
	s_or_b64 exec, exec, s[36:37]
	s_and_saveexec_b64 vcc, s[52:53]
	s_cbranch_execz .LBB8_165
; %bb.164:                              ;   in Loop: Header=BB8_57 Depth=2
	flat_store_short v[0:1], v14 glc slc
	flat_store_short v[0:1], v15 offset:128 glc slc
	flat_store_short v[0:1], v16 offset:256 glc slc
	;; [unrolled: 1-line block ×7, first 2 shown]
.LBB8_165:                              ;   in Loop: Header=BB8_57 Depth=2
	s_or_b64 exec, exec, vcc
	v_lshlrev_b32_e32 v0, 10, v13
	v_cmp_ne_u32_e32 vcc, v37, v0
	s_and_saveexec_b64 s[36:37], vcc
	s_cbranch_execz .LBB8_176
; %bb.166:                              ;   in Loop: Header=BB8_57 Depth=2
	v_lshlrev_b32_e32 v1, 6, v10
	v_sub_u32_e32 v1, v12, v1
	v_ashrrev_i32_e32 v3, 31, v1
	v_lshrrev_b32_e32 v3, 26, v3
	v_add_u32_e32 v3, v1, v3
	v_and_b32_e32 v8, 0x7fffffc0, v3
	v_sub_u32_e32 v1, v1, v8
	v_lshlrev_b32_e32 v3, 1, v3
	v_and_b32_e32 v3, 0xffffff80, v3
	v_lshlrev_b32_e32 v1, 1, v1
	v_add3_u32 v0, v3, v1, v0
	v_add_u32_e32 v8, v0, v5
	v_sub_u32_e32 v10, v37, v0
	v_ashrrev_i32_e32 v3, 31, v8
	v_add_co_u32_e32 v0, vcc, v30, v8
	v_addc_co_u32_e32 v1, vcc, v31, v3, vcc
	v_cmp_lt_i32_e32 vcc, 1, v10
	s_mov_b64 s[54:55], 0
                                        ; implicit-def: $vgpr5
	s_and_saveexec_b64 s[52:53], vcc
	s_cbranch_execz .LBB8_174
; %bb.167:                              ;   in Loop: Header=BB8_57 Depth=2
	s_trap 2
	ds_read_b64 v[12:13], v0
	s_mov_b64 s[58:59], 0
                                        ; implicit-def: $sgpr56_sgpr57
                                        ; implicit-def: $vgpr5
	s_waitcnt lgkmcnt(0)
	v_add_co_u32_e32 v8, vcc, v12, v8
	v_addc_co_u32_e32 v9, vcc, v13, v3, vcc
	s_branch .LBB8_169
.LBB8_168:                              ;   in Loop: Header=BB8_169 Depth=3
	s_or_b64 exec, exec, s[60:61]
	s_waitcnt vmcnt(0) lgkmcnt(0)
	flat_store_short v[0:1], v3 glc slc
	v_add_co_u32_e32 v0, vcc, v0, v10
	v_addc_co_u32_e32 v1, vcc, v1, v11, vcc
	v_add_co_u32_e32 v8, vcc, v8, v10
	v_addc_co_u32_e32 v9, vcc, v9, v11, vcc
	v_add_co_u32_e32 v0, vcc, 0x80, v0
	v_addc_co_u32_e32 v1, vcc, 0, v1, vcc
	v_sub_u32_e32 v10, v12, v13
	v_cmp_gt_i32_e32 vcc, 2, v10
	s_or_b64 s[54:55], vcc, s[54:55]
	s_andn2_b64 vcc, s[56:57], exec
	s_and_b64 s[56:57], s[58:59], exec
	s_or_b64 s[56:57], vcc, s[56:57]
	s_andn2_b64 exec, exec, s[54:55]
	s_cbranch_execz .LBB8_173
.LBB8_169:                              ;   Parent Loop BB8_47 Depth=1
                                        ;     Parent Loop BB8_57 Depth=2
                                        ; =>    This Inner Loop Header: Depth=3
	flat_load_ushort v3, v[8:9] glc slc
	s_and_saveexec_b64 s[60:61], s[58:59]
	s_cbranch_execz .LBB8_171
; %bb.170:                              ;   in Loop: Header=BB8_169 Depth=3
	v_accvgpr_read_b32 v11, a42
	v_add_co_u32_e32 v12, vcc, v0, v11
	v_accvgpr_read_b32 v11, a43
	v_addc_co_u32_e32 v13, vcc, v1, v11, vcc
	flat_store_short v[0:1], v5 glc slc
	v_pk_mov_b32 v[0:1], v[12:13], v[12:13] op_sel:[0,1]
.LBB8_171:                              ;   in Loop: Header=BB8_169 Depth=3
	s_or_b64 exec, exec, s[60:61]
	v_accvgpr_read_b32 v11, a42
	v_add_co_u32_e32 v8, vcc, v8, v11
	v_accvgpr_read_b32 v11, a43
	v_addc_co_u32_e32 v9, vcc, v9, v11, vcc
	v_accvgpr_read_b32 v11, a31
	v_sub_u32_e32 v12, v10, v11
	v_cmp_lt_i32_e64 s[58:59], 1, v12
	v_mov_b32_e32 v13, 0
	v_pk_mov_b32 v[10:11], 0, 0
	s_and_saveexec_b64 s[60:61], s[58:59]
	s_cbranch_execz .LBB8_168
; %bb.172:                              ;   in Loop: Header=BB8_169 Depth=3
	flat_load_ushort v5, v[8:9] glc slc
	v_add_co_u32_e32 v8, vcc, 0x80, v8
	v_accvgpr_read_b32 v10, a34
	v_addc_co_u32_e32 v9, vcc, 0, v9, vcc
	v_accvgpr_read_b32 v13, a31
	v_accvgpr_read_b32 v11, a35
	s_branch .LBB8_168
.LBB8_173:                              ;   in Loop: Header=BB8_57 Depth=2
	s_or_b64 exec, exec, s[54:55]
	s_and_b64 s[54:55], s[56:57], exec
.LBB8_174:                              ;   in Loop: Header=BB8_57 Depth=2
	s_or_b64 exec, exec, s[52:53]
	s_and_b64 exec, exec, s[54:55]
	s_cbranch_execz .LBB8_176
; %bb.175:                              ;   in Loop: Header=BB8_57 Depth=2
	flat_store_short v[0:1], v5 glc slc
.LBB8_176:                              ;   in Loop: Header=BB8_57 Depth=2
	s_or_b64 exec, exec, s[36:37]
.LBB8_177:                              ;   in Loop: Header=BB8_57 Depth=2
	s_or_b64 exec, exec, s[26:27]
.LBB8_178:                              ;   in Loop: Header=BB8_57 Depth=2
	s_and_saveexec_b64 s[26:27], s[10:11]
	s_cbranch_execz .LBB8_197
; %bb.179:                              ;   in Loop: Header=BB8_57 Depth=2
	s_and_saveexec_b64 vcc, s[44:45]
	s_xor_b64 s[36:37], exec, vcc
	s_cbranch_execz .LBB8_194
; %bb.180:                              ;   in Loop: Header=BB8_57 Depth=2
	s_and_saveexec_b64 s[52:53], s[16:17]
	s_cbranch_execz .LBB8_193
; %bb.181:                              ;   in Loop: Header=BB8_57 Depth=2
	s_mov_b64 s[56:57], exec
	v_mbcnt_lo_u32_b32 v0, s56, 0
	v_mbcnt_hi_u32_b32 v0, s57, v0
	v_cmp_eq_u32_e32 vcc, 0, v0
	s_waitcnt vmcnt(0) lgkmcnt(0)
	buffer_wbinvl1_vol
	s_and_saveexec_b64 s[54:55], vcc
	s_cbranch_execz .LBB8_183
; %bb.182:                              ;   in Loop: Header=BB8_57 Depth=2
	s_bcnt1_i32_b64 vcc_lo, s[56:57]
	v_mov_b32_e32 v0, vcc_lo
	v_mov_b32_e32 v1, v42
	ds_add_u64 v0, v[0:1]
	s_trap 2
.LBB8_183:                              ;   in Loop: Header=BB8_57 Depth=2
	s_or_b64 exec, exec, s[54:55]
	s_trap 2
	ds_read_b64 v[0:1], v0
	v_accvgpr_read_b32 v8, a12
	v_accvgpr_read_b32 v10, a20
	v_accvgpr_read_b32 v9, a13
	v_add_co_u32_e32 v8, vcc, v8, v10
	v_addc_co_u32_e32 v9, vcc, 0, v9, vcc
	v_accvgpr_write_b32 a13, v9
	v_accvgpr_write_b32 a12, v8
	s_waitcnt lgkmcnt(0)
	v_cmp_lt_u64_e32 vcc, v[0:1], v[8:9]
	s_and_saveexec_b64 s[54:55], vcc
	s_cbranch_execz .LBB8_192
; %bb.184:                              ;   in Loop: Header=BB8_57 Depth=2
	s_mov_b32 s67, 0
	s_mov_b64 s[56:57], 0
                                        ; implicit-def: $sgpr58_sgpr59
                                        ; implicit-def: $sgpr60_sgpr61
	s_branch .LBB8_186
.LBB8_185:                              ;   in Loop: Header=BB8_186 Depth=3
	s_or_b64 exec, exec, s[64:65]
	s_and_b64 vcc, exec, vcc
	s_or_b64 s[56:57], vcc, s[56:57]
	s_andn2_b64 vcc, s[58:59], exec
	s_and_b64 s[58:59], s[60:61], exec
	s_or_b64 s[58:59], vcc, s[58:59]
	s_andn2_b64 exec, exec, s[56:57]
	s_cbranch_execz .LBB8_190
.LBB8_186:                              ;   Parent Loop BB8_47 Depth=1
                                        ;     Parent Loop BB8_57 Depth=2
                                        ; =>    This Inner Loop Header: Depth=3
	s_add_i32 s67, s67, 1
	s_cmpk_lg_i32 s67, 0x2710
	s_cselect_b64 s[62:63], -1, 0
	s_and_b64 vcc, exec, s[62:63]
                                        ; implicit-def: $sgpr64_sgpr65
	s_cbranch_vccnz .LBB8_188
; %bb.187:                              ;   in Loop: Header=BB8_186 Depth=3
	s_trap 2
	ds_read_b64 v[0:1], v0
	s_andn2_b64 s[62:63], s[62:63], exec
	s_mov_b32 s67, 0
	s_mov_b64 s[64:65], -1
	s_waitcnt lgkmcnt(0)
	flat_load_dword v0, v[0:1] glc
	s_waitcnt vmcnt(0) lgkmcnt(0)
	buffer_invl2
	buffer_wbinvl1_vol
	v_cmp_eq_u32_e32 vcc, 0, v0
	s_and_b64 vcc, vcc, exec
	s_or_b64 s[62:63], s[62:63], vcc
.LBB8_188:                              ;   in Loop: Header=BB8_186 Depth=3
	s_andn2_b64 s[60:61], s[60:61], exec
	s_and_b64 s[64:65], s[64:65], exec
	s_mov_b64 vcc, -1
	s_or_b64 s[60:61], s[60:61], s[64:65]
	s_and_saveexec_b64 s[64:65], s[62:63]
	s_cbranch_execz .LBB8_185
; %bb.189:                              ;   in Loop: Header=BB8_186 Depth=3
	s_sleep 1
	s_trap 2
	ds_read_b64 v[0:1], v0
	v_accvgpr_read_b32 v8, a12
	v_accvgpr_read_b32 v9, a13
	s_andn2_b64 s[60:61], s[60:61], exec
	s_waitcnt lgkmcnt(0)
	v_cmp_ge_u64_e32 vcc, v[0:1], v[8:9]
	s_orn2_b64 vcc, vcc, exec
	s_branch .LBB8_185
.LBB8_190:                              ;   in Loop: Header=BB8_57 Depth=2
	s_or_b64 exec, exec, s[56:57]
	s_and_saveexec_b64 vcc, s[58:59]
	s_xor_b64 vcc, exec, vcc
	s_cbranch_execz .LBB8_192
; %bb.191:                              ;   in Loop: Header=BB8_57 Depth=2
	v_mov_b32_e32 v0, 1
	ds_write_b32 v0, v0
	s_trap 2
.LBB8_192:                              ;   in Loop: Header=BB8_57 Depth=2
	s_or_b64 exec, exec, s[54:55]
	;;#ASMSTART
	s_wakeup
	;;#ASMEND
.LBB8_193:                              ;   in Loop: Header=BB8_57 Depth=2
	s_or_b64 exec, exec, s[52:53]
.LBB8_194:                              ;   in Loop: Header=BB8_57 Depth=2
	s_andn2_saveexec_b64 vcc, s[36:37]
	s_cbranch_execz .LBB8_196
; %bb.195:                              ;   in Loop: Header=BB8_57 Depth=2
	s_waitcnt vmcnt(0) lgkmcnt(0)
	buffer_wbinvl1_vol
	s_barrier
.LBB8_196:                              ;   in Loop: Header=BB8_57 Depth=2
	s_or_b64 exec, exec, vcc
.LBB8_197:                              ;   in Loop: Header=BB8_57 Depth=2
	s_or_b64 exec, exec, s[26:27]
	v_and_b32_e32 v0, 16, v62
	s_and_saveexec_b64 s[26:27], s[24:25]
	s_xor_b64 s[36:37], exec, s[26:27]
	s_cbranch_execz .LBB8_202
; %bb.198:                              ;   in Loop: Header=BB8_57 Depth=2
	v_and_b32_e32 v1, 16, v62
	v_cmp_lt_i32_e32 vcc, 0, v25
	v_cmp_ne_u32_e64 s[26:27], 0, v1
	v_and_b32_e32 v0, 16, v62
	s_and_b64 vcc, s[26:27], vcc
	s_and_saveexec_b64 s[26:27], vcc
	s_cbranch_execz .LBB8_200
; %bb.199:                              ;   in Loop: Header=BB8_57 Depth=2
	v_mov_b32_e32 v0, 1
	s_waitcnt vmcnt(0) lgkmcnt(0)
	buffer_wbinvl1_vol
.LBB8_200:                              ;   in Loop: Header=BB8_57 Depth=2
	s_or_b64 exec, exec, s[26:27]
	s_andn2_saveexec_b64 s[26:27], s[36:37]
	s_cbranch_execnz .LBB8_203
.LBB8_201:                              ;   in Loop: Header=BB8_57 Depth=2
	s_or_b64 exec, exec, s[26:27]
	v_cmp_ne_u32_e32 vcc, 0, v0
	s_and_saveexec_b64 s[26:27], vcc
	s_cbranch_execz .LBB8_56
	s_branch .LBB8_221
.LBB8_202:                              ;   in Loop: Header=BB8_57 Depth=2
	s_andn2_saveexec_b64 s[26:27], s[36:37]
	s_cbranch_execz .LBB8_201
.LBB8_203:                              ;   in Loop: Header=BB8_57 Depth=2
	s_and_saveexec_b64 vcc, s[44:45]
	s_xor_b64 s[36:37], exec, vcc
	s_cbranch_execz .LBB8_218
; %bb.204:                              ;   in Loop: Header=BB8_57 Depth=2
	s_and_saveexec_b64 s[52:53], s[16:17]
	s_cbranch_execz .LBB8_217
; %bb.205:                              ;   in Loop: Header=BB8_57 Depth=2
	s_mov_b64 s[56:57], exec
	v_mbcnt_lo_u32_b32 v1, s56, 0
	v_mbcnt_hi_u32_b32 v1, s57, v1
	v_cmp_eq_u32_e32 vcc, 0, v1
	;;#ASMSTART
	s_waitcnt lgkmcnt(0) vmcnt(0)
	;;#ASMEND
	s_and_saveexec_b64 s[54:55], vcc
	s_cbranch_execz .LBB8_207
; %bb.206:                              ;   in Loop: Header=BB8_57 Depth=2
	s_bcnt1_i32_b64 vcc_lo, s[56:57]
	v_mov_b32_e32 v8, vcc_lo
	v_mov_b32_e32 v9, v42
	ds_add_u64 v0, v[8:9]
	s_trap 2
.LBB8_207:                              ;   in Loop: Header=BB8_57 Depth=2
	s_or_b64 exec, exec, s[54:55]
	s_trap 2
	ds_read_b64 v[8:9], v0
	v_accvgpr_read_b32 v10, a12
	v_accvgpr_read_b32 v12, a20
	v_accvgpr_read_b32 v11, a13
	v_add_co_u32_e32 v10, vcc, v10, v12
	v_addc_co_u32_e32 v11, vcc, 0, v11, vcc
	v_accvgpr_write_b32 a13, v11
	v_accvgpr_write_b32 a12, v10
	s_waitcnt lgkmcnt(0)
	v_cmp_lt_u64_e32 vcc, v[8:9], v[10:11]
	s_and_saveexec_b64 s[54:55], vcc
	s_cbranch_execz .LBB8_216
; %bb.208:                              ;   in Loop: Header=BB8_57 Depth=2
	s_mov_b32 s67, 0
	s_mov_b64 s[56:57], 0
                                        ; implicit-def: $sgpr58_sgpr59
                                        ; implicit-def: $sgpr60_sgpr61
	s_branch .LBB8_210
.LBB8_209:                              ;   in Loop: Header=BB8_210 Depth=3
	s_or_b64 exec, exec, s[64:65]
	s_and_b64 vcc, exec, vcc
	s_or_b64 s[56:57], vcc, s[56:57]
	s_andn2_b64 vcc, s[58:59], exec
	s_and_b64 s[58:59], s[60:61], exec
	s_or_b64 s[58:59], vcc, s[58:59]
	s_andn2_b64 exec, exec, s[56:57]
	s_cbranch_execz .LBB8_214
.LBB8_210:                              ;   Parent Loop BB8_47 Depth=1
                                        ;     Parent Loop BB8_57 Depth=2
                                        ; =>    This Inner Loop Header: Depth=3
	s_add_i32 s67, s67, 1
	s_cmpk_lg_i32 s67, 0x2710
	s_cselect_b64 s[62:63], -1, 0
	s_and_b64 vcc, exec, s[62:63]
                                        ; implicit-def: $sgpr64_sgpr65
	s_cbranch_vccnz .LBB8_212
; %bb.211:                              ;   in Loop: Header=BB8_210 Depth=3
	s_trap 2
	ds_read_b64 v[8:9], v0
	s_andn2_b64 s[62:63], s[62:63], exec
	s_mov_b32 s67, 0
	s_mov_b64 s[64:65], -1
	s_waitcnt vmcnt(0) lgkmcnt(0)
	flat_load_dword v1, v[8:9] glc
	s_waitcnt vmcnt(0) lgkmcnt(0)
	buffer_invl2
	buffer_wbinvl1_vol
	v_cmp_eq_u32_e32 vcc, 0, v1
	s_and_b64 vcc, vcc, exec
	s_or_b64 s[62:63], s[62:63], vcc
.LBB8_212:                              ;   in Loop: Header=BB8_210 Depth=3
	s_andn2_b64 s[60:61], s[60:61], exec
	s_and_b64 s[64:65], s[64:65], exec
	s_mov_b64 vcc, -1
	s_or_b64 s[60:61], s[60:61], s[64:65]
	s_and_saveexec_b64 s[64:65], s[62:63]
	s_cbranch_execz .LBB8_209
; %bb.213:                              ;   in Loop: Header=BB8_210 Depth=3
	s_sleep 1
	s_trap 2
	ds_read_b64 v[8:9], v0
	v_accvgpr_read_b32 v10, a12
	v_accvgpr_read_b32 v11, a13
	s_andn2_b64 s[60:61], s[60:61], exec
	s_waitcnt lgkmcnt(0)
	v_cmp_ge_u64_e32 vcc, v[8:9], v[10:11]
	s_orn2_b64 vcc, vcc, exec
	s_branch .LBB8_209
.LBB8_214:                              ;   in Loop: Header=BB8_57 Depth=2
	s_or_b64 exec, exec, s[56:57]
	s_and_saveexec_b64 vcc, s[58:59]
	s_xor_b64 vcc, exec, vcc
	s_cbranch_execz .LBB8_216
; %bb.215:                              ;   in Loop: Header=BB8_57 Depth=2
	v_mov_b32_e32 v1, 1
	ds_write_b32 v0, v1
	s_trap 2
.LBB8_216:                              ;   in Loop: Header=BB8_57 Depth=2
	s_or_b64 exec, exec, s[54:55]
	;;#ASMSTART
	s_wakeup
	;;#ASMEND
.LBB8_217:                              ;   in Loop: Header=BB8_57 Depth=2
	s_or_b64 exec, exec, s[52:53]
.LBB8_218:                              ;   in Loop: Header=BB8_57 Depth=2
	s_andn2_saveexec_b64 vcc, s[36:37]
	s_cbranch_execz .LBB8_220
; %bb.219:                              ;   in Loop: Header=BB8_57 Depth=2
	;;#ASMSTART
	s_waitcnt lgkmcnt(0) vmcnt(0)
	;;#ASMEND
	s_barrier
.LBB8_220:                              ;   in Loop: Header=BB8_57 Depth=2
	s_or_b64 exec, exec, vcc
	s_or_b64 exec, exec, s[26:27]
	v_cmp_ne_u32_e32 vcc, 0, v0
	s_and_saveexec_b64 s[26:27], vcc
	s_cbranch_execz .LBB8_56
.LBB8_221:                              ;   in Loop: Header=BB8_57 Depth=2
	s_and_saveexec_b64 vcc, s[14:15]
	s_cbranch_execz .LBB8_55
; %bb.222:                              ;   in Loop: Header=BB8_57 Depth=2
	v_accvgpr_read_b32 v0, a18
	v_accvgpr_read_b32 v1, a19
	v_mov_b32_e32 v3, 1
	flat_store_dword v[0:1], v3
	s_branch .LBB8_55
.LBB8_223:                              ;   in Loop: Header=BB8_47 Depth=1
	s_or_b64 exec, exec, s[30:31]
.LBB8_224:                              ;   in Loop: Header=BB8_47 Depth=1
	s_or_b64 exec, exec, s[28:29]
	v_cmp_gt_i32_e32 vcc, 2, v3
	s_and_saveexec_b64 s[28:29], vcc
	s_cbranch_execz .LBB8_296
; %bb.225:                              ;   in Loop: Header=BB8_47 Depth=1
	v_cmp_eq_u32_e64 s[26:27], 0, v3
	s_mov_b64 s[30:31], 0
	s_branch .LBB8_228
.LBB8_226:                              ;   in Loop: Header=BB8_228 Depth=2
	s_or_b64 exec, exec, vcc
	v_add_co_u32_e32 v44, vcc, 2, v44
	v_addc_co_u32_e32 v45, vcc, 0, v45, vcc
	flat_store_dwordx2 v[46:47], v[44:45]
.LBB8_227:                              ;   in Loop: Header=BB8_228 Depth=2
	s_or_b64 exec, exec, s[26:27]
	v_add_u32_e32 v24, v2, v24
	s_mov_b64 s[26:27], 0
	s_andn2_b64 exec, exec, s[30:31]
	s_cbranch_execz .LBB8_295
.LBB8_228:                              ;   Parent Loop BB8_47 Depth=1
                                        ; =>  This Loop Header: Depth=2
                                        ;       Child Loop BB8_234 Depth 3
                                        ;       Child Loop BB8_258 Depth 3
	;; [unrolled: 1-line block ×3, first 2 shown]
	v_and_b32_e32 v0, 8, v62
	s_mov_b64 s[36:37], -1
	v_cmp_ne_u32_e32 vcc, 0, v0
	s_and_saveexec_b64 s[34:35], vcc
	s_cbranch_execz .LBB8_240
; %bb.229:                              ;   in Loop: Header=BB8_228 Depth=2
	v_add_co_u32_e32 v8, vcc, 8, v60
	v_addc_co_u32_e32 v9, vcc, 0, v61, vcc
	v_add_co_u32_e32 v0, vcc, 2, v44
	v_addc_co_u32_e32 v1, vcc, 0, v45, vcc
	v_cmp_lt_u64_e32 vcc, v[8:9], v[0:1]
	v_mov_b32_e32 v3, 1
	s_and_saveexec_b64 s[36:37], vcc
	s_cbranch_execz .LBB8_239
; %bb.230:                              ;   in Loop: Header=BB8_228 Depth=2
	s_mov_b64 s[52:53], 0
	v_mov_b32_e32 v3, 0
                                        ; implicit-def: $sgpr54_sgpr55
	s_branch .LBB8_234
.LBB8_231:                              ;   in Loop: Header=BB8_234 Depth=3
	s_or_b64 exec, exec, s[62:63]
	v_mov_b32_e32 v5, 0
	s_orn2_b64 s[60:61], s[60:61], exec
.LBB8_232:                              ;   in Loop: Header=BB8_234 Depth=3
	s_or_b64 exec, exec, s[58:59]
	s_andn2_b64 vcc, s[54:55], exec
	s_and_b64 s[54:55], s[60:61], exec
	s_or_b64 s[54:55], vcc, s[54:55]
	v_mov_b32_e32 v3, v5
.LBB8_233:                              ;   in Loop: Header=BB8_234 Depth=3
	s_or_b64 exec, exec, s[56:57]
	s_waitcnt vmcnt(0) lgkmcnt(0)
	v_add_co_u32_e32 v8, vcc, 8, v60
	v_addc_co_u32_e32 v9, vcc, 0, v61, vcc
	v_cmp_ge_u64_e32 vcc, v[8:9], v[0:1]
	s_xor_b64 s[56:57], s[54:55], -1
	s_or_b64 vcc, s[56:57], vcc
	s_and_b64 vcc, exec, vcc
	s_or_b64 s[52:53], vcc, s[52:53]
	s_andn2_b64 exec, exec, s[52:53]
	s_cbranch_execz .LBB8_238
.LBB8_234:                              ;   Parent Loop BB8_47 Depth=1
                                        ;     Parent Loop BB8_228 Depth=2
                                        ; =>    This Inner Loop Header: Depth=3
	s_sleep 1
	flat_load_dwordx2 v[60:61], v[46:47] glc
	v_and_b32_e32 v5, 64, v62
	v_cmp_eq_u32_e32 vcc, 0, v5
	s_andn2_b64 s[54:55], s[54:55], exec
	s_and_saveexec_b64 s[56:57], vcc
	s_cbranch_execz .LBB8_233
; %bb.235:                              ;   in Loop: Header=BB8_234 Depth=3
	v_add_u32_e32 v5, 1, v3
	v_cmp_lt_i32_e32 vcc, s89, v3
	s_mov_b64 s[60:61], -1
	s_and_saveexec_b64 s[58:59], vcc
	s_cbranch_execz .LBB8_232
; %bb.236:                              ;   in Loop: Header=BB8_234 Depth=3
	s_trap 2
	ds_read_b64 v[8:9], v0
	s_waitcnt vmcnt(0) lgkmcnt(0)
	flat_load_dword v3, v[8:9] glc
	s_waitcnt vmcnt(0) lgkmcnt(0)
	buffer_invl2
	buffer_wbinvl1_vol
	v_cmp_ne_u32_e32 vcc, 0, v3
	s_and_saveexec_b64 s[62:63], vcc
	s_cbranch_execz .LBB8_231
; %bb.237:                              ;   in Loop: Header=BB8_234 Depth=3
	v_or_b32_e32 v62, 64, v62
	s_xor_b64 s[60:61], exec, -1
	ds_write_b32 v0, v3
	s_trap 2
	s_branch .LBB8_231
.LBB8_238:                              ;   in Loop: Header=BB8_228 Depth=2
	s_or_b64 exec, exec, s[52:53]
	v_and_b32_e32 v3, 8, v62
.LBB8_239:                              ;   in Loop: Header=BB8_228 Depth=2
	s_or_b64 exec, exec, s[36:37]
	v_cmp_eq_u32_e32 vcc, 0, v3
	s_orn2_b64 s[36:37], vcc, exec
	;;#ASMSTART
	s_wakeup
	;;#ASMEND
.LBB8_240:                              ;   in Loop: Header=BB8_228 Depth=2
	s_or_b64 exec, exec, s[34:35]
	s_xor_b64 s[26:27], s[26:27], -1
	s_and_b64 s[26:27], exec, s[26:27]
	s_or_b64 s[30:31], s[26:27], s[30:31]
	v_sub_u32_e32 v0, v36, v24
	s_xor_b64 s[26:27], s[36:37], -1
	v_min_i32_e32 v2, v2, v0
	s_and_saveexec_b64 s[34:35], s[26:27]
	s_cbranch_execz .LBB8_250
; %bb.241:                              ;   in Loop: Header=BB8_228 Depth=2
	v_and_b32_e32 v0, 0x100, v62
	v_cmp_ne_u32_e32 vcc, 0, v0
	v_and_b32_e32 v5, 7, v44
	s_mov_b64 s[26:27], -1
                                        ; implicit-def: $vgpr0_vgpr1
	s_and_saveexec_b64 s[36:37], vcc
	s_cbranch_execz .LBB8_245
; %bb.242:                              ;   in Loop: Header=BB8_228 Depth=2
	v_accvgpr_read_b32 v0, a10
	v_accvgpr_read_b32 v1, a11
	v_mad_u64_u32 v[8:9], s[26:27], v5, 24, v[0:1]
	flat_load_dword v10, v[8:9]
	v_ashrrev_i32_e32 v3, 31, v2
	v_lshlrev_b64 v[0:1], 1, v[2:3]
	flat_store_dwordx2 v[8:9], v[0:1] offset:8
                                        ; implicit-def: $vgpr0_vgpr1
	s_waitcnt vmcnt(0) lgkmcnt(0)
	v_cmp_ne_u32_e32 vcc, 1, v10
	v_cmp_eq_u32_e64 s[26:27], 1, v10
	s_and_saveexec_b64 s[52:53], s[26:27]
	s_cbranch_execz .LBB8_244
; %bb.243:                              ;   in Loop: Header=BB8_228 Depth=2
	flat_load_dword v0, v[8:9] offset:4 glc
	s_waitcnt vmcnt(0) lgkmcnt(0)
	v_ashrrev_i32_e32 v1, 31, v0
	v_lshrrev_b64 v[0:1], 1, v[0:1]
.LBB8_244:                              ;   in Loop: Header=BB8_228 Depth=2
	s_or_b64 exec, exec, s[52:53]
	s_orn2_b64 s[26:27], vcc, exec
.LBB8_245:                              ;   in Loop: Header=BB8_228 Depth=2
	s_or_b64 exec, exec, s[36:37]
	s_and_saveexec_b64 vcc, s[26:27]
; %bb.246:                              ;   in Loop: Header=BB8_228 Depth=2
	v_accvgpr_read_b32 v0, a14
	v_mad_i64_i32 v[0:1], s[26:27], v5, v0, 0
; %bb.247:                              ;   in Loop: Header=BB8_228 Depth=2
	s_or_b64 exec, exec, vcc
	v_lshlrev_b64 v[0:1], 1, v[0:1]
	v_accvgpr_read_b32 v8, a16
	v_accvgpr_read_b32 v9, a17
	v_add_co_u32_e32 v0, vcc, v8, v0
	v_addc_co_u32_e32 v1, vcc, v9, v1, vcc
	ds_write_b64 v0, v[0:1] offset:784
	v_and_b32_e32 v0, 0x2000, v62
	v_cmp_ne_u32_e32 vcc, 0, v0
	s_and_saveexec_b64 s[26:27], vcc
	s_cbranch_execz .LBB8_249
; %bb.248:                              ;   in Loop: Header=BB8_228 Depth=2
	ds_read_b64 v[0:1], v0 offset:584
	s_waitcnt lgkmcnt(0)
	v_add_co_u32_e32 v0, vcc, 1, v0
	v_addc_co_u32_e32 v1, vcc, 0, v1, vcc
	ds_write_b64 v0, v[0:1] offset:584
.LBB8_249:                              ;   in Loop: Header=BB8_228 Depth=2
	s_or_b64 exec, exec, s[26:27]
	v_add_co_u32_e32 v44, vcc, 2, v44
	v_addc_co_u32_e32 v45, vcc, 0, v45, vcc
.LBB8_250:                              ;   in Loop: Header=BB8_228 Depth=2
	s_or_b64 exec, exec, s[34:35]
	s_and_saveexec_b64 s[26:27], s[10:11]
	s_cbranch_execz .LBB8_269
; %bb.251:                              ;   in Loop: Header=BB8_228 Depth=2
	s_and_saveexec_b64 vcc, s[44:45]
	s_xor_b64 s[34:35], exec, vcc
	s_cbranch_execz .LBB8_266
; %bb.252:                              ;   in Loop: Header=BB8_228 Depth=2
	s_and_saveexec_b64 s[36:37], s[16:17]
	s_cbranch_execz .LBB8_265
; %bb.253:                              ;   in Loop: Header=BB8_228 Depth=2
	s_mov_b64 s[54:55], exec
	v_mbcnt_lo_u32_b32 v0, s54, 0
	v_mbcnt_hi_u32_b32 v0, s55, v0
	v_cmp_eq_u32_e32 vcc, 0, v0
	s_waitcnt vmcnt(0) lgkmcnt(0)
	buffer_wbinvl1_vol
	s_and_saveexec_b64 s[52:53], vcc
	s_cbranch_execz .LBB8_255
; %bb.254:                              ;   in Loop: Header=BB8_228 Depth=2
	s_bcnt1_i32_b64 vcc_lo, s[54:55]
	v_mov_b32_e32 v0, vcc_lo
	v_mov_b32_e32 v1, v42
	ds_add_u64 v0, v[0:1]
	s_trap 2
.LBB8_255:                              ;   in Loop: Header=BB8_228 Depth=2
	s_or_b64 exec, exec, s[52:53]
	s_trap 2
	ds_read_b64 v[0:1], v0
	v_accvgpr_read_b32 v8, a12
	v_accvgpr_read_b32 v10, a20
	;; [unrolled: 1-line block ×3, first 2 shown]
	v_add_co_u32_e32 v8, vcc, v8, v10
	v_addc_co_u32_e32 v9, vcc, 0, v9, vcc
	v_accvgpr_write_b32 a13, v9
	v_accvgpr_write_b32 a12, v8
	s_waitcnt lgkmcnt(0)
	v_cmp_lt_u64_e32 vcc, v[0:1], v[8:9]
	s_and_saveexec_b64 s[52:53], vcc
	s_cbranch_execz .LBB8_264
; %bb.256:                              ;   in Loop: Header=BB8_228 Depth=2
	s_mov_b32 s64, 0
	s_mov_b64 s[54:55], 0
                                        ; implicit-def: $sgpr56_sgpr57
                                        ; implicit-def: $sgpr58_sgpr59
	s_branch .LBB8_258
.LBB8_257:                              ;   in Loop: Header=BB8_258 Depth=3
	s_or_b64 exec, exec, s[62:63]
	s_and_b64 vcc, exec, vcc
	s_or_b64 s[54:55], vcc, s[54:55]
	s_andn2_b64 vcc, s[56:57], exec
	s_and_b64 s[56:57], s[58:59], exec
	s_or_b64 s[56:57], vcc, s[56:57]
	s_andn2_b64 exec, exec, s[54:55]
	s_cbranch_execz .LBB8_262
.LBB8_258:                              ;   Parent Loop BB8_47 Depth=1
                                        ;     Parent Loop BB8_228 Depth=2
                                        ; =>    This Inner Loop Header: Depth=3
	s_add_i32 s64, s64, 1
	s_cmpk_lg_i32 s64, 0x2710
	s_cselect_b64 s[60:61], -1, 0
	s_and_b64 vcc, exec, s[60:61]
                                        ; implicit-def: $sgpr62_sgpr63
	s_cbranch_vccnz .LBB8_260
; %bb.259:                              ;   in Loop: Header=BB8_258 Depth=3
	s_trap 2
	ds_read_b64 v[0:1], v0
	s_andn2_b64 s[60:61], s[60:61], exec
	s_mov_b32 s64, 0
	s_mov_b64 s[62:63], -1
	s_waitcnt lgkmcnt(0)
	flat_load_dword v0, v[0:1] glc
	s_waitcnt vmcnt(0) lgkmcnt(0)
	buffer_invl2
	buffer_wbinvl1_vol
	v_cmp_eq_u32_e32 vcc, 0, v0
	s_and_b64 vcc, vcc, exec
	s_or_b64 s[60:61], s[60:61], vcc
.LBB8_260:                              ;   in Loop: Header=BB8_258 Depth=3
	s_andn2_b64 s[58:59], s[58:59], exec
	s_and_b64 s[62:63], s[62:63], exec
	s_mov_b64 vcc, -1
	s_or_b64 s[58:59], s[58:59], s[62:63]
	s_and_saveexec_b64 s[62:63], s[60:61]
	s_cbranch_execz .LBB8_257
; %bb.261:                              ;   in Loop: Header=BB8_258 Depth=3
	s_sleep 1
	s_trap 2
	ds_read_b64 v[0:1], v0
	v_accvgpr_read_b32 v8, a12
	v_accvgpr_read_b32 v9, a13
	s_andn2_b64 s[58:59], s[58:59], exec
	s_waitcnt lgkmcnt(0)
	v_cmp_ge_u64_e32 vcc, v[0:1], v[8:9]
	s_orn2_b64 vcc, vcc, exec
	s_branch .LBB8_257
.LBB8_262:                              ;   in Loop: Header=BB8_228 Depth=2
	s_or_b64 exec, exec, s[54:55]
	s_and_saveexec_b64 vcc, s[56:57]
	s_xor_b64 vcc, exec, vcc
	s_cbranch_execz .LBB8_264
; %bb.263:                              ;   in Loop: Header=BB8_228 Depth=2
	v_mov_b32_e32 v0, 1
	ds_write_b32 v0, v0
	s_trap 2
.LBB8_264:                              ;   in Loop: Header=BB8_228 Depth=2
	s_or_b64 exec, exec, s[52:53]
	;;#ASMSTART
	s_wakeup
	;;#ASMEND
.LBB8_265:                              ;   in Loop: Header=BB8_228 Depth=2
	s_or_b64 exec, exec, s[36:37]
.LBB8_266:                              ;   in Loop: Header=BB8_228 Depth=2
	s_andn2_saveexec_b64 vcc, s[34:35]
	s_cbranch_execz .LBB8_268
; %bb.267:                              ;   in Loop: Header=BB8_228 Depth=2
	s_waitcnt vmcnt(0) lgkmcnt(0)
	buffer_wbinvl1_vol
	s_barrier
.LBB8_268:                              ;   in Loop: Header=BB8_228 Depth=2
	s_or_b64 exec, exec, vcc
.LBB8_269:                              ;   in Loop: Header=BB8_228 Depth=2
	s_or_b64 exec, exec, s[26:27]
	v_and_b32_e32 v0, 16, v62
	s_and_saveexec_b64 s[26:27], s[24:25]
	s_xor_b64 s[26:27], exec, s[26:27]
	s_cbranch_execz .LBB8_274
; %bb.270:                              ;   in Loop: Header=BB8_228 Depth=2
	s_trap 2
	ds_read_b32 v1, v0
	v_cmp_lt_i32_e32 vcc, 0, v2
	v_and_b32_e32 v3, 16, v62
	v_and_b32_e32 v0, 16, v62
	s_waitcnt lgkmcnt(0)
	v_readfirstlane_b32 s34, v1
	s_cmp_eq_u32 s34, 0
	s_cselect_b64 s[34:35], -1, 0
	s_and_b64 s[34:35], vcc, s[34:35]
	v_cmp_ne_u32_e32 vcc, 0, v3
	s_and_b64 s[34:35], vcc, s[34:35]
	s_and_saveexec_b64 vcc, s[34:35]
	s_cbranch_execz .LBB8_272
; %bb.271:                              ;   in Loop: Header=BB8_228 Depth=2
	v_mov_b32_e32 v0, 1
	s_waitcnt vmcnt(0)
	buffer_wbinvl1_vol
.LBB8_272:                              ;   in Loop: Header=BB8_228 Depth=2
	s_or_b64 exec, exec, vcc
	s_andn2_saveexec_b64 s[26:27], s[26:27]
	s_cbranch_execnz .LBB8_275
.LBB8_273:                              ;   in Loop: Header=BB8_228 Depth=2
	s_or_b64 exec, exec, s[26:27]
	v_cmp_ne_u32_e32 vcc, 0, v0
	s_and_saveexec_b64 s[26:27], vcc
	s_cbranch_execz .LBB8_227
	s_branch .LBB8_293
.LBB8_274:                              ;   in Loop: Header=BB8_228 Depth=2
	s_andn2_saveexec_b64 s[26:27], s[26:27]
	s_cbranch_execz .LBB8_273
.LBB8_275:                              ;   in Loop: Header=BB8_228 Depth=2
	s_and_saveexec_b64 vcc, s[44:45]
	s_xor_b64 s[34:35], exec, vcc
	s_cbranch_execz .LBB8_290
; %bb.276:                              ;   in Loop: Header=BB8_228 Depth=2
	s_and_saveexec_b64 s[36:37], s[16:17]
	s_cbranch_execz .LBB8_289
; %bb.277:                              ;   in Loop: Header=BB8_228 Depth=2
	s_mov_b64 s[54:55], exec
	v_mbcnt_lo_u32_b32 v1, s54, 0
	v_mbcnt_hi_u32_b32 v1, s55, v1
	v_cmp_eq_u32_e32 vcc, 0, v1
	;;#ASMSTART
	s_waitcnt lgkmcnt(0) vmcnt(0)
	;;#ASMEND
	s_and_saveexec_b64 s[52:53], vcc
	s_cbranch_execz .LBB8_279
; %bb.278:                              ;   in Loop: Header=BB8_228 Depth=2
	s_bcnt1_i32_b64 vcc_lo, s[54:55]
	v_mov_b32_e32 v8, vcc_lo
	v_mov_b32_e32 v9, v42
	ds_add_u64 v0, v[8:9]
	s_trap 2
.LBB8_279:                              ;   in Loop: Header=BB8_228 Depth=2
	s_or_b64 exec, exec, s[52:53]
	s_trap 2
	ds_read_b64 v[8:9], v0
	v_accvgpr_read_b32 v10, a12
	v_accvgpr_read_b32 v12, a20
	;; [unrolled: 1-line block ×3, first 2 shown]
	v_add_co_u32_e32 v10, vcc, v10, v12
	v_addc_co_u32_e32 v11, vcc, 0, v11, vcc
	v_accvgpr_write_b32 a13, v11
	v_accvgpr_write_b32 a12, v10
	s_waitcnt lgkmcnt(0)
	v_cmp_lt_u64_e32 vcc, v[8:9], v[10:11]
	s_and_saveexec_b64 s[52:53], vcc
	s_cbranch_execz .LBB8_288
; %bb.280:                              ;   in Loop: Header=BB8_228 Depth=2
	s_mov_b32 s64, 0
	s_mov_b64 s[54:55], 0
                                        ; implicit-def: $sgpr56_sgpr57
                                        ; implicit-def: $sgpr58_sgpr59
	s_branch .LBB8_282
.LBB8_281:                              ;   in Loop: Header=BB8_282 Depth=3
	s_or_b64 exec, exec, s[62:63]
	s_and_b64 vcc, exec, vcc
	s_or_b64 s[54:55], vcc, s[54:55]
	s_andn2_b64 vcc, s[56:57], exec
	s_and_b64 s[56:57], s[58:59], exec
	s_or_b64 s[56:57], vcc, s[56:57]
	s_andn2_b64 exec, exec, s[54:55]
	s_cbranch_execz .LBB8_286
.LBB8_282:                              ;   Parent Loop BB8_47 Depth=1
                                        ;     Parent Loop BB8_228 Depth=2
                                        ; =>    This Inner Loop Header: Depth=3
	s_add_i32 s64, s64, 1
	s_cmpk_lg_i32 s64, 0x2710
	s_cselect_b64 s[60:61], -1, 0
	s_and_b64 vcc, exec, s[60:61]
                                        ; implicit-def: $sgpr62_sgpr63
	s_cbranch_vccnz .LBB8_284
; %bb.283:                              ;   in Loop: Header=BB8_282 Depth=3
	s_trap 2
	ds_read_b64 v[8:9], v0
	s_andn2_b64 s[60:61], s[60:61], exec
	s_mov_b32 s64, 0
	s_mov_b64 s[62:63], -1
	s_waitcnt vmcnt(0) lgkmcnt(0)
	flat_load_dword v1, v[8:9] glc
	s_waitcnt vmcnt(0) lgkmcnt(0)
	buffer_invl2
	buffer_wbinvl1_vol
	v_cmp_eq_u32_e32 vcc, 0, v1
	s_and_b64 vcc, vcc, exec
	s_or_b64 s[60:61], s[60:61], vcc
.LBB8_284:                              ;   in Loop: Header=BB8_282 Depth=3
	s_andn2_b64 s[58:59], s[58:59], exec
	s_and_b64 s[62:63], s[62:63], exec
	s_mov_b64 vcc, -1
	s_or_b64 s[58:59], s[58:59], s[62:63]
	s_and_saveexec_b64 s[62:63], s[60:61]
	s_cbranch_execz .LBB8_281
; %bb.285:                              ;   in Loop: Header=BB8_282 Depth=3
	s_sleep 1
	s_trap 2
	ds_read_b64 v[8:9], v0
	v_accvgpr_read_b32 v10, a12
	v_accvgpr_read_b32 v11, a13
	s_andn2_b64 s[58:59], s[58:59], exec
	s_waitcnt lgkmcnt(0)
	v_cmp_ge_u64_e32 vcc, v[8:9], v[10:11]
	s_orn2_b64 vcc, vcc, exec
	s_branch .LBB8_281
.LBB8_286:                              ;   in Loop: Header=BB8_228 Depth=2
	s_or_b64 exec, exec, s[54:55]
	s_and_saveexec_b64 vcc, s[56:57]
	s_xor_b64 vcc, exec, vcc
	s_cbranch_execz .LBB8_288
; %bb.287:                              ;   in Loop: Header=BB8_228 Depth=2
	v_mov_b32_e32 v1, 1
	ds_write_b32 v0, v1
	s_trap 2
.LBB8_288:                              ;   in Loop: Header=BB8_228 Depth=2
	s_or_b64 exec, exec, s[52:53]
	;;#ASMSTART
	s_wakeup
	;;#ASMEND
.LBB8_289:                              ;   in Loop: Header=BB8_228 Depth=2
	s_or_b64 exec, exec, s[36:37]
.LBB8_290:                              ;   in Loop: Header=BB8_228 Depth=2
	s_andn2_saveexec_b64 vcc, s[34:35]
	s_cbranch_execz .LBB8_292
; %bb.291:                              ;   in Loop: Header=BB8_228 Depth=2
	;;#ASMSTART
	s_waitcnt lgkmcnt(0) vmcnt(0)
	;;#ASMEND
	s_barrier
.LBB8_292:                              ;   in Loop: Header=BB8_228 Depth=2
	s_or_b64 exec, exec, vcc
	s_or_b64 exec, exec, s[26:27]
	v_cmp_ne_u32_e32 vcc, 0, v0
	s_and_saveexec_b64 s[26:27], vcc
	s_cbranch_execz .LBB8_227
.LBB8_293:                              ;   in Loop: Header=BB8_228 Depth=2
	s_and_saveexec_b64 vcc, s[14:15]
	s_cbranch_execz .LBB8_226
; %bb.294:                              ;   in Loop: Header=BB8_228 Depth=2
	v_accvgpr_read_b32 v0, a18
	v_accvgpr_read_b32 v1, a19
	v_mov_b32_e32 v3, 1
	flat_store_dword v[0:1], v3
	s_branch .LBB8_226
.LBB8_295:                              ;   in Loop: Header=BB8_47 Depth=1
	s_or_b64 exec, exec, s[30:31]
.LBB8_296:                              ;   in Loop: Header=BB8_47 Depth=1
	s_or_b64 exec, exec, s[28:29]
	v_cndmask_b32_e64 v0, 0, 1, s[46:47]
	v_cmp_ne_u32_e64 s[26:27], 1, v0
	s_andn2_b64 vcc, exec, s[46:47]
	s_cbranch_vccnz .LBB8_904
; %bb.297:                              ;   in Loop: Header=BB8_47 Depth=1
	s_mov_b32 s94, 2
	s_branch .LBB8_300
.LBB8_298:                              ;   in Loop: Header=BB8_300 Depth=2
	s_or_b64 exec, exec, s[34:35]
.LBB8_299:                              ;   in Loop: Header=BB8_300 Depth=2
	s_or_b64 exec, exec, s[30:31]
	s_add_i32 s94, s94, 1
	s_cmp_eq_u32 s94, s76
	s_cbranch_scc1 .LBB8_904
.LBB8_300:                              ;   Parent Loop BB8_47 Depth=1
                                        ; =>  This Loop Header: Depth=2
                                        ;       Child Loop BB8_303 Depth 3
                                        ;         Child Loop BB8_311 Depth 4
                                        ;         Child Loop BB8_339 Depth 4
	;; [unrolled: 1-line block ×5, first 2 shown]
                                        ;           Child Loop BB8_585 Depth 5
                                        ;           Child Loop BB8_622 Depth 5
                                        ;         Child Loop BB8_699 Depth 4
                                        ;         Child Loop BB8_758 Depth 4
                                        ;           Child Loop BB8_759 Depth 5
                                        ;           Child Loop BB8_768 Depth 5
                                        ;         Child Loop BB8_790 Depth 4
                                        ;         Child Loop BB8_813 Depth 4
                                        ;       Child Loop BB8_832 Depth 3
                                        ;         Child Loop BB8_838 Depth 4
                                        ;         Child Loop BB8_878 Depth 4
	;; [unrolled: 1-line block ×3, first 2 shown]
	s_sub_i32 s28, s82, s94
	s_cmp_le_i32 s76, s28
	s_cselect_b32 s29, s76, 0
	s_sub_i32 s28, s28, s29
	v_accvgpr_read_b32 v8, a50
	s_ashr_i32 s29, s28, 31
	v_accvgpr_read_b32 v9, a51
	v_mul_lo_u32 v2, v8, s29
	v_mul_lo_u32 v3, v9, s28
	v_mad_u64_u32 v[0:1], s[28:29], v8, s28, 0
	v_add3_u32 v1, v1, v2, v3
	v_accvgpr_read_b32 v2, a52
	v_accvgpr_read_b32 v3, a53
	v_sub_co_u32_e32 v2, vcc, v2, v0
	v_subb_co_u32_e32 v3, vcc, v3, v1, vcc
	v_cmp_lt_i64_e32 vcc, v[8:9], v[2:3]
	v_cndmask_b32_e32 v2, v2, v8, vcc
	v_max_i32_e32 v34, 0, v2
	v_add_u32_e32 v3, 31, v34
	v_lshrrev_b32_e32 v3, 1, v3
	v_and_b32_e32 v3, 0x3ffffff0, v3
	v_cmp_lt_i32_e32 vcc, 0, v2
	v_max_i32_e32 v52, s85, v3
	s_and_b64 s[28:29], s[50:51], vcc
	v_mov_b32_e32 v2, 0
	v_mov_b32_e32 v54, 0
	s_and_saveexec_b64 s[52:53], s[28:29]
	s_cbranch_execz .LBB8_829
; %bb.301:                              ;   in Loop: Header=BB8_300 Depth=2
	s_mov_b32 s95, 1
	s_mov_b64 s[56:57], -1
	s_mov_b64 s[54:55], 0
	v_mov_b32_e32 v54, 0
	v_lshlrev_b64 v[36:37], 1, v[0:1]
	s_branch .LBB8_303
.LBB8_302:                              ;   in Loop: Header=BB8_303 Depth=3
	s_or_b64 exec, exec, s[28:29]
	v_add_u32_e32 v54, v52, v54
	v_cmp_ge_i32_e32 vcc, v54, v34
	s_xor_b64 s[28:29], s[56:57], -1
	s_or_b64 s[28:29], s[28:29], vcc
	s_and_b64 s[28:29], exec, s[28:29]
	s_or_b64 s[54:55], s[28:29], s[54:55]
	s_mov_b64 s[56:57], 0
	v_mov_b32_e32 v2, s95
	s_mov_b32 s95, 2
	s_andn2_b64 exec, exec, s[54:55]
	s_cbranch_execz .LBB8_828
.LBB8_303:                              ;   Parent Loop BB8_47 Depth=1
                                        ;     Parent Loop BB8_300 Depth=2
                                        ; =>    This Loop Header: Depth=3
                                        ;         Child Loop BB8_311 Depth 4
                                        ;         Child Loop BB8_339 Depth 4
	;; [unrolled: 1-line block ×5, first 2 shown]
                                        ;           Child Loop BB8_585 Depth 5
                                        ;           Child Loop BB8_622 Depth 5
                                        ;         Child Loop BB8_699 Depth 4
                                        ;         Child Loop BB8_758 Depth 4
                                        ;           Child Loop BB8_759 Depth 5
                                        ;           Child Loop BB8_768 Depth 5
                                        ;         Child Loop BB8_790 Depth 4
                                        ;         Child Loop BB8_813 Depth 4
	s_and_saveexec_b64 s[28:29], s[4:5]
	s_cbranch_execz .LBB8_305
; %bb.304:                              ;   in Loop: Header=BB8_303 Depth=3
	s_trap 2
	ds_read_b64 v[0:1], v0
	v_accvgpr_read_b32 v2, a54
	v_accvgpr_read_b32 v3, a55
	v_lshlrev_b64 v[2:3], 1, v[2:3]
	v_ashrrev_i32_e32 v55, 31, v54
	s_waitcnt lgkmcnt(0)
	v_add_co_u32_e32 v0, vcc, v0, v2
	v_addc_co_u32_e32 v1, vcc, v1, v3, vcc
	v_add_co_u32_e32 v2, vcc, v0, v36
	v_addc_co_u32_e32 v3, vcc, v1, v37, vcc
	v_lshlrev_b64 v[0:1], 1, v[54:55]
	v_add_co_u32_e32 v0, vcc, v2, v0
	v_addc_co_u32_e32 v1, vcc, v3, v1, vcc
	v_mov_b32_e32 v43, v42
	ds_write_b64 v0, v[0:1]
	ds_write_b64 v0, v[42:43]
.LBB8_305:                              ;   in Loop: Header=BB8_303 Depth=3
	s_or_b64 exec, exec, s[28:29]
	v_and_b32_e32 v0, 12, v62
	v_cmp_ne_u32_e32 vcc, 0, v0
	s_mov_b64 s[30:31], -1
	s_and_saveexec_b64 s[28:29], vcc
	s_cbranch_execz .LBB8_317
; %bb.306:                              ;   in Loop: Header=BB8_303 Depth=3
	v_and_b32_e32 v0, 8, v62
	v_add_co_u32_e32 v8, vcc, v60, v0
	v_addc_co_u32_e32 v9, vcc, 0, v61, vcc
	v_add_co_u32_e32 v2, vcc, 2, v44
	v_addc_co_u32_e32 v3, vcc, 0, v45, vcc
	v_cmp_lt_u64_e32 vcc, v[8:9], v[2:3]
	v_mov_b32_e32 v1, 1
	s_and_saveexec_b64 s[30:31], vcc
	s_cbranch_execz .LBB8_316
; %bb.307:                              ;   in Loop: Header=BB8_303 Depth=3
	s_mov_b64 s[34:35], 0
	v_mov_b32_e32 v1, 0
                                        ; implicit-def: $sgpr36_sgpr37
	s_branch .LBB8_311
.LBB8_308:                              ;   in Loop: Header=BB8_311 Depth=4
	s_or_b64 exec, exec, s[64:65]
	v_mov_b32_e32 v5, 0
	s_orn2_b64 s[62:63], s[62:63], exec
.LBB8_309:                              ;   in Loop: Header=BB8_311 Depth=4
	s_or_b64 exec, exec, s[60:61]
	s_andn2_b64 vcc, s[36:37], exec
	s_and_b64 s[36:37], s[62:63], exec
	s_or_b64 s[36:37], vcc, s[36:37]
	v_mov_b32_e32 v1, v5
.LBB8_310:                              ;   in Loop: Header=BB8_311 Depth=4
	s_or_b64 exec, exec, s[58:59]
	s_waitcnt vmcnt(0) lgkmcnt(0)
	v_add_co_u32_e32 v8, vcc, v60, v0
	v_addc_co_u32_e32 v9, vcc, 0, v61, vcc
	v_cmp_ge_u64_e32 vcc, v[8:9], v[2:3]
	s_xor_b64 s[58:59], s[36:37], -1
	s_or_b64 vcc, s[58:59], vcc
	s_and_b64 vcc, exec, vcc
	s_or_b64 s[34:35], vcc, s[34:35]
	s_andn2_b64 exec, exec, s[34:35]
	s_cbranch_execz .LBB8_315
.LBB8_311:                              ;   Parent Loop BB8_47 Depth=1
                                        ;     Parent Loop BB8_300 Depth=2
                                        ;       Parent Loop BB8_303 Depth=3
                                        ; =>      This Inner Loop Header: Depth=4
	s_sleep 1
	flat_load_dwordx2 v[60:61], v[46:47] glc
	v_and_b32_e32 v5, 64, v62
	v_cmp_eq_u32_e32 vcc, 0, v5
	s_andn2_b64 s[36:37], s[36:37], exec
	s_and_saveexec_b64 s[58:59], vcc
	s_cbranch_execz .LBB8_310
; %bb.312:                              ;   in Loop: Header=BB8_311 Depth=4
	v_add_u32_e32 v5, 1, v1
	v_cmp_lt_i32_e32 vcc, s89, v1
	s_mov_b64 s[62:63], -1
	s_and_saveexec_b64 s[60:61], vcc
	s_cbranch_execz .LBB8_309
; %bb.313:                              ;   in Loop: Header=BB8_311 Depth=4
	s_trap 2
	ds_read_b64 v[8:9], v0
	s_waitcnt vmcnt(0) lgkmcnt(0)
	flat_load_dword v1, v[8:9] glc
	s_waitcnt vmcnt(0) lgkmcnt(0)
	buffer_invl2
	buffer_wbinvl1_vol
	v_cmp_ne_u32_e32 vcc, 0, v1
	s_and_saveexec_b64 s[64:65], vcc
	s_cbranch_execz .LBB8_308
; %bb.314:                              ;   in Loop: Header=BB8_311 Depth=4
	v_or_b32_e32 v62, 64, v62
	s_xor_b64 s[62:63], exec, -1
	ds_write_b32 v0, v1
	s_trap 2
	s_branch .LBB8_308
.LBB8_315:                              ;   in Loop: Header=BB8_303 Depth=3
	s_or_b64 exec, exec, s[34:35]
	v_and_b32_e32 v1, 12, v62
.LBB8_316:                              ;   in Loop: Header=BB8_303 Depth=3
	s_or_b64 exec, exec, s[30:31]
	v_cmp_eq_u32_e32 vcc, 0, v1
	s_orn2_b64 s[30:31], vcc, exec
	;;#ASMSTART
	s_wakeup
	;;#ASMEND
.LBB8_317:                              ;   in Loop: Header=BB8_303 Depth=3
	s_or_b64 exec, exec, s[28:29]
	v_sub_u32_e32 v0, v34, v54
	s_xor_b64 s[28:29], s[30:31], -1
	v_min_i32_e32 v52, v52, v0
	s_and_saveexec_b64 s[30:31], s[28:29]
	s_cbranch_execz .LBB8_331
; %bb.318:                              ;   in Loop: Header=BB8_303 Depth=3
	v_and_b32_e32 v0, 0x108, v62
	v_cmp_ne_u32_e32 vcc, s90, v0
	v_and_b32_e32 v0, 7, v44
	s_and_saveexec_b64 s[28:29], vcc
	s_xor_b64 s[28:29], exec, s[28:29]
                                        ; implicit-def: $vgpr2_vgpr3
; %bb.319:                              ;   in Loop: Header=BB8_303 Depth=3
	v_mov_b32_e32 v3, v42
; %bb.320:                              ;   in Loop: Header=BB8_303 Depth=3
	s_andn2_saveexec_b64 s[28:29], s[28:29]
	s_cbranch_execz .LBB8_322
; %bb.321:                              ;   in Loop: Header=BB8_303 Depth=3
	v_accvgpr_read_b32 v8, a10
	v_accvgpr_read_b32 v9, a11
	v_ashrrev_i32_e32 v53, 31, v52
	v_mov_b32_e32 v3, v42
	v_mad_u64_u32 v[8:9], vcc, v0, 24, v[8:9]
	v_lshlrev_b64 v[10:11], 1, v[52:53]
	flat_store_dwordx2 v[8:9], v[10:11] offset:8
.LBB8_322:                              ;   in Loop: Header=BB8_303 Depth=3
	s_or_b64 exec, exec, s[28:29]
	v_and_b32_e32 v1, 0x100, v62
	v_cmp_ne_u32_e32 vcc, 0, v1
	s_mov_b64 s[28:29], -1
                                        ; implicit-def: $vgpr8_vgpr9
	s_and_saveexec_b64 s[34:35], vcc
	s_cbranch_execz .LBB8_326
; %bb.323:                              ;   in Loop: Header=BB8_303 Depth=3
	v_accvgpr_read_b32 v8, a10
	v_accvgpr_read_b32 v9, a11
	v_mad_u64_u32 v[10:11], s[28:29], v0, 24, v[8:9]
	v_mov_b32_e32 v2, v11
	v_mad_u64_u32 v[8:9], s[28:29], v3, 24, v[2:3]
	v_mov_b32_e32 v11, v8
	flat_load_dword v1, v[10:11]
                                        ; implicit-def: $vgpr8_vgpr9
	s_waitcnt vmcnt(0) lgkmcnt(0)
	v_cmp_ne_u32_e32 vcc, 1, v1
	v_cmp_eq_u32_e64 s[28:29], 1, v1
	s_and_saveexec_b64 s[36:37], s[28:29]
	s_cbranch_execz .LBB8_325
; %bb.324:                              ;   in Loop: Header=BB8_303 Depth=3
	flat_load_dword v8, v[10:11] offset:4 glc
	s_waitcnt vmcnt(0) lgkmcnt(0)
	v_ashrrev_i32_e32 v9, 31, v8
	v_lshrrev_b64 v[8:9], 1, v[8:9]
.LBB8_325:                              ;   in Loop: Header=BB8_303 Depth=3
	s_or_b64 exec, exec, s[36:37]
	s_orn2_b64 s[28:29], vcc, exec
.LBB8_326:                              ;   in Loop: Header=BB8_303 Depth=3
	s_or_b64 exec, exec, s[34:35]
	s_and_saveexec_b64 vcc, s[28:29]
; %bb.327:                              ;   in Loop: Header=BB8_303 Depth=3
	v_accvgpr_read_b32 v8, a14
	v_mul_lo_u32 v1, v3, v8
	v_accvgpr_read_b32 v3, a15
	v_mul_lo_u32 v2, v0, v3
	v_mad_u64_u32 v[8:9], s[28:29], v0, v8, 0
	v_add3_u32 v9, v9, v2, v1
; %bb.328:                              ;   in Loop: Header=BB8_303 Depth=3
	s_or_b64 exec, exec, vcc
	v_lshlrev_b64 v[0:1], 1, v[8:9]
	v_accvgpr_read_b32 v2, a16
	v_accvgpr_read_b32 v3, a17
	v_add_co_u32_e32 v0, vcc, v2, v0
	v_addc_co_u32_e32 v1, vcc, v3, v1, vcc
	s_trap 2
	ds_write_b64 v0, v[0:1]
	v_and_b32_e32 v0, 0x2000, v62
	v_cmp_ne_u32_e32 vcc, 0, v0
	s_and_saveexec_b64 s[28:29], vcc
	s_cbranch_execz .LBB8_330
; %bb.329:                              ;   in Loop: Header=BB8_303 Depth=3
	ds_read_b64 v[0:1], v0 offset:584
	s_waitcnt lgkmcnt(0)
	v_add_co_u32_e32 v0, vcc, 1, v0
	v_addc_co_u32_e32 v1, vcc, 0, v1, vcc
	ds_write_b64 v0, v[0:1] offset:584
.LBB8_330:                              ;   in Loop: Header=BB8_303 Depth=3
	s_or_b64 exec, exec, s[28:29]
	v_add_co_u32_e32 v44, vcc, 2, v44
	v_addc_co_u32_e32 v45, vcc, 0, v45, vcc
.LBB8_331:                              ;   in Loop: Header=BB8_303 Depth=3
	s_or_b64 exec, exec, s[30:31]
	s_and_saveexec_b64 s[28:29], s[10:11]
	s_cbranch_execz .LBB8_350
; %bb.332:                              ;   in Loop: Header=BB8_303 Depth=3
	s_and_saveexec_b64 vcc, s[44:45]
	s_xor_b64 s[30:31], exec, vcc
	s_cbranch_execz .LBB8_347
; %bb.333:                              ;   in Loop: Header=BB8_303 Depth=3
	s_and_saveexec_b64 s[34:35], s[16:17]
	s_cbranch_execz .LBB8_346
; %bb.334:                              ;   in Loop: Header=BB8_303 Depth=3
	s_mov_b64 s[58:59], exec
	v_mbcnt_lo_u32_b32 v0, s58, 0
	v_mbcnt_hi_u32_b32 v0, s59, v0
	v_cmp_eq_u32_e32 vcc, 0, v0
	s_waitcnt vmcnt(0) lgkmcnt(0)
	buffer_wbinvl1_vol
	s_and_saveexec_b64 s[36:37], vcc
	s_cbranch_execz .LBB8_336
; %bb.335:                              ;   in Loop: Header=BB8_303 Depth=3
	s_bcnt1_i32_b64 vcc_lo, s[58:59]
	v_mov_b32_e32 v0, vcc_lo
	v_mov_b32_e32 v1, v42
	ds_add_u64 v0, v[0:1]
	s_trap 2
.LBB8_336:                              ;   in Loop: Header=BB8_303 Depth=3
	s_or_b64 exec, exec, s[36:37]
	s_trap 2
	ds_read_b64 v[0:1], v0
	v_accvgpr_read_b32 v2, a12
	v_accvgpr_read_b32 v8, a20
	;; [unrolled: 1-line block ×3, first 2 shown]
	v_add_co_u32_e32 v2, vcc, v2, v8
	v_addc_co_u32_e32 v3, vcc, 0, v3, vcc
	v_accvgpr_write_b32 a13, v3
	v_accvgpr_write_b32 a12, v2
	s_waitcnt lgkmcnt(0)
	v_cmp_lt_u64_e32 vcc, v[0:1], v[2:3]
	s_and_saveexec_b64 s[36:37], vcc
	s_cbranch_execz .LBB8_345
; %bb.337:                              ;   in Loop: Header=BB8_303 Depth=3
	s_mov_b32 s68, 0
	s_mov_b64 s[58:59], 0
                                        ; implicit-def: $sgpr60_sgpr61
                                        ; implicit-def: $sgpr62_sgpr63
	s_branch .LBB8_339
.LBB8_338:                              ;   in Loop: Header=BB8_339 Depth=4
	s_or_b64 exec, exec, s[66:67]
	s_and_b64 vcc, exec, vcc
	s_or_b64 s[58:59], vcc, s[58:59]
	s_andn2_b64 vcc, s[60:61], exec
	s_and_b64 s[60:61], s[62:63], exec
	s_or_b64 s[60:61], vcc, s[60:61]
	s_andn2_b64 exec, exec, s[58:59]
	s_cbranch_execz .LBB8_343
.LBB8_339:                              ;   Parent Loop BB8_47 Depth=1
                                        ;     Parent Loop BB8_300 Depth=2
                                        ;       Parent Loop BB8_303 Depth=3
                                        ; =>      This Inner Loop Header: Depth=4
	s_add_i32 s68, s68, 1
	s_cmpk_lg_i32 s68, 0x2710
	s_cselect_b64 s[64:65], -1, 0
	s_and_b64 vcc, exec, s[64:65]
                                        ; implicit-def: $sgpr66_sgpr67
	s_cbranch_vccnz .LBB8_341
; %bb.340:                              ;   in Loop: Header=BB8_339 Depth=4
	s_trap 2
	ds_read_b64 v[0:1], v0
	s_andn2_b64 s[64:65], s[64:65], exec
	s_mov_b32 s68, 0
	s_mov_b64 s[66:67], -1
	s_waitcnt lgkmcnt(0)
	flat_load_dword v0, v[0:1] glc
	s_waitcnt vmcnt(0) lgkmcnt(0)
	buffer_invl2
	buffer_wbinvl1_vol
	v_cmp_eq_u32_e32 vcc, 0, v0
	s_and_b64 vcc, vcc, exec
	s_or_b64 s[64:65], s[64:65], vcc
.LBB8_341:                              ;   in Loop: Header=BB8_339 Depth=4
	s_andn2_b64 s[62:63], s[62:63], exec
	s_and_b64 s[66:67], s[66:67], exec
	s_mov_b64 vcc, -1
	s_or_b64 s[62:63], s[62:63], s[66:67]
	s_and_saveexec_b64 s[66:67], s[64:65]
	s_cbranch_execz .LBB8_338
; %bb.342:                              ;   in Loop: Header=BB8_339 Depth=4
	s_sleep 1
	s_trap 2
	ds_read_b64 v[0:1], v0
	v_accvgpr_read_b32 v2, a12
	v_accvgpr_read_b32 v3, a13
	s_andn2_b64 s[62:63], s[62:63], exec
	s_waitcnt lgkmcnt(0)
	v_cmp_ge_u64_e32 vcc, v[0:1], v[2:3]
	s_orn2_b64 vcc, vcc, exec
	s_branch .LBB8_338
.LBB8_343:                              ;   in Loop: Header=BB8_303 Depth=3
	s_or_b64 exec, exec, s[58:59]
	s_and_saveexec_b64 vcc, s[60:61]
	s_xor_b64 vcc, exec, vcc
	s_cbranch_execz .LBB8_345
; %bb.344:                              ;   in Loop: Header=BB8_303 Depth=3
	v_mov_b32_e32 v0, 1
	ds_write_b32 v0, v0
	s_trap 2
.LBB8_345:                              ;   in Loop: Header=BB8_303 Depth=3
	s_or_b64 exec, exec, s[36:37]
	;;#ASMSTART
	s_wakeup
	;;#ASMEND
.LBB8_346:                              ;   in Loop: Header=BB8_303 Depth=3
	s_or_b64 exec, exec, s[34:35]
.LBB8_347:                              ;   in Loop: Header=BB8_303 Depth=3
	s_andn2_saveexec_b64 vcc, s[30:31]
	s_cbranch_execz .LBB8_349
; %bb.348:                              ;   in Loop: Header=BB8_303 Depth=3
	s_waitcnt vmcnt(0) lgkmcnt(0)
	buffer_wbinvl1_vol
	s_barrier
.LBB8_349:                              ;   in Loop: Header=BB8_303 Depth=3
	s_or_b64 exec, exec, vcc
.LBB8_350:                              ;   in Loop: Header=BB8_303 Depth=3
	s_or_b64 exec, exec, s[28:29]
	s_trap 2
	ds_read_b32 v2, v0
	v_and_b32_e32 v0, 0x4000, v62
	v_cmp_ne_u32_e32 vcc, 0, v0
	s_xor_b64 s[28:29], s[6:7], -1
	s_and_b64 vcc, s[28:29], vcc
	s_and_saveexec_b64 s[28:29], vcc
	s_cbranch_execz .LBB8_369
; %bb.351:                              ;   in Loop: Header=BB8_303 Depth=3
	s_and_saveexec_b64 vcc, s[44:45]
	s_xor_b64 s[30:31], exec, vcc
	s_cbranch_execz .LBB8_366
; %bb.352:                              ;   in Loop: Header=BB8_303 Depth=3
	s_and_saveexec_b64 s[34:35], s[16:17]
	s_cbranch_execz .LBB8_365
; %bb.353:                              ;   in Loop: Header=BB8_303 Depth=3
	s_mov_b64 s[58:59], exec
	v_mbcnt_lo_u32_b32 v0, s58, 0
	v_mbcnt_hi_u32_b32 v0, s59, v0
	v_cmp_eq_u32_e32 vcc, 0, v0
	s_waitcnt vmcnt(0) lgkmcnt(0)
	buffer_wbinvl1_vol
	s_and_saveexec_b64 s[36:37], vcc
	s_cbranch_execz .LBB8_355
; %bb.354:                              ;   in Loop: Header=BB8_303 Depth=3
	s_bcnt1_i32_b64 vcc_lo, s[58:59]
	v_mov_b32_e32 v0, vcc_lo
	v_mov_b32_e32 v1, v42
	ds_add_u64 v0, v[0:1]
	s_trap 2
.LBB8_355:                              ;   in Loop: Header=BB8_303 Depth=3
	s_or_b64 exec, exec, s[36:37]
	s_trap 2
	ds_read_b64 v[0:1], v0
	v_accvgpr_read_b32 v8, a12
	v_accvgpr_read_b32 v10, a20
	;; [unrolled: 1-line block ×3, first 2 shown]
	v_add_co_u32_e32 v8, vcc, v8, v10
	v_addc_co_u32_e32 v9, vcc, 0, v9, vcc
	v_accvgpr_write_b32 a13, v9
	v_accvgpr_write_b32 a12, v8
	s_waitcnt lgkmcnt(0)
	v_cmp_lt_u64_e32 vcc, v[0:1], v[8:9]
	s_and_saveexec_b64 s[36:37], vcc
	s_cbranch_execz .LBB8_364
; %bb.356:                              ;   in Loop: Header=BB8_303 Depth=3
	s_mov_b32 s68, 0
	s_mov_b64 s[58:59], 0
                                        ; implicit-def: $sgpr60_sgpr61
                                        ; implicit-def: $sgpr62_sgpr63
	s_branch .LBB8_358
.LBB8_357:                              ;   in Loop: Header=BB8_358 Depth=4
	s_or_b64 exec, exec, s[66:67]
	s_and_b64 vcc, exec, vcc
	s_or_b64 s[58:59], vcc, s[58:59]
	s_andn2_b64 vcc, s[60:61], exec
	s_and_b64 s[60:61], s[62:63], exec
	s_or_b64 s[60:61], vcc, s[60:61]
	s_andn2_b64 exec, exec, s[58:59]
	s_cbranch_execz .LBB8_362
.LBB8_358:                              ;   Parent Loop BB8_47 Depth=1
                                        ;     Parent Loop BB8_300 Depth=2
                                        ;       Parent Loop BB8_303 Depth=3
                                        ; =>      This Inner Loop Header: Depth=4
	s_add_i32 s68, s68, 1
	s_cmpk_lg_i32 s68, 0x2710
	s_cselect_b64 s[64:65], -1, 0
	s_and_b64 vcc, exec, s[64:65]
                                        ; implicit-def: $sgpr66_sgpr67
	s_cbranch_vccnz .LBB8_360
; %bb.359:                              ;   in Loop: Header=BB8_358 Depth=4
	s_trap 2
	ds_read_b64 v[0:1], v0
	s_andn2_b64 s[64:65], s[64:65], exec
	s_mov_b32 s68, 0
	s_mov_b64 s[66:67], -1
	s_waitcnt lgkmcnt(0)
	flat_load_dword v0, v[0:1] glc
	s_waitcnt vmcnt(0) lgkmcnt(0)
	buffer_invl2
	buffer_wbinvl1_vol
	v_cmp_eq_u32_e32 vcc, 0, v0
	s_and_b64 vcc, vcc, exec
	s_or_b64 s[64:65], s[64:65], vcc
.LBB8_360:                              ;   in Loop: Header=BB8_358 Depth=4
	s_andn2_b64 s[62:63], s[62:63], exec
	s_and_b64 s[66:67], s[66:67], exec
	s_mov_b64 vcc, -1
	s_or_b64 s[62:63], s[62:63], s[66:67]
	s_and_saveexec_b64 s[66:67], s[64:65]
	s_cbranch_execz .LBB8_357
; %bb.361:                              ;   in Loop: Header=BB8_358 Depth=4
	s_sleep 1
	s_trap 2
	ds_read_b64 v[0:1], v0
	v_accvgpr_read_b32 v8, a12
	v_accvgpr_read_b32 v9, a13
	s_andn2_b64 s[62:63], s[62:63], exec
	s_waitcnt lgkmcnt(0)
	v_cmp_ge_u64_e32 vcc, v[0:1], v[8:9]
	s_orn2_b64 vcc, vcc, exec
	s_branch .LBB8_357
.LBB8_362:                              ;   in Loop: Header=BB8_303 Depth=3
	s_or_b64 exec, exec, s[58:59]
	s_and_saveexec_b64 vcc, s[60:61]
	s_xor_b64 vcc, exec, vcc
	s_cbranch_execz .LBB8_364
; %bb.363:                              ;   in Loop: Header=BB8_303 Depth=3
	v_mov_b32_e32 v0, 1
	ds_write_b32 v0, v0
	s_trap 2
.LBB8_364:                              ;   in Loop: Header=BB8_303 Depth=3
	s_or_b64 exec, exec, s[36:37]
	;;#ASMSTART
	s_wakeup
	;;#ASMEND
.LBB8_365:                              ;   in Loop: Header=BB8_303 Depth=3
	s_or_b64 exec, exec, s[34:35]
.LBB8_366:                              ;   in Loop: Header=BB8_303 Depth=3
	s_andn2_saveexec_b64 vcc, s[30:31]
	s_cbranch_execz .LBB8_368
; %bb.367:                              ;   in Loop: Header=BB8_303 Depth=3
	s_waitcnt vmcnt(0) lgkmcnt(0)
	buffer_wbinvl1_vol
	s_barrier
.LBB8_368:                              ;   in Loop: Header=BB8_303 Depth=3
	s_or_b64 exec, exec, vcc
.LBB8_369:                              ;   in Loop: Header=BB8_303 Depth=3
	s_or_b64 exec, exec, s[28:29]
	s_trap 2
	ds_read_b64 v[0:1], v0
	v_mov_b32_e32 v35, 0
	s_waitcnt lgkmcnt(0)
	v_readfirstlane_b32 s28, v0
	v_readfirstlane_b32 s29, v1
	s_cmp_eq_u64 s[28:29], 0
	s_cselect_b64 s[28:29], -1, 0
	s_or_b64 s[28:29], s[28:29], s[28:29]
	s_and_b64 vcc, exec, s[28:29]
	s_cbranch_vccnz .LBB8_782
; %bb.370:                              ;   in Loop: Header=BB8_303 Depth=3
	s_trap 2
	ds_read_b64 v[0:1], v0
	s_mov_b64 s[30:31], -1
	s_and_saveexec_b64 s[28:29], s[22:23]
	s_cbranch_execz .LBB8_372
; %bb.371:                              ;   in Loop: Header=BB8_303 Depth=3
	s_waitcnt lgkmcnt(0)
	ds_read_b32 v1, v0 offset:720
	s_waitcnt lgkmcnt(0)
	v_and_b32_e32 v1, 15, v1
	v_cmp_eq_u32_e32 vcc, 0, v1
	s_orn2_b64 s[30:31], vcc, exec
.LBB8_372:                              ;   in Loop: Header=BB8_303 Depth=3
	s_or_b64 exec, exec, s[28:29]
	s_and_saveexec_b64 s[28:29], s[20:21]
	s_cbranch_execz .LBB8_374
; %bb.373:                              ;   in Loop: Header=BB8_303 Depth=3
	s_waitcnt lgkmcnt(0)
	ds_read_b32 v1, v0 offset:784
	s_waitcnt lgkmcnt(0)
	v_and_b32_e32 v1, 15, v1
	v_cmp_eq_u32_e32 vcc, 0, v1
	s_and_b64 vcc, s[30:31], vcc
	s_andn2_b64 s[30:31], s[30:31], exec
	s_and_b64 vcc, vcc, exec
	s_or_b64 s[30:31], s[30:31], vcc
.LBB8_374:                              ;   in Loop: Header=BB8_303 Depth=3
	s_or_b64 exec, exec, s[28:29]
	v_cmp_eq_u32_e32 vcc, 0, v2
	v_cndmask_b32_e32 v35, 0, v52, vcc
	s_xor_b64 vcc, s[30:31], -1
	s_waitcnt lgkmcnt(0)
	v_cndmask_b32_e64 v1, 0, 1, vcc
	v_lshlrev_b32_e32 v38, 1, v35
	s_mov_b64 s[28:29], -1
	;;#ASMSTART
	;;#ASMEND
	v_cmp_ne_u32_e32 vcc, 0, v1
	v_and_b32_e32 v26, 1, v0
	s_cbranch_vccz .LBB8_511
; %bb.375:                              ;   in Loop: Header=BB8_303 Depth=3
	v_and_b32_e32 v12, 1, v0
	s_mov_b64 s[58:59], -1
	s_mov_b32 s30, 0
	s_cbranch_execnz .LBB8_512
.LBB8_376:                              ;   in Loop: Header=BB8_303 Depth=3
	v_ashrrev_i32_e32 v0, 31, v38
	v_lshrrev_b32_e32 v0, 21, v0
	s_trap 2
	ds_read_b64 v[24:25], v0
	v_add_u32_e32 v0, v38, v0
	v_ashrrev_i32_e32 v27, 11, v0
	v_accvgpr_read_b32 v0, a36
	v_sub_u32_e32 v43, v27, v0
	v_accvgpr_read_b32 v0, a40
	s_waitcnt lgkmcnt(0)
	v_add_co_u32_e32 v30, vcc, v24, v0
	v_accvgpr_read_b32 v1, a41
	v_addc_co_u32_e32 v31, vcc, v25, v1, vcc
	v_cmp_lt_i32_e32 vcc, 0, v43
	s_mov_b64 s[28:29], 0
                                        ; implicit-def: $vgpr20_vgpr21
                                        ; implicit-def: $vgpr12_vgpr13
                                        ; implicit-def: $vgpr16_vgpr17
                                        ; implicit-def: $vgpr8_vgpr9
	s_and_saveexec_b64 s[30:31], vcc
	s_cbranch_execz .LBB8_514
; %bb.377:                              ;   in Loop: Header=BB8_303 Depth=3
	s_trap 2
	ds_read_b128 v[0:3], v0
	v_accvgpr_read_b32 v8, a40
	v_accvgpr_read_b32 v5, a41
	v_accvgpr_write_b32 a6, v24
	v_accvgpr_write_b32 a59, v37
	s_waitcnt lgkmcnt(0)
	v_add_co_u32_e32 v56, vcc, v0, v8
	v_addc_co_u32_e32 v57, vcc, v1, v5, vcc
	v_add_co_u32_e32 v2, vcc, v2, v8
	v_accvgpr_write_b32 a8, v27
	v_accvgpr_write_b32 a7, v25
	;; [unrolled: 1-line block ×6, first 2 shown]
	v_addc_co_u32_e32 v3, vcc, v3, v5, vcc
	v_accvgpr_write_b32 a61, v26
	v_cmp_eq_u16_e64 s[28:29], 0, v26
	s_mov_b64 s[60:61], 0
	s_mov_b64 s[34:35], 0
                                        ; implicit-def: $sgpr36_sgpr37
                                        ; implicit-def: $vgpr20_vgpr21
                                        ; implicit-def: $vgpr12_vgpr13
                                        ; implicit-def: $vgpr16_vgpr17
                                        ; implicit-def: $vgpr8_vgpr9
	s_branch .LBB8_379
.LBB8_378:                              ;   in Loop: Header=BB8_379 Depth=4
	s_or_b64 exec, exec, s[62:63]
	v_lshrrev_b32_e32 v0, 16, v0
	v_lshrrev_b32_e32 v28, 16, v36
	v_and_or_b32 v36, v1, s93, v0
	v_lshrrev_b32_e32 v0, 16, v48
	v_and_or_b32 v38, v38, s93, v0
	;; [unrolled: 2-line block ×6, first 2 shown]
	v_and_or_b32 v26, v26, s93, v0
	v_lshrrev_b32_e32 v0, 16, v34
	v_and_or_b32 v27, v27, s93, v0
	global_store_dwordx4 v[30:31], v[36:39], off glc slc
	global_store_dwordx4 v[30:31], v[24:27], off offset:1024 glc slc
	s_nop 0
	v_accvgpr_read_b32 v24, a24
	v_accvgpr_read_b32 v25, a25
	v_add_co_u32_e32 v0, vcc, v56, v24
	v_addc_co_u32_e32 v1, vcc, v57, v25, vcc
	v_add_co_u32_e32 v5, vcc, v2, v24
	v_mov_b32_e32 v26, 0x800
	v_addc_co_u32_e32 v24, vcc, v3, v25, vcc
	v_cndmask_b32_e64 v26, v26, v7, s[60:61]
	v_cndmask_b32_e64 v56, v56, v0, s[60:61]
	v_accvgpr_read_b32 v0, a20
	v_cndmask_b32_e64 v25, 0, v4, s[60:61]
	v_add_co_u32_e32 v30, vcc, v30, v26
	v_cndmask_b32_e64 v0, 0, v0, s[60:61]
	v_addc_co_u32_e32 v31, vcc, v31, v25, vcc
	v_sub_u32_e32 v43, v43, v0
	v_cmp_gt_i32_e32 vcc, 1, v43
	s_or_b64 s[34:35], vcc, s[34:35]
	s_andn2_b64 vcc, s[36:37], exec
	s_and_b64 s[36:37], s[60:61], exec
	v_cndmask_b32_e64 v57, v57, v1, s[60:61]
	v_cndmask_b32_e64 v3, v3, v24, s[60:61]
	;; [unrolled: 1-line block ×3, first 2 shown]
	s_or_b64 s[36:37], vcc, s[36:37]
	s_andn2_b64 exec, exec, s[34:35]
	s_cbranch_execz .LBB8_513
.LBB8_379:                              ;   Parent Loop BB8_47 Depth=1
                                        ;     Parent Loop BB8_300 Depth=2
                                        ;       Parent Loop BB8_303 Depth=3
                                        ; =>      This Inner Loop Header: Depth=4
	global_load_dwordx4 v[36:39], v[56:57], off glc slc
	global_load_dwordx4 v[24:27], v[56:57], off offset:1024 glc slc
	global_load_dwordx4 v[48:51], v[2:3], off glc slc
	global_load_dwordx4 v[32:35], v[2:3], off offset:1024 glc slc
	s_and_saveexec_b64 s[62:63], s[60:61]
	s_cbranch_execz .LBB8_445
; %bb.380:                              ;   in Loop: Header=BB8_379 Depth=4
	v_lshlrev_b32_e32 v0, 16, v20
	v_lshlrev_b32_e32 v1, 16, v16
	v_max_f32_e32 v1, v1, v1
	v_max_f32_e32 v0, v0, v0
	v_min_f32_e32 v5, v0, v1
	v_max_f32_e32 v0, v0, v1
	v_cndmask_b32_e64 v1, v0, v5, s[28:29]
	v_and_b32_e32 v0, 0x7f800000, v1
	v_cmp_ne_u32_e32 vcc, s91, v0
                                        ; implicit-def: $vgpr0
	s_and_saveexec_b64 s[60:61], vcc
	s_xor_b64 vcc, exec, s[60:61]
; %bb.381:                              ;   in Loop: Header=BB8_379 Depth=4
	v_bfe_u32 v0, v1, 16, 1
	v_add3_u32 v0, v1, v0, s92
                                        ; implicit-def: $vgpr1
; %bb.382:                              ;   in Loop: Header=BB8_379 Depth=4
	s_andn2_saveexec_b64 s[60:61], vcc
; %bb.383:                              ;   in Loop: Header=BB8_379 Depth=4
	v_or_b32_e32 v0, 0x10000, v1
	v_cmp_eq_u32_sdwa vcc, v1, v42 src0_sel:WORD_0 src1_sel:DWORD
	v_cndmask_b32_e32 v0, v0, v1, vcc
; %bb.384:                              ;   in Loop: Header=BB8_379 Depth=4
	s_or_b64 exec, exec, s[60:61]
	v_and_b32_e32 v1, 0xffff0000, v20
	v_and_b32_e32 v5, 0xffff0000, v16
	v_max_f32_e32 v5, v5, v5
	v_max_f32_e32 v1, v1, v1
	v_min_f32_e32 v20, v1, v5
	v_max_f32_e32 v1, v1, v5
	v_cndmask_b32_e64 v5, v1, v20, s[28:29]
	v_and_b32_e32 v1, 0x7f800000, v5
	v_cmp_ne_u32_e32 vcc, s91, v1
                                        ; implicit-def: $vgpr1
	s_and_saveexec_b64 s[60:61], vcc
	s_xor_b64 vcc, exec, s[60:61]
; %bb.385:                              ;   in Loop: Header=BB8_379 Depth=4
	v_bfe_u32 v1, v5, 16, 1
	v_add3_u32 v1, v5, v1, s92
                                        ; implicit-def: $vgpr5
; %bb.386:                              ;   in Loop: Header=BB8_379 Depth=4
	s_andn2_saveexec_b64 s[60:61], vcc
; %bb.387:                              ;   in Loop: Header=BB8_379 Depth=4
	v_or_b32_e32 v1, 0x10000, v5
	v_cmp_eq_u32_sdwa vcc, v5, v42 src0_sel:WORD_0 src1_sel:DWORD
	v_cndmask_b32_e32 v1, v1, v5, vcc
; %bb.388:                              ;   in Loop: Header=BB8_379 Depth=4
	s_or_b64 exec, exec, s[60:61]
	v_lshlrev_b32_e32 v5, 16, v21
	v_lshlrev_b32_e32 v20, 16, v17
	v_max_f32_e32 v20, v20, v20
	v_max_f32_e32 v5, v5, v5
	v_min_f32_e32 v28, v5, v20
	v_max_f32_e32 v5, v5, v20
	v_cndmask_b32_e64 v5, v5, v28, s[28:29]
	v_and_b32_e32 v20, 0x7f800000, v5
	v_cmp_ne_u32_e32 vcc, s91, v20
                                        ; implicit-def: $vgpr20
	s_and_saveexec_b64 s[60:61], vcc
	s_xor_b64 vcc, exec, s[60:61]
; %bb.389:                              ;   in Loop: Header=BB8_379 Depth=4
	v_bfe_u32 v20, v5, 16, 1
	v_add3_u32 v20, v5, v20, s92
                                        ; implicit-def: $vgpr5
; %bb.390:                              ;   in Loop: Header=BB8_379 Depth=4
	s_andn2_saveexec_b64 s[60:61], vcc
; %bb.391:                              ;   in Loop: Header=BB8_379 Depth=4
	v_or_b32_e32 v20, 0x10000, v5
	v_cmp_eq_u32_sdwa vcc, v5, v42 src0_sel:WORD_0 src1_sel:DWORD
	v_cndmask_b32_e32 v20, v20, v5, vcc
; %bb.392:                              ;   in Loop: Header=BB8_379 Depth=4
	s_or_b64 exec, exec, s[60:61]
	v_and_b32_e32 v5, 0xffff0000, v21
	v_and_b32_e32 v21, 0xffff0000, v17
	v_max_f32_e32 v21, v21, v21
	v_max_f32_e32 v5, v5, v5
	v_min_f32_e32 v28, v5, v21
	v_max_f32_e32 v5, v5, v21
	v_cndmask_b32_e64 v5, v5, v28, s[28:29]
	v_and_b32_e32 v21, 0x7f800000, v5
	v_cmp_ne_u32_e32 vcc, s91, v21
                                        ; implicit-def: $vgpr21
	s_and_saveexec_b64 s[60:61], vcc
	s_xor_b64 vcc, exec, s[60:61]
; %bb.393:                              ;   in Loop: Header=BB8_379 Depth=4
	v_bfe_u32 v21, v5, 16, 1
	v_add3_u32 v21, v5, v21, s92
                                        ; implicit-def: $vgpr5
; %bb.394:                              ;   in Loop: Header=BB8_379 Depth=4
	s_andn2_saveexec_b64 s[60:61], vcc
; %bb.395:                              ;   in Loop: Header=BB8_379 Depth=4
	v_or_b32_e32 v21, 0x10000, v5
	v_cmp_eq_u32_sdwa vcc, v5, v42 src0_sel:WORD_0 src1_sel:DWORD
	v_cndmask_b32_e32 v21, v21, v5, vcc
; %bb.396:                              ;   in Loop: Header=BB8_379 Depth=4
	s_or_b64 exec, exec, s[60:61]
	v_lshlrev_b32_e32 v5, 16, v22
	v_lshlrev_b32_e32 v28, 16, v18
	v_max_f32_e32 v28, v28, v28
	v_max_f32_e32 v5, v5, v5
	v_min_f32_e32 v29, v5, v28
	v_max_f32_e32 v5, v5, v28
	v_cndmask_b32_e64 v5, v5, v29, s[28:29]
	v_and_b32_e32 v28, 0x7f800000, v5
	v_cmp_ne_u32_e32 vcc, s91, v28
                                        ; implicit-def: $vgpr53
	s_and_saveexec_b64 s[60:61], vcc
	s_xor_b64 vcc, exec, s[60:61]
; %bb.397:                              ;   in Loop: Header=BB8_379 Depth=4
	v_bfe_u32 v28, v5, 16, 1
	v_add3_u32 v53, v5, v28, s92
                                        ; implicit-def: $vgpr5
; %bb.398:                              ;   in Loop: Header=BB8_379 Depth=4
	s_andn2_saveexec_b64 s[60:61], vcc
; %bb.399:                              ;   in Loop: Header=BB8_379 Depth=4
	v_or_b32_e32 v28, 0x10000, v5
	v_cmp_eq_u32_sdwa vcc, v5, v42 src0_sel:WORD_0 src1_sel:DWORD
	v_cndmask_b32_e32 v53, v28, v5, vcc
; %bb.400:                              ;   in Loop: Header=BB8_379 Depth=4
	s_or_b64 exec, exec, s[60:61]
	v_and_b32_e32 v5, 0xffff0000, v22
	v_and_b32_e32 v22, 0xffff0000, v18
	v_max_f32_e32 v22, v22, v22
	v_max_f32_e32 v5, v5, v5
	v_min_f32_e32 v28, v5, v22
	v_max_f32_e32 v5, v5, v22
	v_cndmask_b32_e64 v5, v5, v28, s[28:29]
	v_and_b32_e32 v22, 0x7f800000, v5
	v_cmp_ne_u32_e32 vcc, s91, v22
                                        ; implicit-def: $vgpr22
	s_and_saveexec_b64 s[60:61], vcc
	s_xor_b64 vcc, exec, s[60:61]
; %bb.401:                              ;   in Loop: Header=BB8_379 Depth=4
	v_bfe_u32 v22, v5, 16, 1
	v_add3_u32 v22, v5, v22, s92
                                        ; implicit-def: $vgpr5
; %bb.402:                              ;   in Loop: Header=BB8_379 Depth=4
	s_andn2_saveexec_b64 s[60:61], vcc
; %bb.403:                              ;   in Loop: Header=BB8_379 Depth=4
	v_or_b32_e32 v22, 0x10000, v5
	v_cmp_eq_u32_sdwa vcc, v5, v42 src0_sel:WORD_0 src1_sel:DWORD
	v_cndmask_b32_e32 v22, v22, v5, vcc
; %bb.404:                              ;   in Loop: Header=BB8_379 Depth=4
	s_or_b64 exec, exec, s[60:61]
	v_lshlrev_b32_e32 v5, 16, v23
	v_lshlrev_b32_e32 v28, 16, v19
	v_max_f32_e32 v28, v28, v28
	v_max_f32_e32 v5, v5, v5
	v_min_f32_e32 v29, v5, v28
	v_max_f32_e32 v5, v5, v28
	v_cndmask_b32_e64 v29, v5, v29, s[28:29]
	v_and_b32_e32 v5, 0x7f800000, v29
	v_cmp_ne_u32_e32 vcc, s91, v5
                                        ; implicit-def: $vgpr5
	s_and_saveexec_b64 s[60:61], vcc
	s_xor_b64 vcc, exec, s[60:61]
; %bb.405:                              ;   in Loop: Header=BB8_379 Depth=4
	v_bfe_u32 v5, v29, 16, 1
	v_add3_u32 v5, v29, v5, s92
                                        ; implicit-def: $vgpr29
; %bb.406:                              ;   in Loop: Header=BB8_379 Depth=4
	s_andn2_saveexec_b64 s[60:61], vcc
; %bb.407:                              ;   in Loop: Header=BB8_379 Depth=4
	v_or_b32_e32 v5, 0x10000, v29
	v_cmp_eq_u32_sdwa vcc, v29, v42 src0_sel:WORD_0 src1_sel:DWORD
	v_cndmask_b32_e32 v5, v5, v29, vcc
; %bb.408:                              ;   in Loop: Header=BB8_379 Depth=4
	s_or_b64 exec, exec, s[60:61]
	v_and_b32_e32 v23, 0xffff0000, v23
	v_and_b32_e32 v28, 0xffff0000, v19
	v_max_f32_e32 v28, v28, v28
	v_max_f32_e32 v23, v23, v23
	v_min_f32_e32 v29, v23, v28
	v_max_f32_e32 v23, v23, v28
	v_cndmask_b32_e64 v29, v23, v29, s[28:29]
	v_and_b32_e32 v23, 0x7f800000, v29
	v_cmp_ne_u32_e32 vcc, s91, v23
                                        ; implicit-def: $vgpr23
	s_and_saveexec_b64 s[60:61], vcc
	s_xor_b64 vcc, exec, s[60:61]
; %bb.409:                              ;   in Loop: Header=BB8_379 Depth=4
	v_bfe_u32 v23, v29, 16, 1
	v_add3_u32 v23, v29, v23, s92
                                        ; implicit-def: $vgpr29
; %bb.410:                              ;   in Loop: Header=BB8_379 Depth=4
	s_andn2_saveexec_b64 s[60:61], vcc
; %bb.411:                              ;   in Loop: Header=BB8_379 Depth=4
	v_or_b32_e32 v23, 0x10000, v29
	v_cmp_eq_u32_sdwa vcc, v29, v42 src0_sel:WORD_0 src1_sel:DWORD
	v_cndmask_b32_e32 v23, v23, v29, vcc
; %bb.412:                              ;   in Loop: Header=BB8_379 Depth=4
	s_or_b64 exec, exec, s[60:61]
	v_lshlrev_b32_e32 v28, 16, v12
	v_lshlrev_b32_e32 v29, 16, v8
	v_max_f32_e32 v29, v29, v29
	v_max_f32_e32 v28, v28, v28
	v_min_f32_e32 v55, v28, v29
	v_max_f32_e32 v28, v28, v29
	v_cndmask_b32_e64 v55, v28, v55, s[28:29]
	v_and_b32_e32 v28, 0x7f800000, v55
	v_cmp_ne_u32_e32 vcc, s91, v28
                                        ; implicit-def: $vgpr29
	s_and_saveexec_b64 s[60:61], vcc
	s_xor_b64 vcc, exec, s[60:61]
; %bb.413:                              ;   in Loop: Header=BB8_379 Depth=4
	v_bfe_u32 v28, v55, 16, 1
	v_add3_u32 v29, v55, v28, s92
                                        ; implicit-def: $vgpr55
; %bb.414:                              ;   in Loop: Header=BB8_379 Depth=4
	s_andn2_saveexec_b64 s[60:61], vcc
; %bb.415:                              ;   in Loop: Header=BB8_379 Depth=4
	v_or_b32_e32 v28, 0x10000, v55
	v_cmp_eq_u32_sdwa vcc, v55, v42 src0_sel:WORD_0 src1_sel:DWORD
	v_cndmask_b32_e32 v29, v28, v55, vcc
; %bb.416:                              ;   in Loop: Header=BB8_379 Depth=4
	s_or_b64 exec, exec, s[60:61]
	v_and_b32_e32 v12, 0xffff0000, v12
	v_and_b32_e32 v28, 0xffff0000, v8
	v_max_f32_e32 v28, v28, v28
	v_max_f32_e32 v12, v12, v12
	v_min_f32_e32 v55, v12, v28
	v_max_f32_e32 v12, v12, v28
	v_cndmask_b32_e64 v55, v12, v55, s[28:29]
	v_and_b32_e32 v12, 0x7f800000, v55
	v_cmp_ne_u32_e32 vcc, s91, v12
                                        ; implicit-def: $vgpr12
	s_and_saveexec_b64 s[60:61], vcc
	s_xor_b64 vcc, exec, s[60:61]
; %bb.417:                              ;   in Loop: Header=BB8_379 Depth=4
	v_bfe_u32 v12, v55, 16, 1
	v_add3_u32 v12, v55, v12, s92
                                        ; implicit-def: $vgpr55
; %bb.418:                              ;   in Loop: Header=BB8_379 Depth=4
	s_andn2_saveexec_b64 s[60:61], vcc
; %bb.419:                              ;   in Loop: Header=BB8_379 Depth=4
	v_or_b32_e32 v12, 0x10000, v55
	v_cmp_eq_u32_sdwa vcc, v55, v42 src0_sel:WORD_0 src1_sel:DWORD
	v_cndmask_b32_e32 v12, v12, v55, vcc
; %bb.420:                              ;   in Loop: Header=BB8_379 Depth=4
	s_or_b64 exec, exec, s[60:61]
	v_lshlrev_b32_e32 v28, 16, v13
	v_lshlrev_b32_e32 v55, 16, v9
	v_max_f32_e32 v55, v55, v55
	v_max_f32_e32 v28, v28, v28
	v_min_f32_e32 v58, v28, v55
	v_max_f32_e32 v28, v28, v55
	v_cndmask_b32_e64 v58, v28, v58, s[28:29]
	v_and_b32_e32 v28, 0x7f800000, v58
	v_cmp_ne_u32_e32 vcc, s91, v28
                                        ; implicit-def: $vgpr55
	s_and_saveexec_b64 s[60:61], vcc
	s_xor_b64 vcc, exec, s[60:61]
; %bb.421:                              ;   in Loop: Header=BB8_379 Depth=4
	v_bfe_u32 v28, v58, 16, 1
	v_add3_u32 v55, v58, v28, s92
                                        ; implicit-def: $vgpr58
; %bb.422:                              ;   in Loop: Header=BB8_379 Depth=4
	s_andn2_saveexec_b64 s[60:61], vcc
; %bb.423:                              ;   in Loop: Header=BB8_379 Depth=4
	v_or_b32_e32 v28, 0x10000, v58
	v_cmp_eq_u32_sdwa vcc, v58, v42 src0_sel:WORD_0 src1_sel:DWORD
	v_cndmask_b32_e32 v55, v28, v58, vcc
; %bb.424:                              ;   in Loop: Header=BB8_379 Depth=4
	s_or_b64 exec, exec, s[60:61]
	v_and_b32_e32 v13, 0xffff0000, v13
	v_and_b32_e32 v28, 0xffff0000, v9
	v_max_f32_e32 v28, v28, v28
	v_max_f32_e32 v13, v13, v13
	v_min_f32_e32 v58, v13, v28
	v_max_f32_e32 v13, v13, v28
	v_cndmask_b32_e64 v58, v13, v58, s[28:29]
	v_and_b32_e32 v13, 0x7f800000, v58
	v_cmp_ne_u32_e32 vcc, s91, v13
                                        ; implicit-def: $vgpr13
	s_and_saveexec_b64 s[60:61], vcc
	s_xor_b64 vcc, exec, s[60:61]
; %bb.425:                              ;   in Loop: Header=BB8_379 Depth=4
	v_bfe_u32 v13, v58, 16, 1
	v_add3_u32 v13, v58, v13, s92
                                        ; implicit-def: $vgpr58
; %bb.426:                              ;   in Loop: Header=BB8_379 Depth=4
	s_andn2_saveexec_b64 s[60:61], vcc
; %bb.427:                              ;   in Loop: Header=BB8_379 Depth=4
	v_or_b32_e32 v13, 0x10000, v58
	v_cmp_eq_u32_sdwa vcc, v58, v42 src0_sel:WORD_0 src1_sel:DWORD
	v_cndmask_b32_e32 v13, v13, v58, vcc
; %bb.428:                              ;   in Loop: Header=BB8_379 Depth=4
	s_or_b64 exec, exec, s[60:61]
	v_lshlrev_b32_e32 v28, 16, v14
	v_lshlrev_b32_e32 v58, 16, v10
	v_max_f32_e32 v58, v58, v58
	v_max_f32_e32 v28, v28, v28
	v_min_f32_e32 v59, v28, v58
	v_max_f32_e32 v28, v28, v58
	v_cndmask_b32_e64 v59, v28, v59, s[28:29]
	v_and_b32_e32 v28, 0x7f800000, v59
	v_cmp_ne_u32_e32 vcc, s91, v28
                                        ; implicit-def: $vgpr58
	s_and_saveexec_b64 s[60:61], vcc
	s_xor_b64 vcc, exec, s[60:61]
; %bb.429:                              ;   in Loop: Header=BB8_379 Depth=4
	v_bfe_u32 v28, v59, 16, 1
	v_add3_u32 v58, v59, v28, s92
                                        ; implicit-def: $vgpr59
; %bb.430:                              ;   in Loop: Header=BB8_379 Depth=4
	s_andn2_saveexec_b64 s[60:61], vcc
; %bb.431:                              ;   in Loop: Header=BB8_379 Depth=4
	v_or_b32_e32 v28, 0x10000, v59
	v_cmp_eq_u32_sdwa vcc, v59, v42 src0_sel:WORD_0 src1_sel:DWORD
	v_cndmask_b32_e32 v58, v28, v59, vcc
; %bb.432:                              ;   in Loop: Header=BB8_379 Depth=4
	s_or_b64 exec, exec, s[60:61]
	v_and_b32_e32 v14, 0xffff0000, v14
	v_and_b32_e32 v28, 0xffff0000, v10
	v_max_f32_e32 v28, v28, v28
	v_max_f32_e32 v14, v14, v14
	v_min_f32_e32 v59, v14, v28
	v_max_f32_e32 v14, v14, v28
	v_cndmask_b32_e64 v59, v14, v59, s[28:29]
	v_and_b32_e32 v14, 0x7f800000, v59
	v_cmp_ne_u32_e32 vcc, s91, v14
                                        ; implicit-def: $vgpr14
	s_and_saveexec_b64 s[60:61], vcc
	s_xor_b64 vcc, exec, s[60:61]
; %bb.433:                              ;   in Loop: Header=BB8_379 Depth=4
	v_bfe_u32 v14, v59, 16, 1
	v_add3_u32 v14, v59, v14, s92
                                        ; implicit-def: $vgpr59
; %bb.434:                              ;   in Loop: Header=BB8_379 Depth=4
	s_andn2_saveexec_b64 s[60:61], vcc
; %bb.435:                              ;   in Loop: Header=BB8_379 Depth=4
	v_or_b32_e32 v14, 0x10000, v59
	v_cmp_eq_u32_sdwa vcc, v59, v42 src0_sel:WORD_0 src1_sel:DWORD
	v_cndmask_b32_e32 v14, v14, v59, vcc
; %bb.436:                              ;   in Loop: Header=BB8_379 Depth=4
	s_or_b64 exec, exec, s[60:61]
	v_lshlrev_b32_e32 v28, 16, v15
	v_lshlrev_b32_e32 v59, 16, v11
	v_max_f32_e32 v59, v59, v59
	v_max_f32_e32 v28, v28, v28
	v_min_f32_e32 v40, v28, v59
	v_max_f32_e32 v28, v28, v59
	v_cndmask_b32_e64 v28, v28, v40, s[28:29]
	v_and_b32_e32 v40, 0x7f800000, v28
	v_cmp_ne_u32_e32 vcc, s91, v40
                                        ; implicit-def: $vgpr59
	s_and_saveexec_b64 s[60:61], vcc
	s_xor_b64 vcc, exec, s[60:61]
; %bb.437:                              ;   in Loop: Header=BB8_379 Depth=4
	v_bfe_u32 v40, v28, 16, 1
	v_add3_u32 v59, v28, v40, s92
                                        ; implicit-def: $vgpr28
; %bb.438:                              ;   in Loop: Header=BB8_379 Depth=4
	s_andn2_saveexec_b64 s[60:61], vcc
; %bb.439:                              ;   in Loop: Header=BB8_379 Depth=4
	v_or_b32_e32 v40, 0x10000, v28
	v_cmp_eq_u32_sdwa vcc, v28, v42 src0_sel:WORD_0 src1_sel:DWORD
	v_cndmask_b32_e32 v59, v40, v28, vcc
; %bb.440:                              ;   in Loop: Header=BB8_379 Depth=4
	s_or_b64 exec, exec, s[60:61]
	v_and_b32_e32 v15, 0xffff0000, v15
	v_and_b32_e32 v28, 0xffff0000, v11
	v_max_f32_e32 v28, v28, v28
	v_max_f32_e32 v15, v15, v15
	v_min_f32_e32 v40, v15, v28
	v_max_f32_e32 v15, v15, v28
	v_cndmask_b32_e64 v28, v15, v40, s[28:29]
	v_and_b32_e32 v15, 0x7f800000, v28
	v_cmp_ne_u32_e32 vcc, s91, v15
                                        ; implicit-def: $vgpr15
	s_and_saveexec_b64 s[60:61], vcc
	s_xor_b64 vcc, exec, s[60:61]
; %bb.441:                              ;   in Loop: Header=BB8_379 Depth=4
	v_bfe_u32 v15, v28, 16, 1
	v_add3_u32 v15, v28, v15, s92
                                        ; implicit-def: $vgpr28
; %bb.442:                              ;   in Loop: Header=BB8_379 Depth=4
	s_andn2_saveexec_b64 s[60:61], vcc
; %bb.443:                              ;   in Loop: Header=BB8_379 Depth=4
	v_or_b32_e32 v15, 0x10000, v28
	v_cmp_eq_u32_sdwa vcc, v28, v42 src0_sel:WORD_0 src1_sel:DWORD
	v_cndmask_b32_e32 v15, v15, v28, vcc
; %bb.444:                              ;   in Loop: Header=BB8_379 Depth=4
	s_or_b64 exec, exec, s[60:61]
	v_lshrrev_b32_e32 v20, 16, v20
	v_lshrrev_b32_e32 v0, 16, v0
	v_and_or_b32 v21, v21, s93, v20
	v_and_or_b32 v20, v1, s93, v0
	v_lshrrev_b32_e32 v0, 16, v53
	v_and_or_b32 v22, v22, s93, v0
	v_lshrrev_b32_e32 v0, 16, v5
	;; [unrolled: 2-line block ×6, first 2 shown]
	v_and_or_b32 v15, v15, s93, v0
	global_store_dwordx4 v[30:31], v[20:23], off glc slc
	global_store_dwordx4 v[30:31], v[12:15], off offset:1024 glc slc
	v_add_co_u32_e32 v30, vcc, v30, v7
	v_addc_co_u32_e32 v31, vcc, v31, v4, vcc
.LBB8_445:                              ;   in Loop: Header=BB8_379 Depth=4
	s_or_b64 exec, exec, s[62:63]
	v_add_co_u32_e32 v56, vcc, v56, v7
	v_addc_co_u32_e32 v57, vcc, v57, v4, vcc
	v_accvgpr_read_b32 v0, a20
	v_add_co_u32_e32 v2, vcc, v2, v7
	v_sub_u32_e32 v43, v43, v0
	v_addc_co_u32_e32 v3, vcc, v3, v4, vcc
	v_cmp_lt_i32_e64 s[60:61], 0, v43
	s_and_saveexec_b64 s[62:63], s[60:61]
	s_cbranch_execz .LBB8_447
; %bb.446:                              ;   in Loop: Header=BB8_379 Depth=4
	global_load_dwordx4 v[20:23], v[56:57], off glc slc
	global_load_dwordx4 v[12:15], v[56:57], off offset:1024 glc slc
	global_load_dwordx4 v[16:19], v[2:3], off glc slc
	global_load_dwordx4 v[8:11], v[2:3], off offset:1024 glc slc
	v_add_co_u32_e32 v56, vcc, s78, v56
	v_addc_co_u32_e32 v57, vcc, 0, v57, vcc
	v_add_co_u32_e32 v2, vcc, 0x800, v2
	v_addc_co_u32_e32 v3, vcc, 0, v3, vcc
.LBB8_447:                              ;   in Loop: Header=BB8_379 Depth=4
	s_or_b64 exec, exec, s[62:63]
	s_waitcnt vmcnt(0)
	v_lshlrev_b32_e32 v0, 16, v36
	v_lshlrev_b32_e32 v1, 16, v48
	v_max_f32_e32 v1, v1, v1
	v_max_f32_e32 v0, v0, v0
	v_min_f32_e32 v5, v0, v1
	v_max_f32_e32 v0, v0, v1
	v_cndmask_b32_e64 v1, v0, v5, s[28:29]
	v_and_b32_e32 v0, 0x7f800000, v1
	v_cmp_ne_u32_e32 vcc, s91, v0
                                        ; implicit-def: $vgpr0
	s_and_saveexec_b64 s[62:63], vcc
	s_xor_b64 vcc, exec, s[62:63]
; %bb.448:                              ;   in Loop: Header=BB8_379 Depth=4
	v_bfe_u32 v0, v1, 16, 1
	v_add3_u32 v0, v1, v0, s92
                                        ; implicit-def: $vgpr1
; %bb.449:                              ;   in Loop: Header=BB8_379 Depth=4
	s_andn2_saveexec_b64 s[62:63], vcc
; %bb.450:                              ;   in Loop: Header=BB8_379 Depth=4
	v_or_b32_e32 v0, 0x10000, v1
	v_cmp_eq_u32_sdwa vcc, v1, v42 src0_sel:WORD_0 src1_sel:DWORD
	v_cndmask_b32_e32 v0, v0, v1, vcc
; %bb.451:                              ;   in Loop: Header=BB8_379 Depth=4
	s_or_b64 exec, exec, s[62:63]
	v_and_b32_e32 v1, 0xffff0000, v36
	v_and_b32_e32 v5, 0xffff0000, v48
	v_max_f32_e32 v5, v5, v5
	v_max_f32_e32 v1, v1, v1
	v_min_f32_e32 v28, v1, v5
	v_max_f32_e32 v1, v1, v5
	v_cndmask_b32_e64 v5, v1, v28, s[28:29]
	v_and_b32_e32 v1, 0x7f800000, v5
	v_cmp_ne_u32_e32 vcc, s91, v1
                                        ; implicit-def: $vgpr1
	s_and_saveexec_b64 s[62:63], vcc
	s_xor_b64 vcc, exec, s[62:63]
; %bb.452:                              ;   in Loop: Header=BB8_379 Depth=4
	v_bfe_u32 v1, v5, 16, 1
	v_add3_u32 v1, v5, v1, s92
                                        ; implicit-def: $vgpr5
; %bb.453:                              ;   in Loop: Header=BB8_379 Depth=4
	s_andn2_saveexec_b64 s[62:63], vcc
; %bb.454:                              ;   in Loop: Header=BB8_379 Depth=4
	v_or_b32_e32 v1, 0x10000, v5
	v_cmp_eq_u32_sdwa vcc, v5, v42 src0_sel:WORD_0 src1_sel:DWORD
	v_cndmask_b32_e32 v1, v1, v5, vcc
; %bb.455:                              ;   in Loop: Header=BB8_379 Depth=4
	s_or_b64 exec, exec, s[62:63]
	v_lshlrev_b32_e32 v5, 16, v37
	v_lshlrev_b32_e32 v28, 16, v49
	v_max_f32_e32 v28, v28, v28
	v_max_f32_e32 v5, v5, v5
	v_min_f32_e32 v29, v5, v28
	v_max_f32_e32 v5, v5, v28
	v_cndmask_b32_e64 v5, v5, v29, s[28:29]
	v_and_b32_e32 v28, 0x7f800000, v5
	v_cmp_ne_u32_e32 vcc, s91, v28
                                        ; implicit-def: $vgpr36
	s_and_saveexec_b64 s[62:63], vcc
	s_xor_b64 vcc, exec, s[62:63]
; %bb.456:                              ;   in Loop: Header=BB8_379 Depth=4
	v_bfe_u32 v28, v5, 16, 1
	v_add3_u32 v36, v5, v28, s92
                                        ; implicit-def: $vgpr5
; %bb.457:                              ;   in Loop: Header=BB8_379 Depth=4
	s_andn2_saveexec_b64 s[62:63], vcc
; %bb.458:                              ;   in Loop: Header=BB8_379 Depth=4
	v_or_b32_e32 v28, 0x10000, v5
	v_cmp_eq_u32_sdwa vcc, v5, v42 src0_sel:WORD_0 src1_sel:DWORD
	v_cndmask_b32_e32 v36, v28, v5, vcc
; %bb.459:                              ;   in Loop: Header=BB8_379 Depth=4
	s_or_b64 exec, exec, s[62:63]
	v_and_b32_e32 v5, 0xffff0000, v37
	v_and_b32_e32 v28, 0xffff0000, v49
	v_max_f32_e32 v28, v28, v28
	v_max_f32_e32 v5, v5, v5
	v_min_f32_e32 v29, v5, v28
	v_max_f32_e32 v5, v5, v28
	v_cndmask_b32_e64 v5, v5, v29, s[28:29]
	v_and_b32_e32 v28, 0x7f800000, v5
	v_cmp_ne_u32_e32 vcc, s91, v28
                                        ; implicit-def: $vgpr37
	s_and_saveexec_b64 s[62:63], vcc
	s_xor_b64 vcc, exec, s[62:63]
; %bb.460:                              ;   in Loop: Header=BB8_379 Depth=4
	v_bfe_u32 v28, v5, 16, 1
	v_add3_u32 v37, v5, v28, s92
                                        ; implicit-def: $vgpr5
; %bb.461:                              ;   in Loop: Header=BB8_379 Depth=4
	s_andn2_saveexec_b64 s[62:63], vcc
; %bb.462:                              ;   in Loop: Header=BB8_379 Depth=4
	v_or_b32_e32 v28, 0x10000, v5
	v_cmp_eq_u32_sdwa vcc, v5, v42 src0_sel:WORD_0 src1_sel:DWORD
	v_cndmask_b32_e32 v37, v28, v5, vcc
; %bb.463:                              ;   in Loop: Header=BB8_379 Depth=4
	s_or_b64 exec, exec, s[62:63]
	v_lshlrev_b32_e32 v5, 16, v38
	v_lshlrev_b32_e32 v28, 16, v50
	v_max_f32_e32 v28, v28, v28
	v_max_f32_e32 v5, v5, v5
	v_min_f32_e32 v29, v5, v28
	v_max_f32_e32 v5, v5, v28
	v_cndmask_b32_e64 v5, v5, v29, s[28:29]
	v_and_b32_e32 v28, 0x7f800000, v5
	v_cmp_ne_u32_e32 vcc, s91, v28
                                        ; implicit-def: $vgpr48
	s_and_saveexec_b64 s[62:63], vcc
	s_xor_b64 vcc, exec, s[62:63]
; %bb.464:                              ;   in Loop: Header=BB8_379 Depth=4
	v_bfe_u32 v28, v5, 16, 1
	v_add3_u32 v48, v5, v28, s92
                                        ; implicit-def: $vgpr5
; %bb.465:                              ;   in Loop: Header=BB8_379 Depth=4
	s_andn2_saveexec_b64 s[62:63], vcc
; %bb.466:                              ;   in Loop: Header=BB8_379 Depth=4
	v_or_b32_e32 v28, 0x10000, v5
	v_cmp_eq_u32_sdwa vcc, v5, v42 src0_sel:WORD_0 src1_sel:DWORD
	v_cndmask_b32_e32 v48, v28, v5, vcc
; %bb.467:                              ;   in Loop: Header=BB8_379 Depth=4
	s_or_b64 exec, exec, s[62:63]
	v_and_b32_e32 v5, 0xffff0000, v38
	v_and_b32_e32 v28, 0xffff0000, v50
	v_max_f32_e32 v28, v28, v28
	v_max_f32_e32 v5, v5, v5
	v_min_f32_e32 v29, v5, v28
	v_max_f32_e32 v5, v5, v28
	v_cndmask_b32_e64 v5, v5, v29, s[28:29]
	v_and_b32_e32 v28, 0x7f800000, v5
	v_cmp_ne_u32_e32 vcc, s91, v28
                                        ; implicit-def: $vgpr38
	s_and_saveexec_b64 s[62:63], vcc
	s_xor_b64 vcc, exec, s[62:63]
; %bb.468:                              ;   in Loop: Header=BB8_379 Depth=4
	v_bfe_u32 v28, v5, 16, 1
	v_add3_u32 v38, v5, v28, s92
                                        ; implicit-def: $vgpr5
; %bb.469:                              ;   in Loop: Header=BB8_379 Depth=4
	s_andn2_saveexec_b64 s[62:63], vcc
; %bb.470:                              ;   in Loop: Header=BB8_379 Depth=4
	v_or_b32_e32 v28, 0x10000, v5
	v_cmp_eq_u32_sdwa vcc, v5, v42 src0_sel:WORD_0 src1_sel:DWORD
	v_cndmask_b32_e32 v38, v28, v5, vcc
; %bb.471:                              ;   in Loop: Header=BB8_379 Depth=4
	s_or_b64 exec, exec, s[62:63]
	v_lshlrev_b32_e32 v5, 16, v39
	v_lshlrev_b32_e32 v28, 16, v51
	v_max_f32_e32 v28, v28, v28
	v_max_f32_e32 v5, v5, v5
	v_min_f32_e32 v29, v5, v28
	v_max_f32_e32 v5, v5, v28
	v_cndmask_b32_e64 v28, v5, v29, s[28:29]
	v_and_b32_e32 v5, 0x7f800000, v28
	v_cmp_ne_u32_e32 vcc, s91, v5
                                        ; implicit-def: $vgpr5
	s_and_saveexec_b64 s[62:63], vcc
	s_xor_b64 vcc, exec, s[62:63]
; %bb.472:                              ;   in Loop: Header=BB8_379 Depth=4
	v_bfe_u32 v5, v28, 16, 1
	v_add3_u32 v5, v28, v5, s92
                                        ; implicit-def: $vgpr28
; %bb.473:                              ;   in Loop: Header=BB8_379 Depth=4
	s_andn2_saveexec_b64 s[62:63], vcc
; %bb.474:                              ;   in Loop: Header=BB8_379 Depth=4
	v_or_b32_e32 v5, 0x10000, v28
	v_cmp_eq_u32_sdwa vcc, v28, v42 src0_sel:WORD_0 src1_sel:DWORD
	v_cndmask_b32_e32 v5, v5, v28, vcc
; %bb.475:                              ;   in Loop: Header=BB8_379 Depth=4
	s_or_b64 exec, exec, s[62:63]
	v_and_b32_e32 v28, 0xffff0000, v39
	v_and_b32_e32 v29, 0xffff0000, v51
	v_max_f32_e32 v29, v29, v29
	v_max_f32_e32 v28, v28, v28
	v_min_f32_e32 v39, v28, v29
	v_max_f32_e32 v28, v28, v29
	v_cndmask_b32_e64 v28, v28, v39, s[28:29]
	v_and_b32_e32 v29, 0x7f800000, v28
	v_cmp_ne_u32_e32 vcc, s91, v29
                                        ; implicit-def: $vgpr39
	s_and_saveexec_b64 s[62:63], vcc
	s_xor_b64 vcc, exec, s[62:63]
; %bb.476:                              ;   in Loop: Header=BB8_379 Depth=4
	v_bfe_u32 v29, v28, 16, 1
	v_add3_u32 v39, v28, v29, s92
                                        ; implicit-def: $vgpr28
; %bb.477:                              ;   in Loop: Header=BB8_379 Depth=4
	s_andn2_saveexec_b64 s[62:63], vcc
; %bb.478:                              ;   in Loop: Header=BB8_379 Depth=4
	v_or_b32_e32 v29, 0x10000, v28
	v_cmp_eq_u32_sdwa vcc, v28, v42 src0_sel:WORD_0 src1_sel:DWORD
	v_cndmask_b32_e32 v39, v29, v28, vcc
; %bb.479:                              ;   in Loop: Header=BB8_379 Depth=4
	s_or_b64 exec, exec, s[62:63]
	v_lshlrev_b32_e32 v28, 16, v24
	v_lshlrev_b32_e32 v29, 16, v32
	v_max_f32_e32 v29, v29, v29
	v_max_f32_e32 v28, v28, v28
	v_min_f32_e32 v49, v28, v29
	v_max_f32_e32 v28, v28, v29
	v_cndmask_b32_e64 v28, v28, v49, s[28:29]
	v_and_b32_e32 v29, 0x7f800000, v28
	v_cmp_ne_u32_e32 vcc, s91, v29
                                        ; implicit-def: $vgpr29
	s_and_saveexec_b64 s[62:63], vcc
	s_xor_b64 vcc, exec, s[62:63]
; %bb.480:                              ;   in Loop: Header=BB8_379 Depth=4
	v_bfe_u32 v29, v28, 16, 1
	v_add3_u32 v29, v28, v29, s92
                                        ; implicit-def: $vgpr28
; %bb.481:                              ;   in Loop: Header=BB8_379 Depth=4
	s_andn2_saveexec_b64 s[62:63], vcc
; %bb.482:                              ;   in Loop: Header=BB8_379 Depth=4
	v_or_b32_e32 v29, 0x10000, v28
	v_cmp_eq_u32_sdwa vcc, v28, v42 src0_sel:WORD_0 src1_sel:DWORD
	v_cndmask_b32_e32 v29, v29, v28, vcc
; %bb.483:                              ;   in Loop: Header=BB8_379 Depth=4
	s_or_b64 exec, exec, s[62:63]
	v_and_b32_e32 v24, 0xffff0000, v24
	v_and_b32_e32 v28, 0xffff0000, v32
	v_max_f32_e32 v28, v28, v28
	v_max_f32_e32 v24, v24, v24
	v_min_f32_e32 v32, v24, v28
	v_max_f32_e32 v24, v24, v28
	v_cndmask_b32_e64 v28, v24, v32, s[28:29]
	v_and_b32_e32 v24, 0x7f800000, v28
	v_cmp_ne_u32_e32 vcc, s91, v24
                                        ; implicit-def: $vgpr24
	s_and_saveexec_b64 s[62:63], vcc
	s_xor_b64 vcc, exec, s[62:63]
; %bb.484:                              ;   in Loop: Header=BB8_379 Depth=4
	v_bfe_u32 v24, v28, 16, 1
	v_add3_u32 v24, v28, v24, s92
                                        ; implicit-def: $vgpr28
; %bb.485:                              ;   in Loop: Header=BB8_379 Depth=4
	s_andn2_saveexec_b64 s[62:63], vcc
; %bb.486:                              ;   in Loop: Header=BB8_379 Depth=4
	v_or_b32_e32 v24, 0x10000, v28
	v_cmp_eq_u32_sdwa vcc, v28, v42 src0_sel:WORD_0 src1_sel:DWORD
	v_cndmask_b32_e32 v24, v24, v28, vcc
; %bb.487:                              ;   in Loop: Header=BB8_379 Depth=4
	s_or_b64 exec, exec, s[62:63]
	v_lshlrev_b32_e32 v28, 16, v25
	v_lshlrev_b32_e32 v32, 16, v33
	v_max_f32_e32 v32, v32, v32
	v_max_f32_e32 v28, v28, v28
	v_min_f32_e32 v49, v28, v32
	v_max_f32_e32 v28, v28, v32
	v_cndmask_b32_e64 v28, v28, v49, s[28:29]
	v_and_b32_e32 v32, 0x7f800000, v28
	v_cmp_ne_u32_e32 vcc, s91, v32
                                        ; implicit-def: $vgpr32
	s_and_saveexec_b64 s[62:63], vcc
	s_xor_b64 vcc, exec, s[62:63]
; %bb.488:                              ;   in Loop: Header=BB8_379 Depth=4
	v_bfe_u32 v32, v28, 16, 1
	v_add3_u32 v32, v28, v32, s92
                                        ; implicit-def: $vgpr28
; %bb.489:                              ;   in Loop: Header=BB8_379 Depth=4
	s_andn2_saveexec_b64 s[62:63], vcc
; %bb.490:                              ;   in Loop: Header=BB8_379 Depth=4
	v_or_b32_e32 v32, 0x10000, v28
	v_cmp_eq_u32_sdwa vcc, v28, v42 src0_sel:WORD_0 src1_sel:DWORD
	v_cndmask_b32_e32 v32, v32, v28, vcc
; %bb.491:                              ;   in Loop: Header=BB8_379 Depth=4
	s_or_b64 exec, exec, s[62:63]
	v_and_b32_e32 v25, 0xffff0000, v25
	v_and_b32_e32 v28, 0xffff0000, v33
	v_max_f32_e32 v28, v28, v28
	v_max_f32_e32 v25, v25, v25
	v_min_f32_e32 v33, v25, v28
	v_max_f32_e32 v25, v25, v28
	v_cndmask_b32_e64 v28, v25, v33, s[28:29]
	v_and_b32_e32 v25, 0x7f800000, v28
	v_cmp_ne_u32_e32 vcc, s91, v25
                                        ; implicit-def: $vgpr25
	s_and_saveexec_b64 s[62:63], vcc
	s_xor_b64 vcc, exec, s[62:63]
; %bb.492:                              ;   in Loop: Header=BB8_379 Depth=4
	v_bfe_u32 v25, v28, 16, 1
	v_add3_u32 v25, v28, v25, s92
                                        ; implicit-def: $vgpr28
; %bb.493:                              ;   in Loop: Header=BB8_379 Depth=4
	s_andn2_saveexec_b64 s[62:63], vcc
; %bb.494:                              ;   in Loop: Header=BB8_379 Depth=4
	v_or_b32_e32 v25, 0x10000, v28
	v_cmp_eq_u32_sdwa vcc, v28, v42 src0_sel:WORD_0 src1_sel:DWORD
	v_cndmask_b32_e32 v25, v25, v28, vcc
; %bb.495:                              ;   in Loop: Header=BB8_379 Depth=4
	s_or_b64 exec, exec, s[62:63]
	v_lshlrev_b32_e32 v28, 16, v26
	v_lshlrev_b32_e32 v33, 16, v34
	v_max_f32_e32 v33, v33, v33
	v_max_f32_e32 v28, v28, v28
	v_min_f32_e32 v49, v28, v33
	v_max_f32_e32 v28, v28, v33
	v_cndmask_b32_e64 v28, v28, v49, s[28:29]
	v_and_b32_e32 v33, 0x7f800000, v28
	v_cmp_ne_u32_e32 vcc, s91, v33
                                        ; implicit-def: $vgpr33
	s_and_saveexec_b64 s[62:63], vcc
	s_xor_b64 vcc, exec, s[62:63]
; %bb.496:                              ;   in Loop: Header=BB8_379 Depth=4
	v_bfe_u32 v33, v28, 16, 1
	v_add3_u32 v33, v28, v33, s92
                                        ; implicit-def: $vgpr28
; %bb.497:                              ;   in Loop: Header=BB8_379 Depth=4
	s_andn2_saveexec_b64 s[62:63], vcc
; %bb.498:                              ;   in Loop: Header=BB8_379 Depth=4
	v_or_b32_e32 v33, 0x10000, v28
	v_cmp_eq_u32_sdwa vcc, v28, v42 src0_sel:WORD_0 src1_sel:DWORD
	v_cndmask_b32_e32 v33, v33, v28, vcc
; %bb.499:                              ;   in Loop: Header=BB8_379 Depth=4
	s_or_b64 exec, exec, s[62:63]
	v_and_b32_e32 v26, 0xffff0000, v26
	v_and_b32_e32 v28, 0xffff0000, v34
	v_max_f32_e32 v28, v28, v28
	v_max_f32_e32 v26, v26, v26
	v_min_f32_e32 v34, v26, v28
	v_max_f32_e32 v26, v26, v28
	v_cndmask_b32_e64 v28, v26, v34, s[28:29]
	v_and_b32_e32 v26, 0x7f800000, v28
	v_cmp_ne_u32_e32 vcc, s91, v26
                                        ; implicit-def: $vgpr26
	s_and_saveexec_b64 s[62:63], vcc
	s_xor_b64 vcc, exec, s[62:63]
; %bb.500:                              ;   in Loop: Header=BB8_379 Depth=4
	v_bfe_u32 v26, v28, 16, 1
	v_add3_u32 v26, v28, v26, s92
                                        ; implicit-def: $vgpr28
; %bb.501:                              ;   in Loop: Header=BB8_379 Depth=4
	s_andn2_saveexec_b64 s[62:63], vcc
; %bb.502:                              ;   in Loop: Header=BB8_379 Depth=4
	v_or_b32_e32 v26, 0x10000, v28
	v_cmp_eq_u32_sdwa vcc, v28, v42 src0_sel:WORD_0 src1_sel:DWORD
	v_cndmask_b32_e32 v26, v26, v28, vcc
; %bb.503:                              ;   in Loop: Header=BB8_379 Depth=4
	s_or_b64 exec, exec, s[62:63]
	v_lshlrev_b32_e32 v28, 16, v27
	v_lshlrev_b32_e32 v34, 16, v35
	v_max_f32_e32 v34, v34, v34
	v_max_f32_e32 v28, v28, v28
	v_min_f32_e32 v49, v28, v34
	v_max_f32_e32 v28, v28, v34
	v_cndmask_b32_e64 v28, v28, v49, s[28:29]
	v_and_b32_e32 v34, 0x7f800000, v28
	v_cmp_ne_u32_e32 vcc, s91, v34
                                        ; implicit-def: $vgpr34
	s_and_saveexec_b64 s[62:63], vcc
	s_xor_b64 vcc, exec, s[62:63]
; %bb.504:                              ;   in Loop: Header=BB8_379 Depth=4
	v_bfe_u32 v34, v28, 16, 1
	v_add3_u32 v34, v28, v34, s92
                                        ; implicit-def: $vgpr28
; %bb.505:                              ;   in Loop: Header=BB8_379 Depth=4
	s_andn2_saveexec_b64 s[62:63], vcc
; %bb.506:                              ;   in Loop: Header=BB8_379 Depth=4
	v_or_b32_e32 v34, 0x10000, v28
	v_cmp_eq_u32_sdwa vcc, v28, v42 src0_sel:WORD_0 src1_sel:DWORD
	v_cndmask_b32_e32 v34, v34, v28, vcc
; %bb.507:                              ;   in Loop: Header=BB8_379 Depth=4
	s_or_b64 exec, exec, s[62:63]
	v_and_b32_e32 v27, 0xffff0000, v27
	v_and_b32_e32 v28, 0xffff0000, v35
	v_max_f32_e32 v28, v28, v28
	v_max_f32_e32 v27, v27, v27
	v_min_f32_e32 v35, v27, v28
	v_max_f32_e32 v27, v27, v28
	v_cndmask_b32_e64 v28, v27, v35, s[28:29]
	v_and_b32_e32 v27, 0x7f800000, v28
	v_cmp_ne_u32_e32 vcc, s91, v27
                                        ; implicit-def: $vgpr27
	s_and_saveexec_b64 s[62:63], vcc
	s_xor_b64 vcc, exec, s[62:63]
; %bb.508:                              ;   in Loop: Header=BB8_379 Depth=4
	v_bfe_u32 v27, v28, 16, 1
	v_add3_u32 v27, v28, v27, s92
                                        ; implicit-def: $vgpr28
; %bb.509:                              ;   in Loop: Header=BB8_379 Depth=4
	s_andn2_saveexec_b64 s[62:63], vcc
	s_cbranch_execz .LBB8_378
; %bb.510:                              ;   in Loop: Header=BB8_379 Depth=4
	v_or_b32_e32 v27, 0x10000, v28
	v_cmp_eq_u32_sdwa vcc, v28, v42 src0_sel:WORD_0 src1_sel:DWORD
	v_cndmask_b32_e32 v27, v27, v28, vcc
	s_branch .LBB8_378
.LBB8_511:                              ;   in Loop: Header=BB8_303 Depth=3
	s_mov_b64 s[58:59], 0
                                        ; implicit-def: $sgpr30
                                        ; implicit-def: $vgpr12
	s_andn2_b64 vcc, exec, s[28:29]
	s_cbranch_vccz .LBB8_376
.LBB8_512:                              ;   in Loop: Header=BB8_303 Depth=3
	v_mov_b32_e32 v16, s30
	v_accvgpr_read_b32 v17, a37
	v_accvgpr_read_b32 v0, a36
	s_and_saveexec_b64 s[36:37], s[58:59]
	s_cbranch_execnz .LBB8_696
	s_branch .LBB8_781
.LBB8_513:                              ;   in Loop: Header=BB8_303 Depth=3
	s_or_b64 exec, exec, s[34:35]
	v_accvgpr_read_b32 v36, a58
	v_accvgpr_read_b32 v25, a7
	s_and_b64 s[28:29], s[36:37], exec
	v_accvgpr_read_b32 v34, a56
	v_accvgpr_read_b32 v37, a59
	;; [unrolled: 1-line block ×7, first 2 shown]
.LBB8_514:                              ;   in Loop: Header=BB8_303 Depth=3
	s_or_b64 exec, exec, s[30:31]
	s_and_saveexec_b64 s[30:31], s[28:29]
	s_cbranch_execz .LBB8_580
; %bb.515:                              ;   in Loop: Header=BB8_303 Depth=3
	v_lshlrev_b32_e32 v0, 16, v20
	v_lshlrev_b32_e32 v1, 16, v16
	v_max_f32_e32 v1, v1, v1
	v_max_f32_e32 v0, v0, v0
	v_min_f32_e32 v2, v0, v1
	v_max_f32_e32 v0, v0, v1
	v_cmp_eq_u16_e32 vcc, 0, v26
	v_cndmask_b32_e32 v1, v0, v2, vcc
	v_and_b32_e32 v0, 0x7f800000, v1
	v_cmp_ne_u32_e64 s[28:29], s91, v0
                                        ; implicit-def: $vgpr0
	s_and_saveexec_b64 s[34:35], s[28:29]
	s_xor_b64 s[28:29], exec, s[34:35]
; %bb.516:                              ;   in Loop: Header=BB8_303 Depth=3
	v_bfe_u32 v0, v1, 16, 1
	v_add3_u32 v0, v1, v0, s92
                                        ; implicit-def: $vgpr1
; %bb.517:                              ;   in Loop: Header=BB8_303 Depth=3
	s_andn2_saveexec_b64 s[34:35], s[28:29]
; %bb.518:                              ;   in Loop: Header=BB8_303 Depth=3
	v_or_b32_e32 v0, 0x10000, v1
	v_cmp_eq_u32_sdwa s[28:29], v1, v42 src0_sel:WORD_0 src1_sel:DWORD
	v_cndmask_b32_e64 v0, v0, v1, s[28:29]
; %bb.519:                              ;   in Loop: Header=BB8_303 Depth=3
	s_or_b64 exec, exec, s[34:35]
	v_and_b32_e32 v1, 0xffff0000, v20
	v_and_b32_e32 v2, 0xffff0000, v16
	v_max_f32_e32 v2, v2, v2
	v_max_f32_e32 v1, v1, v1
	v_min_f32_e32 v3, v1, v2
	v_max_f32_e32 v1, v1, v2
	v_cndmask_b32_e32 v2, v1, v3, vcc
	v_and_b32_e32 v1, 0x7f800000, v2
	v_cmp_ne_u32_e64 s[28:29], s91, v1
                                        ; implicit-def: $vgpr1
	s_and_saveexec_b64 s[34:35], s[28:29]
	s_xor_b64 s[28:29], exec, s[34:35]
; %bb.520:                              ;   in Loop: Header=BB8_303 Depth=3
	v_bfe_u32 v1, v2, 16, 1
	v_add3_u32 v1, v2, v1, s92
                                        ; implicit-def: $vgpr2
; %bb.521:                              ;   in Loop: Header=BB8_303 Depth=3
	s_andn2_saveexec_b64 s[34:35], s[28:29]
; %bb.522:                              ;   in Loop: Header=BB8_303 Depth=3
	v_or_b32_e32 v1, 0x10000, v2
	v_cmp_eq_u32_sdwa s[28:29], v2, v42 src0_sel:WORD_0 src1_sel:DWORD
	v_cndmask_b32_e64 v1, v1, v2, s[28:29]
; %bb.523:                              ;   in Loop: Header=BB8_303 Depth=3
	s_or_b64 exec, exec, s[34:35]
	v_lshlrev_b32_e32 v2, 16, v21
	v_lshlrev_b32_e32 v3, 16, v17
	v_max_f32_e32 v3, v3, v3
	v_max_f32_e32 v2, v2, v2
	v_min_f32_e32 v5, v2, v3
	v_max_f32_e32 v2, v2, v3
	v_cndmask_b32_e32 v3, v2, v5, vcc
	v_and_b32_e32 v2, 0x7f800000, v3
	v_cmp_ne_u32_e64 s[28:29], s91, v2
                                        ; implicit-def: $vgpr2
	s_and_saveexec_b64 s[34:35], s[28:29]
	s_xor_b64 s[28:29], exec, s[34:35]
; %bb.524:                              ;   in Loop: Header=BB8_303 Depth=3
	v_bfe_u32 v2, v3, 16, 1
	v_add3_u32 v2, v3, v2, s92
                                        ; implicit-def: $vgpr3
; %bb.525:                              ;   in Loop: Header=BB8_303 Depth=3
	s_andn2_saveexec_b64 s[34:35], s[28:29]
; %bb.526:                              ;   in Loop: Header=BB8_303 Depth=3
	v_or_b32_e32 v2, 0x10000, v3
	v_cmp_eq_u32_sdwa s[28:29], v3, v42 src0_sel:WORD_0 src1_sel:DWORD
	v_cndmask_b32_e64 v2, v2, v3, s[28:29]
; %bb.527:                              ;   in Loop: Header=BB8_303 Depth=3
	s_or_b64 exec, exec, s[34:35]
	v_and_b32_e32 v3, 0xffff0000, v21
	v_and_b32_e32 v5, 0xffff0000, v17
	v_max_f32_e32 v5, v5, v5
	v_max_f32_e32 v3, v3, v3
	v_min_f32_e32 v16, v3, v5
	v_max_f32_e32 v3, v3, v5
	v_cndmask_b32_e32 v5, v3, v16, vcc
	v_and_b32_e32 v3, 0x7f800000, v5
	v_cmp_ne_u32_e64 s[28:29], s91, v3
                                        ; implicit-def: $vgpr3
	s_and_saveexec_b64 s[34:35], s[28:29]
	s_xor_b64 s[28:29], exec, s[34:35]
; %bb.528:                              ;   in Loop: Header=BB8_303 Depth=3
	v_bfe_u32 v3, v5, 16, 1
	v_add3_u32 v3, v5, v3, s92
                                        ; implicit-def: $vgpr5
; %bb.529:                              ;   in Loop: Header=BB8_303 Depth=3
	s_andn2_saveexec_b64 s[34:35], s[28:29]
; %bb.530:                              ;   in Loop: Header=BB8_303 Depth=3
	v_or_b32_e32 v3, 0x10000, v5
	v_cmp_eq_u32_sdwa s[28:29], v5, v42 src0_sel:WORD_0 src1_sel:DWORD
	v_cndmask_b32_e64 v3, v3, v5, s[28:29]
; %bb.531:                              ;   in Loop: Header=BB8_303 Depth=3
	s_or_b64 exec, exec, s[34:35]
	v_lshlrev_b32_e32 v5, 16, v22
	v_lshlrev_b32_e32 v16, 16, v18
	v_max_f32_e32 v16, v16, v16
	v_max_f32_e32 v5, v5, v5
	v_min_f32_e32 v17, v5, v16
	v_max_f32_e32 v5, v5, v16
	v_cndmask_b32_e32 v5, v5, v17, vcc
	v_and_b32_e32 v16, 0x7f800000, v5
	v_cmp_ne_u32_e64 s[28:29], s91, v16
                                        ; implicit-def: $vgpr16
	s_and_saveexec_b64 s[34:35], s[28:29]
	s_xor_b64 s[28:29], exec, s[34:35]
; %bb.532:                              ;   in Loop: Header=BB8_303 Depth=3
	v_bfe_u32 v16, v5, 16, 1
	v_add3_u32 v16, v5, v16, s92
                                        ; implicit-def: $vgpr5
; %bb.533:                              ;   in Loop: Header=BB8_303 Depth=3
	s_andn2_saveexec_b64 s[34:35], s[28:29]
; %bb.534:                              ;   in Loop: Header=BB8_303 Depth=3
	v_or_b32_e32 v16, 0x10000, v5
	v_cmp_eq_u32_sdwa s[28:29], v5, v42 src0_sel:WORD_0 src1_sel:DWORD
	v_cndmask_b32_e64 v16, v16, v5, s[28:29]
; %bb.535:                              ;   in Loop: Header=BB8_303 Depth=3
	s_or_b64 exec, exec, s[34:35]
	v_and_b32_e32 v5, 0xffff0000, v22
	v_and_b32_e32 v17, 0xffff0000, v18
	v_max_f32_e32 v17, v17, v17
	v_max_f32_e32 v5, v5, v5
	v_min_f32_e32 v18, v5, v17
	v_max_f32_e32 v5, v5, v17
	v_cndmask_b32_e32 v5, v5, v18, vcc
	v_and_b32_e32 v17, 0x7f800000, v5
	v_cmp_ne_u32_e64 s[28:29], s91, v17
                                        ; implicit-def: $vgpr17
	s_and_saveexec_b64 s[34:35], s[28:29]
	s_xor_b64 s[28:29], exec, s[34:35]
; %bb.536:                              ;   in Loop: Header=BB8_303 Depth=3
	v_bfe_u32 v17, v5, 16, 1
	v_add3_u32 v17, v5, v17, s92
                                        ; implicit-def: $vgpr5
; %bb.537:                              ;   in Loop: Header=BB8_303 Depth=3
	s_andn2_saveexec_b64 s[34:35], s[28:29]
; %bb.538:                              ;   in Loop: Header=BB8_303 Depth=3
	v_or_b32_e32 v17, 0x10000, v5
	v_cmp_eq_u32_sdwa s[28:29], v5, v42 src0_sel:WORD_0 src1_sel:DWORD
	v_cndmask_b32_e64 v17, v17, v5, s[28:29]
; %bb.539:                              ;   in Loop: Header=BB8_303 Depth=3
	s_or_b64 exec, exec, s[34:35]
	v_lshlrev_b32_e32 v5, 16, v23
	v_lshlrev_b32_e32 v18, 16, v19
	v_max_f32_e32 v18, v18, v18
	v_max_f32_e32 v5, v5, v5
	v_min_f32_e32 v20, v5, v18
	v_max_f32_e32 v5, v5, v18
	v_cndmask_b32_e32 v18, v5, v20, vcc
	v_and_b32_e32 v5, 0x7f800000, v18
	v_cmp_ne_u32_e64 s[28:29], s91, v5
                                        ; implicit-def: $vgpr5
	s_and_saveexec_b64 s[34:35], s[28:29]
	s_xor_b64 s[28:29], exec, s[34:35]
; %bb.540:                              ;   in Loop: Header=BB8_303 Depth=3
	v_bfe_u32 v5, v18, 16, 1
	v_add3_u32 v5, v18, v5, s92
                                        ; implicit-def: $vgpr18
; %bb.541:                              ;   in Loop: Header=BB8_303 Depth=3
	s_andn2_saveexec_b64 s[34:35], s[28:29]
; %bb.542:                              ;   in Loop: Header=BB8_303 Depth=3
	v_or_b32_e32 v5, 0x10000, v18
	v_cmp_eq_u32_sdwa s[28:29], v18, v42 src0_sel:WORD_0 src1_sel:DWORD
	v_cndmask_b32_e64 v5, v5, v18, s[28:29]
; %bb.543:                              ;   in Loop: Header=BB8_303 Depth=3
	s_or_b64 exec, exec, s[34:35]
	v_and_b32_e32 v18, 0xffff0000, v23
	v_and_b32_e32 v19, 0xffff0000, v19
	v_max_f32_e32 v19, v19, v19
	v_max_f32_e32 v18, v18, v18
	v_min_f32_e32 v20, v18, v19
	v_max_f32_e32 v18, v18, v19
	v_cndmask_b32_e32 v19, v18, v20, vcc
	v_and_b32_e32 v18, 0x7f800000, v19
	v_cmp_ne_u32_e64 s[28:29], s91, v18
                                        ; implicit-def: $vgpr18
	s_and_saveexec_b64 s[34:35], s[28:29]
	s_xor_b64 s[28:29], exec, s[34:35]
; %bb.544:                              ;   in Loop: Header=BB8_303 Depth=3
	v_bfe_u32 v18, v19, 16, 1
	v_add3_u32 v18, v19, v18, s92
                                        ; implicit-def: $vgpr19
; %bb.545:                              ;   in Loop: Header=BB8_303 Depth=3
	s_andn2_saveexec_b64 s[34:35], s[28:29]
; %bb.546:                              ;   in Loop: Header=BB8_303 Depth=3
	v_or_b32_e32 v18, 0x10000, v19
	v_cmp_eq_u32_sdwa s[28:29], v19, v42 src0_sel:WORD_0 src1_sel:DWORD
	v_cndmask_b32_e64 v18, v18, v19, s[28:29]
; %bb.547:                              ;   in Loop: Header=BB8_303 Depth=3
	s_or_b64 exec, exec, s[34:35]
	v_lshlrev_b32_e32 v19, 16, v12
	v_lshlrev_b32_e32 v20, 16, v8
	v_max_f32_e32 v20, v20, v20
	v_max_f32_e32 v19, v19, v19
	v_min_f32_e32 v21, v19, v20
	v_max_f32_e32 v19, v19, v20
	v_cndmask_b32_e32 v20, v19, v21, vcc
	v_and_b32_e32 v19, 0x7f800000, v20
	v_cmp_ne_u32_e64 s[28:29], s91, v19
                                        ; implicit-def: $vgpr19
	s_and_saveexec_b64 s[34:35], s[28:29]
	s_xor_b64 s[28:29], exec, s[34:35]
; %bb.548:                              ;   in Loop: Header=BB8_303 Depth=3
	v_bfe_u32 v19, v20, 16, 1
	v_add3_u32 v19, v20, v19, s92
                                        ; implicit-def: $vgpr20
; %bb.549:                              ;   in Loop: Header=BB8_303 Depth=3
	s_andn2_saveexec_b64 s[34:35], s[28:29]
; %bb.550:                              ;   in Loop: Header=BB8_303 Depth=3
	v_or_b32_e32 v19, 0x10000, v20
	v_cmp_eq_u32_sdwa s[28:29], v20, v42 src0_sel:WORD_0 src1_sel:DWORD
	v_cndmask_b32_e64 v19, v19, v20, s[28:29]
; %bb.551:                              ;   in Loop: Header=BB8_303 Depth=3
	s_or_b64 exec, exec, s[34:35]
	v_and_b32_e32 v12, 0xffff0000, v12
	v_and_b32_e32 v8, 0xffff0000, v8
	v_max_f32_e32 v8, v8, v8
	v_max_f32_e32 v12, v12, v12
	v_min_f32_e32 v20, v12, v8
	v_max_f32_e32 v8, v12, v8
	v_cndmask_b32_e32 v12, v8, v20, vcc
	v_and_b32_e32 v8, 0x7f800000, v12
	v_cmp_ne_u32_e64 s[28:29], s91, v8
                                        ; implicit-def: $vgpr8
	s_and_saveexec_b64 s[34:35], s[28:29]
	s_xor_b64 s[28:29], exec, s[34:35]
; %bb.552:                              ;   in Loop: Header=BB8_303 Depth=3
	v_bfe_u32 v8, v12, 16, 1
	v_add3_u32 v8, v12, v8, s92
                                        ; implicit-def: $vgpr12
; %bb.553:                              ;   in Loop: Header=BB8_303 Depth=3
	s_andn2_saveexec_b64 s[34:35], s[28:29]
; %bb.554:                              ;   in Loop: Header=BB8_303 Depth=3
	v_or_b32_e32 v8, 0x10000, v12
	v_cmp_eq_u32_sdwa s[28:29], v12, v42 src0_sel:WORD_0 src1_sel:DWORD
	v_cndmask_b32_e64 v8, v8, v12, s[28:29]
; %bb.555:                              ;   in Loop: Header=BB8_303 Depth=3
	s_or_b64 exec, exec, s[34:35]
	v_lshlrev_b32_e32 v12, 16, v13
	v_lshlrev_b32_e32 v20, 16, v9
	v_max_f32_e32 v20, v20, v20
	v_max_f32_e32 v12, v12, v12
	v_min_f32_e32 v21, v12, v20
	v_max_f32_e32 v12, v12, v20
	v_cndmask_b32_e32 v20, v12, v21, vcc
	v_and_b32_e32 v12, 0x7f800000, v20
	v_cmp_ne_u32_e64 s[28:29], s91, v12
                                        ; implicit-def: $vgpr12
	s_and_saveexec_b64 s[34:35], s[28:29]
	s_xor_b64 s[28:29], exec, s[34:35]
; %bb.556:                              ;   in Loop: Header=BB8_303 Depth=3
	v_bfe_u32 v12, v20, 16, 1
	v_add3_u32 v12, v20, v12, s92
                                        ; implicit-def: $vgpr20
; %bb.557:                              ;   in Loop: Header=BB8_303 Depth=3
	s_andn2_saveexec_b64 s[34:35], s[28:29]
; %bb.558:                              ;   in Loop: Header=BB8_303 Depth=3
	v_or_b32_e32 v12, 0x10000, v20
	v_cmp_eq_u32_sdwa s[28:29], v20, v42 src0_sel:WORD_0 src1_sel:DWORD
	v_cndmask_b32_e64 v12, v12, v20, s[28:29]
; %bb.559:                              ;   in Loop: Header=BB8_303 Depth=3
	s_or_b64 exec, exec, s[34:35]
	v_and_b32_e32 v13, 0xffff0000, v13
	v_and_b32_e32 v9, 0xffff0000, v9
	v_max_f32_e32 v9, v9, v9
	v_max_f32_e32 v13, v13, v13
	v_min_f32_e32 v20, v13, v9
	v_max_f32_e32 v9, v13, v9
	v_cndmask_b32_e32 v13, v9, v20, vcc
	v_and_b32_e32 v9, 0x7f800000, v13
	v_cmp_ne_u32_e64 s[28:29], s91, v9
                                        ; implicit-def: $vgpr9
	s_and_saveexec_b64 s[34:35], s[28:29]
	s_xor_b64 s[28:29], exec, s[34:35]
; %bb.560:                              ;   in Loop: Header=BB8_303 Depth=3
	v_bfe_u32 v9, v13, 16, 1
	v_add3_u32 v9, v13, v9, s92
                                        ; implicit-def: $vgpr13
; %bb.561:                              ;   in Loop: Header=BB8_303 Depth=3
	s_andn2_saveexec_b64 s[34:35], s[28:29]
; %bb.562:                              ;   in Loop: Header=BB8_303 Depth=3
	v_or_b32_e32 v9, 0x10000, v13
	v_cmp_eq_u32_sdwa s[28:29], v13, v42 src0_sel:WORD_0 src1_sel:DWORD
	v_cndmask_b32_e64 v9, v9, v13, s[28:29]
; %bb.563:                              ;   in Loop: Header=BB8_303 Depth=3
	s_or_b64 exec, exec, s[34:35]
	v_lshlrev_b32_e32 v13, 16, v14
	v_lshlrev_b32_e32 v20, 16, v10
	v_max_f32_e32 v20, v20, v20
	v_max_f32_e32 v13, v13, v13
	v_min_f32_e32 v21, v13, v20
	v_max_f32_e32 v13, v13, v20
	v_cndmask_b32_e32 v20, v13, v21, vcc
	v_and_b32_e32 v13, 0x7f800000, v20
	v_cmp_ne_u32_e64 s[28:29], s91, v13
                                        ; implicit-def: $vgpr13
	s_and_saveexec_b64 s[34:35], s[28:29]
	s_xor_b64 s[28:29], exec, s[34:35]
; %bb.564:                              ;   in Loop: Header=BB8_303 Depth=3
	v_bfe_u32 v13, v20, 16, 1
	v_add3_u32 v13, v20, v13, s92
                                        ; implicit-def: $vgpr20
; %bb.565:                              ;   in Loop: Header=BB8_303 Depth=3
	s_andn2_saveexec_b64 s[34:35], s[28:29]
; %bb.566:                              ;   in Loop: Header=BB8_303 Depth=3
	v_or_b32_e32 v13, 0x10000, v20
	v_cmp_eq_u32_sdwa s[28:29], v20, v42 src0_sel:WORD_0 src1_sel:DWORD
	v_cndmask_b32_e64 v13, v13, v20, s[28:29]
; %bb.567:                              ;   in Loop: Header=BB8_303 Depth=3
	s_or_b64 exec, exec, s[34:35]
	v_and_b32_e32 v14, 0xffff0000, v14
	v_and_b32_e32 v10, 0xffff0000, v10
	v_max_f32_e32 v10, v10, v10
	v_max_f32_e32 v14, v14, v14
	v_min_f32_e32 v20, v14, v10
	v_max_f32_e32 v10, v14, v10
	v_cndmask_b32_e32 v14, v10, v20, vcc
	v_and_b32_e32 v10, 0x7f800000, v14
	v_cmp_ne_u32_e64 s[28:29], s91, v10
                                        ; implicit-def: $vgpr10
	s_and_saveexec_b64 s[34:35], s[28:29]
	s_xor_b64 s[28:29], exec, s[34:35]
; %bb.568:                              ;   in Loop: Header=BB8_303 Depth=3
	v_bfe_u32 v10, v14, 16, 1
	v_add3_u32 v10, v14, v10, s92
                                        ; implicit-def: $vgpr14
; %bb.569:                              ;   in Loop: Header=BB8_303 Depth=3
	s_andn2_saveexec_b64 s[34:35], s[28:29]
; %bb.570:                              ;   in Loop: Header=BB8_303 Depth=3
	v_or_b32_e32 v10, 0x10000, v14
	v_cmp_eq_u32_sdwa s[28:29], v14, v42 src0_sel:WORD_0 src1_sel:DWORD
	v_cndmask_b32_e64 v10, v10, v14, s[28:29]
; %bb.571:                              ;   in Loop: Header=BB8_303 Depth=3
	s_or_b64 exec, exec, s[34:35]
	v_lshlrev_b32_e32 v14, 16, v15
	v_lshlrev_b32_e32 v20, 16, v11
	v_max_f32_e32 v20, v20, v20
	v_max_f32_e32 v14, v14, v14
	v_min_f32_e32 v21, v14, v20
	v_max_f32_e32 v14, v14, v20
	v_cndmask_b32_e32 v20, v14, v21, vcc
	v_and_b32_e32 v14, 0x7f800000, v20
	v_cmp_ne_u32_e64 s[28:29], s91, v14
                                        ; implicit-def: $vgpr14
	s_and_saveexec_b64 s[34:35], s[28:29]
	s_xor_b64 s[28:29], exec, s[34:35]
; %bb.572:                              ;   in Loop: Header=BB8_303 Depth=3
	v_bfe_u32 v14, v20, 16, 1
	v_add3_u32 v14, v20, v14, s92
                                        ; implicit-def: $vgpr20
; %bb.573:                              ;   in Loop: Header=BB8_303 Depth=3
	s_andn2_saveexec_b64 s[34:35], s[28:29]
; %bb.574:                              ;   in Loop: Header=BB8_303 Depth=3
	v_or_b32_e32 v14, 0x10000, v20
	v_cmp_eq_u32_sdwa s[28:29], v20, v42 src0_sel:WORD_0 src1_sel:DWORD
	v_cndmask_b32_e64 v14, v14, v20, s[28:29]
; %bb.575:                              ;   in Loop: Header=BB8_303 Depth=3
	s_or_b64 exec, exec, s[34:35]
	v_and_b32_e32 v15, 0xffff0000, v15
	v_and_b32_e32 v11, 0xffff0000, v11
	v_max_f32_e32 v11, v11, v11
	v_max_f32_e32 v15, v15, v15
	v_min_f32_e32 v20, v15, v11
	v_max_f32_e32 v11, v15, v11
	v_cndmask_b32_e32 v15, v11, v20, vcc
	v_and_b32_e32 v11, 0x7f800000, v15
	v_cmp_ne_u32_e32 vcc, s91, v11
                                        ; implicit-def: $vgpr11
	s_and_saveexec_b64 s[28:29], vcc
	s_xor_b64 s[28:29], exec, s[28:29]
; %bb.576:                              ;   in Loop: Header=BB8_303 Depth=3
	v_bfe_u32 v11, v15, 16, 1
	v_add3_u32 v11, v15, v11, s92
                                        ; implicit-def: $vgpr15
; %bb.577:                              ;   in Loop: Header=BB8_303 Depth=3
	s_andn2_saveexec_b64 s[28:29], s[28:29]
; %bb.578:                              ;   in Loop: Header=BB8_303 Depth=3
	v_or_b32_e32 v11, 0x10000, v15
	v_cmp_eq_u32_sdwa vcc, v15, v42 src0_sel:WORD_0 src1_sel:DWORD
	v_cndmask_b32_e32 v11, v11, v15, vcc
; %bb.579:                              ;   in Loop: Header=BB8_303 Depth=3
	s_or_b64 exec, exec, s[28:29]
	v_lshrrev_b32_e32 v0, 16, v0
	v_and_or_b32 v20, v1, s93, v0
	v_lshrrev_b32_e32 v0, 16, v16
	v_and_or_b32 v22, v17, s93, v0
	v_lshrrev_b32_e32 v0, 16, v5
	v_lshrrev_b32_e32 v2, 16, v2
	v_and_or_b32 v23, v18, s93, v0
	v_lshrrev_b32_e32 v0, 16, v12
	v_and_or_b32 v21, v3, s93, v2
	v_and_or_b32 v1, v9, s93, v0
	v_lshrrev_b32_e32 v0, 16, v19
	v_lshrrev_b32_e32 v2, 16, v13
	;; [unrolled: 1-line block ×3, first 2 shown]
	v_and_or_b32 v0, v8, s93, v0
	v_and_or_b32 v2, v10, s93, v2
	;; [unrolled: 1-line block ×3, first 2 shown]
	global_store_dwordx4 v[30:31], v[20:23], off glc slc
	global_store_dwordx4 v[30:31], v[0:3], off offset:1024 glc slc
.LBB8_580:                              ;   in Loop: Header=BB8_303 Depth=3
	s_or_b64 exec, exec, s[30:31]
	v_lshlrev_b32_e32 v10, 11, v27
	v_cmp_ne_u32_e32 vcc, v38, v10
                                        ; implicit-def: $vgpr16
                                        ; implicit-def: $vgpr17
                                        ; implicit-def: $vgpr12
                                        ; implicit-def: $vgpr0
	s_and_saveexec_b64 s[60:61], vcc
	s_cbranch_execz .LBB8_695
; %bb.581:                              ;   in Loop: Header=BB8_303 Depth=3
	v_lshlrev_b32_e32 v1, 6, v43
	v_accvgpr_read_b32 v2, a37
	v_sub_u32_e32 v1, v2, v1
	v_ashrrev_i32_e32 v2, 31, v1
	v_lshrrev_b32_e32 v2, 26, v2
	v_add_u32_e32 v2, v1, v2
	v_ashrrev_i32_e32 v3, 6, v2
	v_and_b32_e32 v2, 0xffffffc0, v2
	v_sub_u32_e32 v12, v1, v2
	v_lshlrev_b32_e32 v1, 4, v12
	v_sub_u32_e32 v0, v38, v10
	v_lshl_add_u32 v1, v3, 10, v1
	v_add_u32_e32 v8, v1, v10
	v_sub_u32_e32 v16, v0, v1
	v_ashrrev_i32_e32 v1, 31, v0
	v_lshrrev_b32_e32 v1, 22, v1
	v_add_u32_e32 v1, v0, v1
	v_and_b32_e32 v13, 0xfffffc00, v1
	v_sub_u32_e32 v14, v0, v13
	v_ashrrev_i32_e32 v2, 10, v1
	v_cmp_lt_i32_e64 s[28:29], 15, v14
	v_addc_co_u32_e64 v0, vcc, 0, v2, s[28:29]
	v_ashrrev_i32_e32 v11, 31, v8
	v_add_co_u32_e32 v2, vcc, v8, v24
	v_sub_u32_e32 v15, v0, v3
	v_addc_co_u32_e32 v3, vcc, v11, v25, vcc
	v_cmp_lt_i32_e32 vcc, 15, v16
	s_mov_b64 s[30:31], 0
	s_and_saveexec_b64 s[62:63], vcc
	s_cbranch_execz .LBB8_658
; %bb.582:                              ;   in Loop: Header=BB8_303 Depth=3
	s_trap 2
	ds_read_b128 v[18:21], v0
	v_cmp_eq_u16_e64 s[30:31], 0, v26
	s_mov_b64 s[68:69], 0
	s_mov_b64 s[64:65], 0
                                        ; implicit-def: $sgpr66_sgpr67
	s_waitcnt lgkmcnt(0)
	v_add_co_u32_e32 v0, vcc, v18, v8
	v_addc_co_u32_e32 v9, vcc, v19, v11, vcc
	v_add_co_u32_e32 v8, vcc, v20, v8
	v_addc_co_u32_e32 v11, vcc, v21, v11, vcc
	s_branch .LBB8_584
.LBB8_583:                              ;   in Loop: Header=BB8_584 Depth=4
	s_or_b64 exec, exec, s[34:35]
	v_cmp_gt_i32_e32 vcc, 16, v16
	s_or_b64 s[64:65], vcc, s[64:65]
	s_andn2_b64 vcc, s[66:67], exec
	s_and_b64 s[34:35], s[68:69], exec
	s_or_b64 s[66:67], vcc, s[34:35]
	s_andn2_b64 exec, exec, s[64:65]
	s_cbranch_execz .LBB8_657
.LBB8_584:                              ;   Parent Loop BB8_47 Depth=1
                                        ;     Parent Loop BB8_300 Depth=2
                                        ;       Parent Loop BB8_303 Depth=3
                                        ; =>      This Loop Header: Depth=4
                                        ;           Child Loop BB8_585 Depth 5
                                        ;           Child Loop BB8_622 Depth 5
	v_lshrrev_b32_e64 v1, 6, s33
	v_add_u32_e32 v1, 0xc0, v1
	s_mov_b64 s[70:71], -1
	s_mov_b64 s[72:73], 0
.LBB8_585:                              ;   Parent Loop BB8_47 Depth=1
                                        ;     Parent Loop BB8_300 Depth=2
                                        ;       Parent Loop BB8_303 Depth=3
                                        ;         Parent Loop BB8_584 Depth=4
                                        ; =>        This Inner Loop Header: Depth=5
	s_cmp_eq_u32 s72, 1
	s_cselect_b64 s[34:35], -1, 0
	v_cndmask_b32_e64 v23, v9, v11, s[34:35]
	v_cndmask_b32_e64 v22, v0, v8, s[34:35]
	global_load_dwordx4 v[18:21], v[22:23], off glc slc
	v_add_co_u32_e32 v5, vcc, s79, v22
	s_cmp_eq_u32 s72, 0
	v_addc_co_u32_e32 v17, vcc, 0, v23, vcc
	s_cselect_b64 vcc, -1, 0
	s_and_b64 s[36:37], exec, s[70:71]
	s_mov_b64 s[72:73], 1
	v_cndmask_b32_e64 v8, v8, v5, s[34:35]
	s_mov_b64 s[70:71], 0
	v_cndmask_b32_e32 v9, v9, v17, vcc
	v_cndmask_b32_e32 v0, v0, v5, vcc
	v_cndmask_b32_e64 v11, v11, v17, s[34:35]
	s_mov_b64 vcc, s[36:37]
	s_waitcnt vmcnt(0)
	buffer_store_dword v19, v1, s[0:3], 0 offen offset:4
	buffer_store_dword v18, v1, s[0:3], 0 offen
	buffer_store_dword v21, v1, s[0:3], 0 offen offset:12
	buffer_store_dword v20, v1, s[0:3], 0 offen offset:8
	v_mov_b32_e32 v1, v6
	s_cbranch_vccnz .LBB8_585
; %bb.586:                              ;   in Loop: Header=BB8_584 Depth=4
	s_and_saveexec_b64 s[34:35], s[68:69]
	s_cbranch_execz .LBB8_620
; %bb.587:                              ;   in Loop: Header=BB8_584 Depth=4
	buffer_load_dword v18, off, s[0:3], s33 offset:224
	buffer_load_dword v19, off, s[0:3], s33 offset:240
	;; [unrolled: 1-line block ×8, first 2 shown]
	s_waitcnt vmcnt(7)
	v_lshlrev_b32_e32 v1, 16, v18
	s_waitcnt vmcnt(6)
	v_lshlrev_b32_e32 v24, 16, v19
	v_max_f32_e32 v24, v24, v24
	v_max_f32_e32 v1, v1, v1
	v_min_f32_e32 v25, v1, v24
	v_max_f32_e32 v1, v1, v24
	v_cndmask_b32_e64 v24, v1, v25, s[30:31]
	v_and_b32_e32 v1, 0x7f800000, v24
	v_cmp_ne_u32_e32 vcc, s91, v1
                                        ; implicit-def: $vgpr1
	s_and_saveexec_b64 s[36:37], vcc
	s_xor_b64 vcc, exec, s[36:37]
; %bb.588:                              ;   in Loop: Header=BB8_584 Depth=4
	v_bfe_u32 v1, v24, 16, 1
	v_add3_u32 v1, v24, v1, s92
                                        ; implicit-def: $vgpr24
; %bb.589:                              ;   in Loop: Header=BB8_584 Depth=4
	s_andn2_saveexec_b64 s[36:37], vcc
; %bb.590:                              ;   in Loop: Header=BB8_584 Depth=4
	v_or_b32_e32 v1, 0x10000, v24
	v_cmp_eq_u32_sdwa vcc, v24, v42 src0_sel:WORD_0 src1_sel:DWORD
	v_cndmask_b32_e32 v1, v1, v24, vcc
; %bb.591:                              ;   in Loop: Header=BB8_584 Depth=4
	s_or_b64 exec, exec, s[36:37]
	v_and_b32_e32 v18, 0xffff0000, v18
	v_and_b32_e32 v19, 0xffff0000, v19
	v_max_f32_e32 v19, v19, v19
	v_max_f32_e32 v18, v18, v18
	v_min_f32_e32 v24, v18, v19
	v_max_f32_e32 v18, v18, v19
	v_cndmask_b32_e64 v19, v18, v24, s[30:31]
	v_and_b32_e32 v18, 0x7f800000, v19
	v_cmp_ne_u32_e32 vcc, s91, v18
                                        ; implicit-def: $vgpr18
	s_and_saveexec_b64 s[36:37], vcc
	s_xor_b64 vcc, exec, s[36:37]
; %bb.592:                              ;   in Loop: Header=BB8_584 Depth=4
	v_bfe_u32 v18, v19, 16, 1
	v_add3_u32 v18, v19, v18, s92
                                        ; implicit-def: $vgpr19
; %bb.593:                              ;   in Loop: Header=BB8_584 Depth=4
	s_andn2_saveexec_b64 s[36:37], vcc
; %bb.594:                              ;   in Loop: Header=BB8_584 Depth=4
	v_or_b32_e32 v18, 0x10000, v19
	v_cmp_eq_u32_sdwa vcc, v19, v42 src0_sel:WORD_0 src1_sel:DWORD
	v_cndmask_b32_e32 v18, v18, v19, vcc
; %bb.595:                              ;   in Loop: Header=BB8_584 Depth=4
	s_or_b64 exec, exec, s[36:37]
	s_waitcnt vmcnt(5)
	v_lshlrev_b32_e32 v19, 16, v22
	s_waitcnt vmcnt(2)
	v_lshlrev_b32_e32 v24, 16, v23
	v_max_f32_e32 v24, v24, v24
	v_max_f32_e32 v19, v19, v19
	v_min_f32_e32 v25, v19, v24
	v_max_f32_e32 v19, v19, v24
	v_cndmask_b32_e64 v24, v19, v25, s[30:31]
	v_and_b32_e32 v19, 0x7f800000, v24
	v_cmp_ne_u32_e32 vcc, s91, v19
                                        ; implicit-def: $vgpr19
	s_and_saveexec_b64 s[36:37], vcc
	s_xor_b64 vcc, exec, s[36:37]
; %bb.596:                              ;   in Loop: Header=BB8_584 Depth=4
	v_bfe_u32 v19, v24, 16, 1
	v_add3_u32 v19, v24, v19, s92
                                        ; implicit-def: $vgpr24
; %bb.597:                              ;   in Loop: Header=BB8_584 Depth=4
	s_andn2_saveexec_b64 s[36:37], vcc
; %bb.598:                              ;   in Loop: Header=BB8_584 Depth=4
	v_or_b32_e32 v19, 0x10000, v24
	v_cmp_eq_u32_sdwa vcc, v24, v42 src0_sel:WORD_0 src1_sel:DWORD
	v_cndmask_b32_e32 v19, v19, v24, vcc
; %bb.599:                              ;   in Loop: Header=BB8_584 Depth=4
	s_or_b64 exec, exec, s[36:37]
	v_and_b32_e32 v22, 0xffff0000, v22
	v_and_b32_e32 v23, 0xffff0000, v23
	v_max_f32_e32 v23, v23, v23
	v_max_f32_e32 v22, v22, v22
	v_min_f32_e32 v24, v22, v23
	v_max_f32_e32 v22, v22, v23
	v_cndmask_b32_e64 v23, v22, v24, s[30:31]
	v_and_b32_e32 v22, 0x7f800000, v23
	v_cmp_ne_u32_e32 vcc, s91, v22
                                        ; implicit-def: $vgpr22
	s_and_saveexec_b64 s[36:37], vcc
	s_xor_b64 vcc, exec, s[36:37]
; %bb.600:                              ;   in Loop: Header=BB8_584 Depth=4
	v_bfe_u32 v22, v23, 16, 1
	v_add3_u32 v22, v23, v22, s92
                                        ; implicit-def: $vgpr23
; %bb.601:                              ;   in Loop: Header=BB8_584 Depth=4
	s_andn2_saveexec_b64 s[36:37], vcc
; %bb.602:                              ;   in Loop: Header=BB8_584 Depth=4
	v_or_b32_e32 v22, 0x10000, v23
	v_cmp_eq_u32_sdwa vcc, v23, v42 src0_sel:WORD_0 src1_sel:DWORD
	v_cndmask_b32_e32 v22, v22, v23, vcc
; %bb.603:                              ;   in Loop: Header=BB8_584 Depth=4
	s_or_b64 exec, exec, s[36:37]
	v_lshlrev_b32_e32 v23, 16, v20
	s_waitcnt vmcnt(1)
	v_lshlrev_b32_e32 v24, 16, v21
	v_max_f32_e32 v24, v24, v24
	v_max_f32_e32 v23, v23, v23
	v_min_f32_e32 v25, v23, v24
	v_max_f32_e32 v23, v23, v24
	v_cndmask_b32_e64 v24, v23, v25, s[30:31]
	v_and_b32_e32 v23, 0x7f800000, v24
	v_cmp_ne_u32_e32 vcc, s91, v23
                                        ; implicit-def: $vgpr23
	s_and_saveexec_b64 s[36:37], vcc
	s_xor_b64 vcc, exec, s[36:37]
; %bb.604:                              ;   in Loop: Header=BB8_584 Depth=4
	v_bfe_u32 v23, v24, 16, 1
	v_add3_u32 v23, v24, v23, s92
                                        ; implicit-def: $vgpr24
; %bb.605:                              ;   in Loop: Header=BB8_584 Depth=4
	s_andn2_saveexec_b64 s[36:37], vcc
; %bb.606:                              ;   in Loop: Header=BB8_584 Depth=4
	v_or_b32_e32 v23, 0x10000, v24
	v_cmp_eq_u32_sdwa vcc, v24, v42 src0_sel:WORD_0 src1_sel:DWORD
	v_cndmask_b32_e32 v23, v23, v24, vcc
; %bb.607:                              ;   in Loop: Header=BB8_584 Depth=4
	s_or_b64 exec, exec, s[36:37]
	v_and_b32_e32 v20, 0xffff0000, v20
	v_and_b32_e32 v21, 0xffff0000, v21
	v_max_f32_e32 v21, v21, v21
	v_max_f32_e32 v20, v20, v20
	v_min_f32_e32 v24, v20, v21
	v_max_f32_e32 v20, v20, v21
	v_cndmask_b32_e64 v21, v20, v24, s[30:31]
	v_and_b32_e32 v20, 0x7f800000, v21
	v_cmp_ne_u32_e32 vcc, s91, v20
                                        ; implicit-def: $vgpr20
	s_and_saveexec_b64 s[36:37], vcc
	s_xor_b64 vcc, exec, s[36:37]
; %bb.608:                              ;   in Loop: Header=BB8_584 Depth=4
	v_bfe_u32 v20, v21, 16, 1
	v_add3_u32 v20, v21, v20, s92
                                        ; implicit-def: $vgpr21
; %bb.609:                              ;   in Loop: Header=BB8_584 Depth=4
	s_andn2_saveexec_b64 s[36:37], vcc
; %bb.610:                              ;   in Loop: Header=BB8_584 Depth=4
	v_or_b32_e32 v20, 0x10000, v21
	v_cmp_eq_u32_sdwa vcc, v21, v42 src0_sel:WORD_0 src1_sel:DWORD
	v_cndmask_b32_e32 v20, v20, v21, vcc
; %bb.611:                              ;   in Loop: Header=BB8_584 Depth=4
	s_or_b64 exec, exec, s[36:37]
	v_lshlrev_b32_e32 v21, 16, v5
	s_waitcnt vmcnt(0)
	v_lshlrev_b32_e32 v24, 16, v17
	v_max_f32_e32 v24, v24, v24
	v_max_f32_e32 v21, v21, v21
	v_min_f32_e32 v25, v21, v24
	v_max_f32_e32 v21, v21, v24
	v_cndmask_b32_e64 v24, v21, v25, s[30:31]
	v_and_b32_e32 v21, 0x7f800000, v24
	v_cmp_ne_u32_e32 vcc, s91, v21
                                        ; implicit-def: $vgpr21
	s_and_saveexec_b64 s[36:37], vcc
	s_xor_b64 vcc, exec, s[36:37]
; %bb.612:                              ;   in Loop: Header=BB8_584 Depth=4
	v_bfe_u32 v21, v24, 16, 1
	v_add3_u32 v21, v24, v21, s92
                                        ; implicit-def: $vgpr24
; %bb.613:                              ;   in Loop: Header=BB8_584 Depth=4
	s_andn2_saveexec_b64 s[36:37], vcc
; %bb.614:                              ;   in Loop: Header=BB8_584 Depth=4
	v_or_b32_e32 v21, 0x10000, v24
	v_cmp_eq_u32_sdwa vcc, v24, v42 src0_sel:WORD_0 src1_sel:DWORD
	v_cndmask_b32_e32 v21, v21, v24, vcc
; %bb.615:                              ;   in Loop: Header=BB8_584 Depth=4
	s_or_b64 exec, exec, s[36:37]
	v_and_b32_e32 v5, 0xffff0000, v5
	v_and_b32_e32 v17, 0xffff0000, v17
	v_max_f32_e32 v17, v17, v17
	v_max_f32_e32 v5, v5, v5
	v_min_f32_e32 v24, v5, v17
	v_max_f32_e32 v5, v5, v17
	v_cndmask_b32_e64 v17, v5, v24, s[30:31]
	v_and_b32_e32 v5, 0x7f800000, v17
	v_cmp_ne_u32_e32 vcc, s91, v5
                                        ; implicit-def: $vgpr5
	s_and_saveexec_b64 s[36:37], vcc
	s_xor_b64 vcc, exec, s[36:37]
; %bb.616:                              ;   in Loop: Header=BB8_584 Depth=4
	v_bfe_u32 v5, v17, 16, 1
	v_add3_u32 v5, v17, v5, s92
                                        ; implicit-def: $vgpr17
; %bb.617:                              ;   in Loop: Header=BB8_584 Depth=4
	s_andn2_saveexec_b64 s[36:37], vcc
; %bb.618:                              ;   in Loop: Header=BB8_584 Depth=4
	v_or_b32_e32 v5, 0x10000, v17
	v_cmp_eq_u32_sdwa vcc, v17, v42 src0_sel:WORD_0 src1_sel:DWORD
	v_cndmask_b32_e32 v5, v5, v17, vcc
; %bb.619:                              ;   in Loop: Header=BB8_584 Depth=4
	s_or_b64 exec, exec, s[36:37]
	v_lshrrev_b32_e32 v1, 16, v1
	v_and_or_b32 v18, v18, s93, v1
	v_lshrrev_b32_e32 v1, 16, v23
	v_lshrrev_b32_e32 v17, 16, v19
	v_and_or_b32 v20, v20, s93, v1
	v_lshrrev_b32_e32 v1, 16, v21
	v_and_or_b32 v19, v22, s93, v17
	v_and_or_b32 v21, v5, s93, v1
	v_accvgpr_read_b32 v1, a38
	buffer_store_dword v19, off, s[0:3], s33 offset:228
	buffer_store_dword v18, off, s[0:3], s33 offset:224
	;; [unrolled: 1-line block ×4, first 2 shown]
	global_store_dwordx4 v[2:3], v[18:21], off glc slc
	v_add_co_u32_e32 v2, vcc, v1, v2
	v_accvgpr_read_b32 v1, a39
	v_addc_co_u32_e32 v3, vcc, v1, v3, vcc
.LBB8_620:                              ;   in Loop: Header=BB8_584 Depth=4
	s_or_b64 exec, exec, s[34:35]
	v_accvgpr_read_b32 v18, a32
	v_accvgpr_read_b32 v19, a33
	v_add_co_u32_e32 v0, vcc, v0, v18
	v_addc_co_u32_e32 v9, vcc, v9, v19, vcc
	v_accvgpr_read_b32 v1, a21
	v_add_co_u32_e32 v8, vcc, v8, v18
	v_sub_u32_e32 v16, v16, v1
	v_addc_co_u32_e32 v11, vcc, v11, v19, vcc
	v_cmp_lt_i32_e64 s[68:69], 15, v16
	s_and_saveexec_b64 s[70:71], s[68:69]
	s_cbranch_execz .LBB8_623
; %bb.621:                              ;   in Loop: Header=BB8_584 Depth=4
	v_lshrrev_b32_e64 v1, 6, s33
	v_add_u32_e32 v1, 0xe0, v1
	s_mov_b64 s[74:75], 0
	s_mov_b64 s[72:73], -1
	v_accvgpr_read_b32 v24, a26
.LBB8_622:                              ;   Parent Loop BB8_47 Depth=1
                                        ;     Parent Loop BB8_300 Depth=2
                                        ;       Parent Loop BB8_303 Depth=3
                                        ;         Parent Loop BB8_584 Depth=4
                                        ; =>        This Inner Loop Header: Depth=5
	s_cmp_eq_u32 s74, 1
	s_cselect_b64 s[34:35], -1, 0
	v_cndmask_b32_e64 v23, v9, v11, s[34:35]
	v_cndmask_b32_e64 v22, v0, v8, s[34:35]
	global_load_dwordx4 v[18:21], v[22:23], off glc slc
	v_add_co_u32_e32 v5, vcc, s79, v22
	s_cmp_eq_u32 s74, 0
	v_addc_co_u32_e32 v17, vcc, 0, v23, vcc
	s_cselect_b64 vcc, -1, 0
	s_and_b64 s[36:37], exec, s[72:73]
	s_mov_b64 s[74:75], 1
	v_cndmask_b32_e64 v8, v8, v5, s[34:35]
	s_mov_b64 s[72:73], 0
	v_cndmask_b32_e32 v9, v9, v17, vcc
	v_cndmask_b32_e32 v0, v0, v5, vcc
	v_cndmask_b32_e64 v11, v11, v17, s[34:35]
	s_mov_b64 vcc, s[36:37]
	s_waitcnt vmcnt(0)
	buffer_store_dword v19, v1, s[0:3], 0 offen offset:4
	buffer_store_dword v18, v1, s[0:3], 0 offen
	buffer_store_dword v21, v1, s[0:3], 0 offen offset:12
	buffer_store_dword v20, v1, s[0:3], 0 offen offset:8
	v_mov_b32_e32 v1, v24
	s_cbranch_vccnz .LBB8_622
.LBB8_623:                              ;   in Loop: Header=BB8_584 Depth=4
	s_or_b64 exec, exec, s[70:71]
	buffer_load_dword v18, off, s[0:3], s33 offset:192
	buffer_load_dword v19, off, s[0:3], s33 offset:208
	;; [unrolled: 1-line block ×8, first 2 shown]
	s_waitcnt vmcnt(7)
	v_lshlrev_b32_e32 v1, 16, v18
	s_waitcnt vmcnt(6)
	v_lshlrev_b32_e32 v24, 16, v19
	v_max_f32_e32 v24, v24, v24
	v_max_f32_e32 v1, v1, v1
	v_min_f32_e32 v25, v1, v24
	v_max_f32_e32 v1, v1, v24
	v_cndmask_b32_e64 v24, v1, v25, s[30:31]
	v_and_b32_e32 v1, 0x7f800000, v24
	v_cmp_ne_u32_e32 vcc, s91, v1
                                        ; implicit-def: $vgpr1
	s_and_saveexec_b64 s[34:35], vcc
	s_xor_b64 vcc, exec, s[34:35]
; %bb.624:                              ;   in Loop: Header=BB8_584 Depth=4
	v_bfe_u32 v1, v24, 16, 1
	v_add3_u32 v1, v24, v1, s92
                                        ; implicit-def: $vgpr24
; %bb.625:                              ;   in Loop: Header=BB8_584 Depth=4
	s_andn2_saveexec_b64 s[34:35], vcc
; %bb.626:                              ;   in Loop: Header=BB8_584 Depth=4
	v_or_b32_e32 v1, 0x10000, v24
	v_cmp_eq_u32_sdwa vcc, v24, v42 src0_sel:WORD_0 src1_sel:DWORD
	v_cndmask_b32_e32 v1, v1, v24, vcc
; %bb.627:                              ;   in Loop: Header=BB8_584 Depth=4
	s_or_b64 exec, exec, s[34:35]
	v_and_b32_e32 v18, 0xffff0000, v18
	v_and_b32_e32 v19, 0xffff0000, v19
	v_max_f32_e32 v19, v19, v19
	v_max_f32_e32 v18, v18, v18
	v_min_f32_e32 v24, v18, v19
	v_max_f32_e32 v18, v18, v19
	v_cndmask_b32_e64 v19, v18, v24, s[30:31]
	v_and_b32_e32 v18, 0x7f800000, v19
	v_cmp_ne_u32_e32 vcc, s91, v18
                                        ; implicit-def: $vgpr18
	s_and_saveexec_b64 s[34:35], vcc
	s_xor_b64 vcc, exec, s[34:35]
; %bb.628:                              ;   in Loop: Header=BB8_584 Depth=4
	v_bfe_u32 v18, v19, 16, 1
	v_add3_u32 v18, v19, v18, s92
                                        ; implicit-def: $vgpr19
; %bb.629:                              ;   in Loop: Header=BB8_584 Depth=4
	s_andn2_saveexec_b64 s[34:35], vcc
; %bb.630:                              ;   in Loop: Header=BB8_584 Depth=4
	v_or_b32_e32 v18, 0x10000, v19
	v_cmp_eq_u32_sdwa vcc, v19, v42 src0_sel:WORD_0 src1_sel:DWORD
	v_cndmask_b32_e32 v18, v18, v19, vcc
; %bb.631:                              ;   in Loop: Header=BB8_584 Depth=4
	s_or_b64 exec, exec, s[34:35]
	s_waitcnt vmcnt(5)
	v_lshlrev_b32_e32 v19, 16, v22
	s_waitcnt vmcnt(2)
	v_lshlrev_b32_e32 v24, 16, v23
	v_max_f32_e32 v24, v24, v24
	v_max_f32_e32 v19, v19, v19
	v_min_f32_e32 v25, v19, v24
	v_max_f32_e32 v19, v19, v24
	v_cndmask_b32_e64 v24, v19, v25, s[30:31]
	v_and_b32_e32 v19, 0x7f800000, v24
	v_cmp_ne_u32_e32 vcc, s91, v19
                                        ; implicit-def: $vgpr19
	s_and_saveexec_b64 s[34:35], vcc
	s_xor_b64 vcc, exec, s[34:35]
; %bb.632:                              ;   in Loop: Header=BB8_584 Depth=4
	v_bfe_u32 v19, v24, 16, 1
	v_add3_u32 v19, v24, v19, s92
                                        ; implicit-def: $vgpr24
; %bb.633:                              ;   in Loop: Header=BB8_584 Depth=4
	s_andn2_saveexec_b64 s[34:35], vcc
; %bb.634:                              ;   in Loop: Header=BB8_584 Depth=4
	v_or_b32_e32 v19, 0x10000, v24
	v_cmp_eq_u32_sdwa vcc, v24, v42 src0_sel:WORD_0 src1_sel:DWORD
	v_cndmask_b32_e32 v19, v19, v24, vcc
; %bb.635:                              ;   in Loop: Header=BB8_584 Depth=4
	s_or_b64 exec, exec, s[34:35]
	v_and_b32_e32 v22, 0xffff0000, v22
	v_and_b32_e32 v23, 0xffff0000, v23
	v_max_f32_e32 v23, v23, v23
	v_max_f32_e32 v22, v22, v22
	v_min_f32_e32 v24, v22, v23
	v_max_f32_e32 v22, v22, v23
	v_cndmask_b32_e64 v23, v22, v24, s[30:31]
	v_and_b32_e32 v22, 0x7f800000, v23
	v_cmp_ne_u32_e32 vcc, s91, v22
                                        ; implicit-def: $vgpr22
	s_and_saveexec_b64 s[34:35], vcc
	s_xor_b64 vcc, exec, s[34:35]
; %bb.636:                              ;   in Loop: Header=BB8_584 Depth=4
	v_bfe_u32 v22, v23, 16, 1
	v_add3_u32 v22, v23, v22, s92
                                        ; implicit-def: $vgpr23
; %bb.637:                              ;   in Loop: Header=BB8_584 Depth=4
	s_andn2_saveexec_b64 s[34:35], vcc
; %bb.638:                              ;   in Loop: Header=BB8_584 Depth=4
	v_or_b32_e32 v22, 0x10000, v23
	v_cmp_eq_u32_sdwa vcc, v23, v42 src0_sel:WORD_0 src1_sel:DWORD
	v_cndmask_b32_e32 v22, v22, v23, vcc
; %bb.639:                              ;   in Loop: Header=BB8_584 Depth=4
	s_or_b64 exec, exec, s[34:35]
	v_lshlrev_b32_e32 v23, 16, v20
	s_waitcnt vmcnt(1)
	v_lshlrev_b32_e32 v24, 16, v21
	v_max_f32_e32 v24, v24, v24
	v_max_f32_e32 v23, v23, v23
	v_min_f32_e32 v25, v23, v24
	v_max_f32_e32 v23, v23, v24
	v_cndmask_b32_e64 v24, v23, v25, s[30:31]
	v_and_b32_e32 v23, 0x7f800000, v24
	v_cmp_ne_u32_e32 vcc, s91, v23
                                        ; implicit-def: $vgpr23
	s_and_saveexec_b64 s[34:35], vcc
	s_xor_b64 vcc, exec, s[34:35]
; %bb.640:                              ;   in Loop: Header=BB8_584 Depth=4
	v_bfe_u32 v23, v24, 16, 1
	v_add3_u32 v23, v24, v23, s92
                                        ; implicit-def: $vgpr24
; %bb.641:                              ;   in Loop: Header=BB8_584 Depth=4
	s_andn2_saveexec_b64 s[34:35], vcc
; %bb.642:                              ;   in Loop: Header=BB8_584 Depth=4
	v_or_b32_e32 v23, 0x10000, v24
	v_cmp_eq_u32_sdwa vcc, v24, v42 src0_sel:WORD_0 src1_sel:DWORD
	v_cndmask_b32_e32 v23, v23, v24, vcc
; %bb.643:                              ;   in Loop: Header=BB8_584 Depth=4
	s_or_b64 exec, exec, s[34:35]
	v_and_b32_e32 v20, 0xffff0000, v20
	v_and_b32_e32 v21, 0xffff0000, v21
	v_max_f32_e32 v21, v21, v21
	v_max_f32_e32 v20, v20, v20
	v_min_f32_e32 v24, v20, v21
	v_max_f32_e32 v20, v20, v21
	v_cndmask_b32_e64 v21, v20, v24, s[30:31]
	v_and_b32_e32 v20, 0x7f800000, v21
	v_cmp_ne_u32_e32 vcc, s91, v20
                                        ; implicit-def: $vgpr20
	s_and_saveexec_b64 s[34:35], vcc
	s_xor_b64 vcc, exec, s[34:35]
; %bb.644:                              ;   in Loop: Header=BB8_584 Depth=4
	v_bfe_u32 v20, v21, 16, 1
	v_add3_u32 v20, v21, v20, s92
                                        ; implicit-def: $vgpr21
; %bb.645:                              ;   in Loop: Header=BB8_584 Depth=4
	s_andn2_saveexec_b64 s[34:35], vcc
; %bb.646:                              ;   in Loop: Header=BB8_584 Depth=4
	v_or_b32_e32 v20, 0x10000, v21
	v_cmp_eq_u32_sdwa vcc, v21, v42 src0_sel:WORD_0 src1_sel:DWORD
	v_cndmask_b32_e32 v20, v20, v21, vcc
; %bb.647:                              ;   in Loop: Header=BB8_584 Depth=4
	s_or_b64 exec, exec, s[34:35]
	v_lshlrev_b32_e32 v21, 16, v5
	s_waitcnt vmcnt(0)
	v_lshlrev_b32_e32 v24, 16, v17
	v_max_f32_e32 v24, v24, v24
	v_max_f32_e32 v21, v21, v21
	v_min_f32_e32 v25, v21, v24
	v_max_f32_e32 v21, v21, v24
	v_cndmask_b32_e64 v24, v21, v25, s[30:31]
	v_and_b32_e32 v21, 0x7f800000, v24
	v_cmp_ne_u32_e32 vcc, s91, v21
                                        ; implicit-def: $vgpr21
	s_and_saveexec_b64 s[34:35], vcc
	s_xor_b64 vcc, exec, s[34:35]
; %bb.648:                              ;   in Loop: Header=BB8_584 Depth=4
	v_bfe_u32 v21, v24, 16, 1
	v_add3_u32 v21, v24, v21, s92
                                        ; implicit-def: $vgpr24
; %bb.649:                              ;   in Loop: Header=BB8_584 Depth=4
	s_andn2_saveexec_b64 s[34:35], vcc
; %bb.650:                              ;   in Loop: Header=BB8_584 Depth=4
	v_or_b32_e32 v21, 0x10000, v24
	v_cmp_eq_u32_sdwa vcc, v24, v42 src0_sel:WORD_0 src1_sel:DWORD
	v_cndmask_b32_e32 v21, v21, v24, vcc
; %bb.651:                              ;   in Loop: Header=BB8_584 Depth=4
	s_or_b64 exec, exec, s[34:35]
	v_and_b32_e32 v5, 0xffff0000, v5
	v_and_b32_e32 v17, 0xffff0000, v17
	v_max_f32_e32 v17, v17, v17
	v_max_f32_e32 v5, v5, v5
	v_min_f32_e32 v24, v5, v17
	v_max_f32_e32 v5, v5, v17
	v_cndmask_b32_e64 v17, v5, v24, s[30:31]
	v_and_b32_e32 v5, 0x7f800000, v17
	v_cmp_ne_u32_e32 vcc, s91, v5
                                        ; implicit-def: $vgpr5
	s_and_saveexec_b64 s[34:35], vcc
	s_xor_b64 vcc, exec, s[34:35]
; %bb.652:                              ;   in Loop: Header=BB8_584 Depth=4
	v_bfe_u32 v5, v17, 16, 1
	v_add3_u32 v5, v17, v5, s92
                                        ; implicit-def: $vgpr17
; %bb.653:                              ;   in Loop: Header=BB8_584 Depth=4
	s_andn2_saveexec_b64 s[34:35], vcc
; %bb.654:                              ;   in Loop: Header=BB8_584 Depth=4
	v_or_b32_e32 v5, 0x10000, v17
	v_cmp_eq_u32_sdwa vcc, v17, v42 src0_sel:WORD_0 src1_sel:DWORD
	v_cndmask_b32_e32 v5, v5, v17, vcc
; %bb.655:                              ;   in Loop: Header=BB8_584 Depth=4
	s_or_b64 exec, exec, s[34:35]
	v_lshrrev_b32_e32 v1, 16, v1
	v_and_or_b32 v18, v18, s93, v1
	v_lshrrev_b32_e32 v1, 16, v23
	v_lshrrev_b32_e32 v17, 16, v19
	v_and_or_b32 v20, v20, s93, v1
	v_lshrrev_b32_e32 v1, 16, v21
	v_and_or_b32 v19, v22, s93, v17
	v_and_or_b32 v21, v5, s93, v1
	v_accvgpr_read_b32 v24, a20
	buffer_store_dword v19, off, s[0:3], s33 offset:196
	buffer_store_dword v18, off, s[0:3], s33 offset:192
	;; [unrolled: 1-line block ×4, first 2 shown]
	global_store_dwordx4 v[2:3], v[18:21], off glc slc
	v_add_co_u32_e32 v2, vcc, 0x400, v2
	v_sub_u32_e32 v15, v15, v24
	v_addc_co_u32_e32 v3, vcc, 0, v3, vcc
	s_and_saveexec_b64 s[34:35], s[68:69]
	s_cbranch_execz .LBB8_583
; %bb.656:                              ;   in Loop: Header=BB8_584 Depth=4
	v_accvgpr_read_b32 v18, a32
	v_accvgpr_read_b32 v19, a33
	v_add_co_u32_e32 v0, vcc, v0, v18
	v_addc_co_u32_e32 v9, vcc, v9, v19, vcc
	v_add_co_u32_e32 v8, vcc, v8, v18
	v_addc_co_u32_e32 v11, vcc, v11, v19, vcc
	v_add_co_u32_e32 v2, vcc, v2, v18
	v_accvgpr_read_b32 v1, a21
	v_accvgpr_read_b32 v18, a20
	v_addc_co_u32_e32 v3, vcc, v3, v19, vcc
	v_sub_u32_e32 v16, v16, v1
	v_sub_u32_e32 v15, v15, v18
	s_branch .LBB8_583
.LBB8_657:                              ;   in Loop: Header=BB8_303 Depth=3
	s_or_b64 exec, exec, s[64:65]
	s_and_b64 s[30:31], s[66:67], exec
.LBB8_658:                              ;   in Loop: Header=BB8_303 Depth=3
	s_or_b64 exec, exec, s[62:63]
	s_and_saveexec_b64 s[34:35], s[30:31]
	s_cbranch_execz .LBB8_692
; %bb.659:                              ;   in Loop: Header=BB8_303 Depth=3
	buffer_load_dword v8, off, s[0:3], s33 offset:224
	buffer_load_dword v9, off, s[0:3], s33 offset:240
	;; [unrolled: 1-line block ×8, first 2 shown]
	v_cmp_eq_u16_e32 vcc, 0, v26
	s_waitcnt vmcnt(0)
	v_lshlrev_b32_e32 v0, 16, v8
	v_lshlrev_b32_e32 v19, 16, v9
	v_max_f32_e32 v19, v19, v19
	v_max_f32_e32 v0, v0, v0
	v_min_f32_e32 v20, v0, v19
	v_max_f32_e32 v0, v0, v19
	v_cndmask_b32_e32 v19, v0, v20, vcc
	v_and_b32_e32 v0, 0x7f800000, v19
	v_cmp_ne_u32_e64 s[30:31], s91, v0
                                        ; implicit-def: $vgpr0
	s_and_saveexec_b64 s[36:37], s[30:31]
	s_xor_b64 s[30:31], exec, s[36:37]
; %bb.660:                              ;   in Loop: Header=BB8_303 Depth=3
	v_bfe_u32 v0, v19, 16, 1
	v_add3_u32 v0, v19, v0, s92
                                        ; implicit-def: $vgpr19
; %bb.661:                              ;   in Loop: Header=BB8_303 Depth=3
	s_andn2_saveexec_b64 s[36:37], s[30:31]
; %bb.662:                              ;   in Loop: Header=BB8_303 Depth=3
	v_or_b32_e32 v0, 0x10000, v19
	v_cmp_eq_u32_sdwa s[30:31], v19, v42 src0_sel:WORD_0 src1_sel:DWORD
	v_cndmask_b32_e64 v0, v0, v19, s[30:31]
; %bb.663:                              ;   in Loop: Header=BB8_303 Depth=3
	s_or_b64 exec, exec, s[36:37]
	v_and_b32_e32 v8, 0xffff0000, v8
	v_and_b32_e32 v9, 0xffff0000, v9
	v_max_f32_e32 v9, v9, v9
	v_max_f32_e32 v8, v8, v8
	v_min_f32_e32 v19, v8, v9
	v_max_f32_e32 v8, v8, v9
	v_cndmask_b32_e32 v9, v8, v19, vcc
	v_and_b32_e32 v8, 0x7f800000, v9
	v_cmp_ne_u32_e64 s[30:31], s91, v8
                                        ; implicit-def: $vgpr8
	s_and_saveexec_b64 s[36:37], s[30:31]
	s_xor_b64 s[30:31], exec, s[36:37]
; %bb.664:                              ;   in Loop: Header=BB8_303 Depth=3
	v_bfe_u32 v8, v9, 16, 1
	v_add3_u32 v8, v9, v8, s92
                                        ; implicit-def: $vgpr9
; %bb.665:                              ;   in Loop: Header=BB8_303 Depth=3
	s_andn2_saveexec_b64 s[36:37], s[30:31]
; %bb.666:                              ;   in Loop: Header=BB8_303 Depth=3
	v_or_b32_e32 v8, 0x10000, v9
	v_cmp_eq_u32_sdwa s[30:31], v9, v42 src0_sel:WORD_0 src1_sel:DWORD
	v_cndmask_b32_e64 v8, v8, v9, s[30:31]
; %bb.667:                              ;   in Loop: Header=BB8_303 Depth=3
	s_or_b64 exec, exec, s[36:37]
	v_lshlrev_b32_e32 v9, 16, v17
	v_lshlrev_b32_e32 v19, 16, v18
	v_max_f32_e32 v19, v19, v19
	v_max_f32_e32 v9, v9, v9
	v_min_f32_e32 v20, v9, v19
	v_max_f32_e32 v9, v9, v19
	v_cndmask_b32_e32 v19, v9, v20, vcc
	v_and_b32_e32 v9, 0x7f800000, v19
	v_cmp_ne_u32_e64 s[30:31], s91, v9
                                        ; implicit-def: $vgpr9
	s_and_saveexec_b64 s[36:37], s[30:31]
	s_xor_b64 s[30:31], exec, s[36:37]
; %bb.668:                              ;   in Loop: Header=BB8_303 Depth=3
	v_bfe_u32 v9, v19, 16, 1
	v_add3_u32 v9, v19, v9, s92
                                        ; implicit-def: $vgpr19
; %bb.669:                              ;   in Loop: Header=BB8_303 Depth=3
	s_andn2_saveexec_b64 s[36:37], s[30:31]
; %bb.670:                              ;   in Loop: Header=BB8_303 Depth=3
	v_or_b32_e32 v9, 0x10000, v19
	v_cmp_eq_u32_sdwa s[30:31], v19, v42 src0_sel:WORD_0 src1_sel:DWORD
	v_cndmask_b32_e64 v9, v9, v19, s[30:31]
; %bb.671:                              ;   in Loop: Header=BB8_303 Depth=3
	s_or_b64 exec, exec, s[36:37]
	v_and_b32_e32 v17, 0xffff0000, v17
	v_and_b32_e32 v18, 0xffff0000, v18
	v_max_f32_e32 v18, v18, v18
	v_max_f32_e32 v17, v17, v17
	v_min_f32_e32 v19, v17, v18
	v_max_f32_e32 v17, v17, v18
	v_cndmask_b32_e32 v18, v17, v19, vcc
	v_and_b32_e32 v17, 0x7f800000, v18
	v_cmp_ne_u32_e64 s[30:31], s91, v17
                                        ; implicit-def: $vgpr17
	s_and_saveexec_b64 s[36:37], s[30:31]
	s_xor_b64 s[30:31], exec, s[36:37]
; %bb.672:                              ;   in Loop: Header=BB8_303 Depth=3
	v_bfe_u32 v17, v18, 16, 1
	v_add3_u32 v17, v18, v17, s92
                                        ; implicit-def: $vgpr18
; %bb.673:                              ;   in Loop: Header=BB8_303 Depth=3
	s_andn2_saveexec_b64 s[36:37], s[30:31]
; %bb.674:                              ;   in Loop: Header=BB8_303 Depth=3
	v_or_b32_e32 v17, 0x10000, v18
	v_cmp_eq_u32_sdwa s[30:31], v18, v42 src0_sel:WORD_0 src1_sel:DWORD
	v_cndmask_b32_e64 v17, v17, v18, s[30:31]
; %bb.675:                              ;   in Loop: Header=BB8_303 Depth=3
	s_or_b64 exec, exec, s[36:37]
	v_lshlrev_b32_e32 v18, 16, v11
	v_lshlrev_b32_e32 v19, 16, v16
	v_max_f32_e32 v19, v19, v19
	v_max_f32_e32 v18, v18, v18
	v_min_f32_e32 v20, v18, v19
	v_max_f32_e32 v18, v18, v19
	v_cndmask_b32_e32 v19, v18, v20, vcc
	v_and_b32_e32 v18, 0x7f800000, v19
	v_cmp_ne_u32_e64 s[30:31], s91, v18
                                        ; implicit-def: $vgpr18
	s_and_saveexec_b64 s[36:37], s[30:31]
	s_xor_b64 s[30:31], exec, s[36:37]
; %bb.676:                              ;   in Loop: Header=BB8_303 Depth=3
	v_bfe_u32 v18, v19, 16, 1
	v_add3_u32 v18, v19, v18, s92
                                        ; implicit-def: $vgpr19
; %bb.677:                              ;   in Loop: Header=BB8_303 Depth=3
	s_andn2_saveexec_b64 s[36:37], s[30:31]
; %bb.678:                              ;   in Loop: Header=BB8_303 Depth=3
	v_or_b32_e32 v18, 0x10000, v19
	v_cmp_eq_u32_sdwa s[30:31], v19, v42 src0_sel:WORD_0 src1_sel:DWORD
	v_cndmask_b32_e64 v18, v18, v19, s[30:31]
; %bb.679:                              ;   in Loop: Header=BB8_303 Depth=3
	s_or_b64 exec, exec, s[36:37]
	v_and_b32_e32 v11, 0xffff0000, v11
	v_and_b32_e32 v16, 0xffff0000, v16
	v_max_f32_e32 v16, v16, v16
	v_max_f32_e32 v11, v11, v11
	v_min_f32_e32 v19, v11, v16
	v_max_f32_e32 v11, v11, v16
	v_cndmask_b32_e32 v16, v11, v19, vcc
	v_and_b32_e32 v11, 0x7f800000, v16
	v_cmp_ne_u32_e64 s[30:31], s91, v11
                                        ; implicit-def: $vgpr11
	s_and_saveexec_b64 s[36:37], s[30:31]
	s_xor_b64 s[30:31], exec, s[36:37]
; %bb.680:                              ;   in Loop: Header=BB8_303 Depth=3
	v_bfe_u32 v11, v16, 16, 1
	v_add3_u32 v11, v16, v11, s92
                                        ; implicit-def: $vgpr16
; %bb.681:                              ;   in Loop: Header=BB8_303 Depth=3
	s_andn2_saveexec_b64 s[36:37], s[30:31]
; %bb.682:                              ;   in Loop: Header=BB8_303 Depth=3
	v_or_b32_e32 v11, 0x10000, v16
	v_cmp_eq_u32_sdwa s[30:31], v16, v42 src0_sel:WORD_0 src1_sel:DWORD
	v_cndmask_b32_e64 v11, v11, v16, s[30:31]
; %bb.683:                              ;   in Loop: Header=BB8_303 Depth=3
	s_or_b64 exec, exec, s[36:37]
	v_lshlrev_b32_e32 v16, 16, v1
	v_lshlrev_b32_e32 v19, 16, v5
	v_max_f32_e32 v19, v19, v19
	v_max_f32_e32 v16, v16, v16
	v_min_f32_e32 v20, v16, v19
	v_max_f32_e32 v16, v16, v19
	v_cndmask_b32_e32 v19, v16, v20, vcc
	v_and_b32_e32 v16, 0x7f800000, v19
	v_cmp_ne_u32_e64 s[30:31], s91, v16
                                        ; implicit-def: $vgpr16
	s_and_saveexec_b64 s[36:37], s[30:31]
	s_xor_b64 s[30:31], exec, s[36:37]
; %bb.684:                              ;   in Loop: Header=BB8_303 Depth=3
	v_bfe_u32 v16, v19, 16, 1
	v_add3_u32 v16, v19, v16, s92
                                        ; implicit-def: $vgpr19
; %bb.685:                              ;   in Loop: Header=BB8_303 Depth=3
	s_andn2_saveexec_b64 s[36:37], s[30:31]
; %bb.686:                              ;   in Loop: Header=BB8_303 Depth=3
	v_or_b32_e32 v16, 0x10000, v19
	v_cmp_eq_u32_sdwa s[30:31], v19, v42 src0_sel:WORD_0 src1_sel:DWORD
	v_cndmask_b32_e64 v16, v16, v19, s[30:31]
; %bb.687:                              ;   in Loop: Header=BB8_303 Depth=3
	s_or_b64 exec, exec, s[36:37]
	v_and_b32_e32 v1, 0xffff0000, v1
	v_and_b32_e32 v5, 0xffff0000, v5
	v_max_f32_e32 v5, v5, v5
	v_max_f32_e32 v1, v1, v1
	v_min_f32_e32 v19, v1, v5
	v_max_f32_e32 v1, v1, v5
	v_cndmask_b32_e32 v5, v1, v19, vcc
	v_and_b32_e32 v1, 0x7f800000, v5
	v_cmp_ne_u32_e32 vcc, s91, v1
                                        ; implicit-def: $vgpr1
	s_and_saveexec_b64 s[30:31], vcc
	s_xor_b64 vcc, exec, s[30:31]
; %bb.688:                              ;   in Loop: Header=BB8_303 Depth=3
	v_bfe_u32 v1, v5, 16, 1
	v_add3_u32 v1, v5, v1, s92
                                        ; implicit-def: $vgpr5
; %bb.689:                              ;   in Loop: Header=BB8_303 Depth=3
	s_andn2_saveexec_b64 s[30:31], vcc
; %bb.690:                              ;   in Loop: Header=BB8_303 Depth=3
	v_or_b32_e32 v1, 0x10000, v5
	v_cmp_eq_u32_sdwa vcc, v5, v42 src0_sel:WORD_0 src1_sel:DWORD
	v_cndmask_b32_e32 v1, v1, v5, vcc
; %bb.691:                              ;   in Loop: Header=BB8_303 Depth=3
	s_or_b64 exec, exec, s[30:31]
	v_lshrrev_b32_e32 v0, 16, v0
	v_and_or_b32 v20, v8, s93, v0
	v_lshrrev_b32_e32 v0, 16, v18
	v_lshrrev_b32_e32 v5, 16, v9
	v_and_or_b32 v22, v11, s93, v0
	v_lshrrev_b32_e32 v0, 16, v16
	v_and_or_b32 v21, v17, s93, v5
	v_and_or_b32 v23, v1, s93, v0
	global_store_dwordx4 v[2:3], v[20:23], off glc slc
.LBB8_692:                              ;   in Loop: Header=BB8_303 Depth=3
	s_or_b64 exec, exec, s[34:35]
	v_and_b32_e32 v1, 14, v38
	v_cndmask_b32_e64 v38, v14, v1, s[28:29]
	v_cmp_ne_u32_e32 vcc, 0, v38
	s_mov_b64 s[30:31], s[58:59]
                                        ; implicit-def: $vgpr16
                                        ; implicit-def: $vgpr17
                                        ; implicit-def: $vgpr0
	s_and_saveexec_b64 s[34:35], vcc
	s_cbranch_execz .LBB8_694
; %bb.693:                              ;   in Loop: Header=BB8_303 Depth=3
	v_sub_u32_e32 v0, v14, v1
	v_cndmask_b32_e64 v0, 0, v0, s[28:29]
	v_add3_u32 v16, v13, v10, v0
	v_cmp_lt_i32_e32 vcc, 0, v15
	v_accvgpr_read_b32 v0, a20
	v_cndmask_b32_e32 v0, 0, v0, vcc
	v_sub_u32_e32 v0, v0, v15
	v_lshl_add_u32 v1, v0, 6, v12
	v_ashrrev_i32_e32 v0, 31, v1
	v_lshrrev_b32_e32 v0, 26, v0
	v_add_u32_e32 v2, v1, v0
	v_ashrrev_i32_e32 v0, 6, v2
	v_and_b32_e32 v2, 0xffffffc0, v2
	v_sub_u32_e32 v17, v1, v2
	s_or_b64 s[30:31], s[58:59], exec
.LBB8_694:                              ;   in Loop: Header=BB8_303 Depth=3
	s_or_b64 exec, exec, s[34:35]
	s_andn2_b64 s[28:29], s[58:59], exec
	s_and_b64 vcc, s[30:31], exec
	s_or_b64 s[58:59], s[28:29], vcc
	v_mov_b32_e32 v12, v26
.LBB8_695:                              ;   in Loop: Header=BB8_303 Depth=3
	s_or_b64 exec, exec, s[60:61]
	s_and_saveexec_b64 s[36:37], s[58:59]
	s_cbranch_execz .LBB8_781
.LBB8_696:                              ;   in Loop: Header=BB8_303 Depth=3
	v_lshlrev_b32_e32 v1, 9, v0
	v_lshlrev_b32_e32 v2, 1, v17
	v_add3_u32 v10, v16, v2, v1
	s_trap 2
	ds_read_b64 v[2:3], v0
	v_ashrrev_i32_e32 v1, 31, v38
	v_lshrrev_b32_e32 v1, 23, v1
	v_add_u32_e32 v1, v38, v1
	v_ashrrev_i32_e32 v13, 9, v1
	v_ashrrev_i32_e32 v11, 31, v10
	v_sub_u32_e32 v14, v13, v0
	s_waitcnt lgkmcnt(0)
	v_add_co_u32_e32 v0, vcc, v2, v10
	v_addc_co_u32_e32 v1, vcc, v3, v11, vcc
	v_cmp_lt_i32_e32 vcc, 0, v14
	s_mov_b64 s[28:29], 0
	v_mov_b32_e32 v9, 0
	v_mov_b32_e32 v23, 0
	;; [unrolled: 1-line block ×8, first 2 shown]
	s_and_saveexec_b64 s[30:31], vcc
	s_cbranch_execz .LBB8_736
; %bb.697:                              ;   in Loop: Header=BB8_303 Depth=3
	s_trap 2
	ds_read_b128 v[18:21], v0
	v_cmp_eq_u16_sdwa s[28:29], v12, v42 src0_sel:BYTE_0 src1_sel:DWORD
	s_mov_b64 s[60:61], 0
	s_mov_b64 s[58:59], 0
                                        ; implicit-def: $sgpr34_sgpr35
                                        ; implicit-def: $vgpr27
                                        ; implicit-def: $vgpr25
                                        ; implicit-def: $vgpr22
                                        ; implicit-def: $vgpr15
	s_waitcnt lgkmcnt(0)
	v_add_co_u32_e32 v8, vcc, v18, v10
	v_addc_co_u32_e32 v9, vcc, v19, v11, vcc
	v_add_co_u32_e32 v10, vcc, v20, v10
	v_addc_co_u32_e32 v11, vcc, v21, v11, vcc
                                        ; implicit-def: $vgpr21
                                        ; implicit-def: $vgpr18
                                        ; implicit-def: $vgpr19
                                        ; implicit-def: $vgpr20
	s_branch .LBB8_699
.LBB8_698:                              ;   in Loop: Header=BB8_699 Depth=4
	s_or_b64 exec, exec, s[62:63]
	v_accvgpr_read_b32 v24, a44
	flat_store_short_d16_hi v[0:1], v29 glc slc
	flat_store_short_d16_hi v[0:1], v30 offset:128 glc slc
	flat_store_short_d16_hi v[0:1], v5 offset:256 glc slc
	;; [unrolled: 1-line block ×3, first 2 shown]
	v_add_co_u32_e32 v5, vcc, v8, v24
	v_accvgpr_read_b32 v29, a45
	v_addc_co_u32_e32 v23, vcc, v9, v29, vcc
	v_add_co_u32_e32 v24, vcc, v10, v24
	v_addc_co_u32_e32 v26, vcc, v11, v29, vcc
	v_accvgpr_read_b32 v29, a46
	v_mov_b32_e32 v30, 0x200
	v_accvgpr_read_b32 v28, a47
	v_cndmask_b32_e64 v29, v30, v29, s[60:61]
	v_cndmask_b32_e64 v10, v10, v24, s[60:61]
	v_accvgpr_read_b32 v24, a20
	v_cndmask_b32_e64 v28, 0, v28, s[60:61]
	v_add_co_u32_e32 v0, vcc, v0, v29
	v_cndmask_b32_e64 v8, v8, v5, s[60:61]
	v_cndmask_b32_e64 v5, 0, v24, s[60:61]
	v_addc_co_u32_e32 v1, vcc, v1, v28, vcc
	v_sub_u32_e32 v14, v14, v5
	v_cmp_gt_i32_e32 vcc, 1, v14
	s_or_b64 s[58:59], vcc, s[58:59]
	s_andn2_b64 vcc, s[34:35], exec
	s_and_b64 s[34:35], s[60:61], exec
	v_cndmask_b32_e64 v9, v9, v23, s[60:61]
	v_cndmask_b32_e64 v11, v11, v26, s[60:61]
	s_or_b64 s[34:35], vcc, s[34:35]
	s_andn2_b64 exec, exec, s[58:59]
	s_cbranch_execz .LBB8_735
.LBB8_699:                              ;   Parent Loop BB8_47 Depth=1
                                        ;     Parent Loop BB8_300 Depth=2
                                        ;       Parent Loop BB8_303 Depth=3
                                        ; =>      This Inner Loop Header: Depth=4
	flat_load_ushort v29, v[8:9] glc slc
	flat_load_ushort v30, v[8:9] offset:128 glc slc
	flat_load_ushort v5, v[8:9] offset:256 glc slc
	;; [unrolled: 1-line block ×3, first 2 shown]
	flat_load_ushort v32, v[10:11] glc slc
	flat_load_ushort v31, v[10:11] offset:128 glc slc
	flat_load_ushort v26, v[10:11] offset:256 glc slc
	;; [unrolled: 1-line block ×3, first 2 shown]
	s_and_saveexec_b64 s[62:63], s[60:61]
	s_cbranch_execz .LBB8_717
; %bb.700:                              ;   in Loop: Header=BB8_699 Depth=4
	v_lshlrev_b32_e32 v27, 16, v27
	v_lshlrev_b32_e32 v28, 16, v15
	v_max_f32_e32 v28, v28, v28
	v_max_f32_e32 v27, v27, v27
	v_min_f32_e32 v33, v27, v28
	v_max_f32_e32 v27, v27, v28
	v_cndmask_b32_e64 v28, v27, v33, s[28:29]
	v_and_b32_e32 v27, 0x7f800000, v28
	v_cmp_ne_u32_e32 vcc, s91, v27
                                        ; implicit-def: $vgpr27
	s_and_saveexec_b64 s[60:61], vcc
	s_xor_b64 vcc, exec, s[60:61]
; %bb.701:                              ;   in Loop: Header=BB8_699 Depth=4
	v_bfe_u32 v27, v28, 16, 1
	v_add3_u32 v27, v28, v27, s92
                                        ; implicit-def: $vgpr28
; %bb.702:                              ;   in Loop: Header=BB8_699 Depth=4
	s_andn2_saveexec_b64 s[60:61], vcc
; %bb.703:                              ;   in Loop: Header=BB8_699 Depth=4
	v_or_b32_e32 v27, 0x10000, v28
	v_cmp_eq_u32_sdwa vcc, v28, v42 src0_sel:WORD_0 src1_sel:DWORD
	v_cndmask_b32_e32 v27, v27, v28, vcc
; %bb.704:                              ;   in Loop: Header=BB8_699 Depth=4
	s_or_b64 exec, exec, s[60:61]
	v_lshlrev_b32_e32 v25, 16, v25
	v_lshlrev_b32_e32 v28, 16, v18
	v_max_f32_e32 v28, v28, v28
	v_max_f32_e32 v25, v25, v25
	v_min_f32_e32 v33, v25, v28
	v_max_f32_e32 v25, v25, v28
	v_cndmask_b32_e64 v28, v25, v33, s[28:29]
	v_and_b32_e32 v25, 0x7f800000, v28
	v_cmp_ne_u32_e32 vcc, s91, v25
                                        ; implicit-def: $vgpr25
	s_and_saveexec_b64 s[60:61], vcc
	s_xor_b64 vcc, exec, s[60:61]
; %bb.705:                              ;   in Loop: Header=BB8_699 Depth=4
	v_bfe_u32 v25, v28, 16, 1
	v_add3_u32 v25, v28, v25, s92
                                        ; implicit-def: $vgpr28
; %bb.706:                              ;   in Loop: Header=BB8_699 Depth=4
	s_andn2_saveexec_b64 s[60:61], vcc
; %bb.707:                              ;   in Loop: Header=BB8_699 Depth=4
	v_or_b32_e32 v25, 0x10000, v28
	v_cmp_eq_u32_sdwa vcc, v28, v42 src0_sel:WORD_0 src1_sel:DWORD
	v_cndmask_b32_e32 v25, v25, v28, vcc
; %bb.708:                              ;   in Loop: Header=BB8_699 Depth=4
	s_or_b64 exec, exec, s[60:61]
	v_lshlrev_b32_e32 v22, 16, v22
	v_lshlrev_b32_e32 v28, 16, v19
	v_max_f32_e32 v28, v28, v28
	v_max_f32_e32 v22, v22, v22
	v_min_f32_e32 v33, v22, v28
	v_max_f32_e32 v22, v22, v28
	v_cndmask_b32_e64 v28, v22, v33, s[28:29]
	v_and_b32_e32 v22, 0x7f800000, v28
	v_cmp_ne_u32_e32 vcc, s91, v22
                                        ; implicit-def: $vgpr22
	s_and_saveexec_b64 s[60:61], vcc
	s_xor_b64 vcc, exec, s[60:61]
; %bb.709:                              ;   in Loop: Header=BB8_699 Depth=4
	v_bfe_u32 v22, v28, 16, 1
	v_add3_u32 v22, v28, v22, s92
                                        ; implicit-def: $vgpr28
; %bb.710:                              ;   in Loop: Header=BB8_699 Depth=4
	s_andn2_saveexec_b64 s[60:61], vcc
; %bb.711:                              ;   in Loop: Header=BB8_699 Depth=4
	v_or_b32_e32 v22, 0x10000, v28
	v_cmp_eq_u32_sdwa vcc, v28, v42 src0_sel:WORD_0 src1_sel:DWORD
	v_cndmask_b32_e32 v22, v22, v28, vcc
; %bb.712:                              ;   in Loop: Header=BB8_699 Depth=4
	s_or_b64 exec, exec, s[60:61]
	v_lshlrev_b32_e32 v21, 16, v21
	v_lshlrev_b32_e32 v28, 16, v20
	v_max_f32_e32 v28, v28, v28
	v_max_f32_e32 v21, v21, v21
	v_min_f32_e32 v33, v21, v28
	v_max_f32_e32 v21, v21, v28
	v_cndmask_b32_e64 v28, v21, v33, s[28:29]
	v_and_b32_e32 v21, 0x7f800000, v28
	v_cmp_ne_u32_e32 vcc, s91, v21
                                        ; implicit-def: $vgpr21
	s_and_saveexec_b64 s[60:61], vcc
	s_xor_b64 vcc, exec, s[60:61]
; %bb.713:                              ;   in Loop: Header=BB8_699 Depth=4
	v_bfe_u32 v21, v28, 16, 1
	v_add3_u32 v21, v28, v21, s92
                                        ; implicit-def: $vgpr28
; %bb.714:                              ;   in Loop: Header=BB8_699 Depth=4
	s_andn2_saveexec_b64 s[60:61], vcc
; %bb.715:                              ;   in Loop: Header=BB8_699 Depth=4
	v_or_b32_e32 v21, 0x10000, v28
	v_cmp_eq_u32_sdwa vcc, v28, v42 src0_sel:WORD_0 src1_sel:DWORD
	v_cndmask_b32_e32 v21, v21, v28, vcc
; %bb.716:                              ;   in Loop: Header=BB8_699 Depth=4
	s_or_b64 exec, exec, s[60:61]
	v_lshrrev_b32_e32 v27, 16, v27
	v_accvgpr_read_b32 v28, a46
	v_lshrrev_b32_e32 v22, 16, v22
	v_lshrrev_b32_e32 v25, 16, v25
	;; [unrolled: 1-line block ×3, first 2 shown]
	flat_store_short v[0:1], v27 glc slc
	flat_store_short v[0:1], v25 offset:128 glc slc
	flat_store_short v[0:1], v22 offset:256 glc slc
	;; [unrolled: 1-line block ×3, first 2 shown]
	v_add_co_u32_e32 v0, vcc, v0, v28
	v_accvgpr_read_b32 v28, a47
	v_addc_co_u32_e32 v1, vcc, v1, v28, vcc
.LBB8_717:                              ;   in Loop: Header=BB8_699 Depth=4
	s_or_b64 exec, exec, s[62:63]
	v_accvgpr_read_b32 v28, a46
	v_add_co_u32_e32 v8, vcc, v8, v28
	v_accvgpr_read_b32 v33, a47
	v_addc_co_u32_e32 v9, vcc, v9, v33, vcc
	v_add_co_u32_e32 v10, vcc, v10, v28
	v_accvgpr_read_b32 v28, a20
	v_sub_u32_e32 v14, v14, v28
	v_addc_co_u32_e32 v11, vcc, v11, v33, vcc
	v_cmp_lt_i32_e64 s[60:61], 0, v14
	s_and_saveexec_b64 s[62:63], s[60:61]
	s_cbranch_execz .LBB8_719
; %bb.718:                              ;   in Loop: Header=BB8_699 Depth=4
	flat_load_ushort v27, v[8:9] glc slc
	flat_load_ushort v25, v[8:9] offset:128 glc slc
	flat_load_ushort v22, v[8:9] offset:256 glc slc
	;; [unrolled: 1-line block ×3, first 2 shown]
	flat_load_ushort v15, v[10:11] glc slc
	flat_load_ushort v18, v[10:11] offset:128 glc slc
	flat_load_ushort v19, v[10:11] offset:256 glc slc
	;; [unrolled: 1-line block ×3, first 2 shown]
	v_add_co_u32_e32 v8, vcc, 0x200, v8
	v_addc_co_u32_e32 v9, vcc, 0, v9, vcc
	v_add_co_u32_e32 v10, vcc, 0x200, v10
	v_addc_co_u32_e32 v11, vcc, 0, v11, vcc
.LBB8_719:                              ;   in Loop: Header=BB8_699 Depth=4
	s_or_b64 exec, exec, s[62:63]
	s_waitcnt vmcnt(0) lgkmcnt(0)
	v_lshlrev_b32_e32 v28, 16, v29
	v_lshlrev_b32_e32 v29, 16, v32
	v_max_f32_e32 v29, v29, v29
	v_max_f32_e32 v28, v28, v28
	v_min_f32_e32 v32, v28, v29
	v_max_f32_e32 v28, v28, v29
	v_cndmask_b32_e64 v28, v28, v32, s[28:29]
	v_and_b32_e32 v29, 0x7f800000, v28
	v_cmp_ne_u32_e32 vcc, s91, v29
                                        ; implicit-def: $vgpr29
	s_and_saveexec_b64 s[62:63], vcc
	s_xor_b64 vcc, exec, s[62:63]
; %bb.720:                              ;   in Loop: Header=BB8_699 Depth=4
	v_bfe_u32 v29, v28, 16, 1
	v_add3_u32 v29, v28, v29, s92
                                        ; implicit-def: $vgpr28
; %bb.721:                              ;   in Loop: Header=BB8_699 Depth=4
	s_andn2_saveexec_b64 s[62:63], vcc
; %bb.722:                              ;   in Loop: Header=BB8_699 Depth=4
	v_or_b32_e32 v29, 0x10000, v28
	v_cmp_eq_u32_sdwa vcc, v28, v42 src0_sel:WORD_0 src1_sel:DWORD
	v_cndmask_b32_e32 v29, v29, v28, vcc
; %bb.723:                              ;   in Loop: Header=BB8_699 Depth=4
	s_or_b64 exec, exec, s[62:63]
	v_lshlrev_b32_e32 v28, 16, v30
	v_lshlrev_b32_e32 v30, 16, v31
	v_max_f32_e32 v30, v30, v30
	v_max_f32_e32 v28, v28, v28
	v_min_f32_e32 v31, v28, v30
	v_max_f32_e32 v28, v28, v30
	v_cndmask_b32_e64 v28, v28, v31, s[28:29]
	v_and_b32_e32 v30, 0x7f800000, v28
	v_cmp_ne_u32_e32 vcc, s91, v30
                                        ; implicit-def: $vgpr30
	s_and_saveexec_b64 s[62:63], vcc
	s_xor_b64 vcc, exec, s[62:63]
; %bb.724:                              ;   in Loop: Header=BB8_699 Depth=4
	v_bfe_u32 v30, v28, 16, 1
	v_add3_u32 v30, v28, v30, s92
                                        ; implicit-def: $vgpr28
; %bb.725:                              ;   in Loop: Header=BB8_699 Depth=4
	s_andn2_saveexec_b64 s[62:63], vcc
; %bb.726:                              ;   in Loop: Header=BB8_699 Depth=4
	v_or_b32_e32 v30, 0x10000, v28
	v_cmp_eq_u32_sdwa vcc, v28, v42 src0_sel:WORD_0 src1_sel:DWORD
	v_cndmask_b32_e32 v30, v30, v28, vcc
; %bb.727:                              ;   in Loop: Header=BB8_699 Depth=4
	s_or_b64 exec, exec, s[62:63]
	v_lshlrev_b32_e32 v5, 16, v5
	v_lshlrev_b32_e32 v26, 16, v26
	v_max_f32_e32 v26, v26, v26
	v_max_f32_e32 v5, v5, v5
	v_min_f32_e32 v28, v5, v26
	v_max_f32_e32 v5, v5, v26
	v_cndmask_b32_e64 v26, v5, v28, s[28:29]
	v_and_b32_e32 v5, 0x7f800000, v26
	v_cmp_ne_u32_e32 vcc, s91, v5
                                        ; implicit-def: $vgpr5
	s_and_saveexec_b64 s[62:63], vcc
	s_xor_b64 vcc, exec, s[62:63]
; %bb.728:                              ;   in Loop: Header=BB8_699 Depth=4
	v_bfe_u32 v5, v26, 16, 1
	v_add3_u32 v5, v26, v5, s92
                                        ; implicit-def: $vgpr26
; %bb.729:                              ;   in Loop: Header=BB8_699 Depth=4
	s_andn2_saveexec_b64 s[62:63], vcc
; %bb.730:                              ;   in Loop: Header=BB8_699 Depth=4
	v_or_b32_e32 v5, 0x10000, v26
	v_cmp_eq_u32_sdwa vcc, v26, v42 src0_sel:WORD_0 src1_sel:DWORD
	v_cndmask_b32_e32 v5, v5, v26, vcc
; %bb.731:                              ;   in Loop: Header=BB8_699 Depth=4
	s_or_b64 exec, exec, s[62:63]
	v_lshlrev_b32_e32 v23, 16, v23
	v_lshlrev_b32_e32 v24, 16, v24
	v_max_f32_e32 v24, v24, v24
	v_max_f32_e32 v23, v23, v23
	v_min_f32_e32 v26, v23, v24
	v_max_f32_e32 v23, v23, v24
	v_cndmask_b32_e64 v24, v23, v26, s[28:29]
	v_and_b32_e32 v23, 0x7f800000, v24
	v_cmp_ne_u32_e32 vcc, s91, v23
                                        ; implicit-def: $vgpr23
	s_and_saveexec_b64 s[62:63], vcc
	s_xor_b64 vcc, exec, s[62:63]
; %bb.732:                              ;   in Loop: Header=BB8_699 Depth=4
	v_bfe_u32 v23, v24, 16, 1
	v_add3_u32 v23, v24, v23, s92
                                        ; implicit-def: $vgpr24
; %bb.733:                              ;   in Loop: Header=BB8_699 Depth=4
	s_andn2_saveexec_b64 s[62:63], vcc
	s_cbranch_execz .LBB8_698
; %bb.734:                              ;   in Loop: Header=BB8_699 Depth=4
	v_or_b32_e32 v23, 0x10000, v24
	v_cmp_eq_u32_sdwa vcc, v24, v42 src0_sel:WORD_0 src1_sel:DWORD
	v_cndmask_b32_e32 v23, v23, v24, vcc
	s_branch .LBB8_698
.LBB8_735:                              ;   in Loop: Header=BB8_303 Depth=3
	s_or_b64 exec, exec, s[58:59]
	v_lshlrev_b32_e32 v9, 16, v27
	v_lshlrev_b32_e32 v26, 16, v15
	;; [unrolled: 1-line block ×8, first 2 shown]
	s_and_b64 s[28:29], s[34:35], exec
.LBB8_736:                              ;   in Loop: Header=BB8_303 Depth=3
	s_or_b64 exec, exec, s[30:31]
	s_and_saveexec_b64 s[30:31], s[28:29]
	s_cbranch_execz .LBB8_754
; %bb.737:                              ;   in Loop: Header=BB8_303 Depth=3
	v_max_f32_e32 v10, v26, v26
	v_max_f32_e32 v9, v9, v9
	v_min_f32_e32 v11, v9, v10
	v_max_f32_e32 v9, v9, v10
	v_cmp_eq_u16_sdwa vcc, v12, v42 src0_sel:BYTE_0 src1_sel:DWORD
	v_cndmask_b32_e32 v10, v9, v11, vcc
	v_and_b32_e32 v9, 0x7f800000, v10
	v_cmp_ne_u32_e64 s[28:29], s91, v9
                                        ; implicit-def: $vgpr9
	s_and_saveexec_b64 s[34:35], s[28:29]
	s_xor_b64 s[28:29], exec, s[34:35]
; %bb.738:                              ;   in Loop: Header=BB8_303 Depth=3
	v_bfe_u32 v9, v10, 16, 1
	v_add3_u32 v9, v10, v9, s92
                                        ; implicit-def: $vgpr10
; %bb.739:                              ;   in Loop: Header=BB8_303 Depth=3
	s_andn2_saveexec_b64 s[34:35], s[28:29]
; %bb.740:                              ;   in Loop: Header=BB8_303 Depth=3
	v_or_b32_e32 v9, 0x10000, v10
	v_cmp_eq_u32_sdwa s[28:29], v10, v42 src0_sel:WORD_0 src1_sel:DWORD
	v_cndmask_b32_e64 v9, v9, v10, s[28:29]
; %bb.741:                              ;   in Loop: Header=BB8_303 Depth=3
	s_or_b64 exec, exec, s[34:35]
	v_max_f32_e32 v10, v24, v24
	v_max_f32_e32 v11, v23, v23
	v_min_f32_e32 v19, v11, v10
	v_max_f32_e32 v10, v11, v10
	v_cndmask_b32_e32 v11, v10, v19, vcc
	v_and_b32_e32 v10, 0x7f800000, v11
	v_cmp_ne_u32_e64 s[28:29], s91, v10
                                        ; implicit-def: $vgpr10
	s_and_saveexec_b64 s[34:35], s[28:29]
	s_xor_b64 s[28:29], exec, s[34:35]
; %bb.742:                              ;   in Loop: Header=BB8_303 Depth=3
	v_bfe_u32 v10, v11, 16, 1
	v_add3_u32 v10, v11, v10, s92
                                        ; implicit-def: $vgpr11
; %bb.743:                              ;   in Loop: Header=BB8_303 Depth=3
	s_andn2_saveexec_b64 s[34:35], s[28:29]
; %bb.744:                              ;   in Loop: Header=BB8_303 Depth=3
	v_or_b32_e32 v10, 0x10000, v11
	v_cmp_eq_u32_sdwa s[28:29], v11, v42 src0_sel:WORD_0 src1_sel:DWORD
	v_cndmask_b32_e64 v10, v10, v11, s[28:29]
; %bb.745:                              ;   in Loop: Header=BB8_303 Depth=3
	s_or_b64 exec, exec, s[34:35]
	v_max_f32_e32 v11, v18, v18
	v_max_f32_e32 v15, v15, v15
	v_min_f32_e32 v18, v15, v11
	v_max_f32_e32 v11, v15, v11
	v_cndmask_b32_e32 v15, v11, v18, vcc
	v_and_b32_e32 v11, 0x7f800000, v15
	v_cmp_ne_u32_e64 s[28:29], s91, v11
                                        ; implicit-def: $vgpr11
	s_and_saveexec_b64 s[34:35], s[28:29]
	s_xor_b64 s[28:29], exec, s[34:35]
; %bb.746:                              ;   in Loop: Header=BB8_303 Depth=3
	v_bfe_u32 v11, v15, 16, 1
	v_add3_u32 v11, v15, v11, s92
                                        ; implicit-def: $vgpr15
; %bb.747:                              ;   in Loop: Header=BB8_303 Depth=3
	s_andn2_saveexec_b64 s[34:35], s[28:29]
; %bb.748:                              ;   in Loop: Header=BB8_303 Depth=3
	v_or_b32_e32 v11, 0x10000, v15
	v_cmp_eq_u32_sdwa s[28:29], v15, v42 src0_sel:WORD_0 src1_sel:DWORD
	v_cndmask_b32_e64 v11, v11, v15, s[28:29]
; %bb.749:                              ;   in Loop: Header=BB8_303 Depth=3
	s_or_b64 exec, exec, s[34:35]
	v_max_f32_e32 v8, v8, v8
	v_max_f32_e32 v5, v5, v5
	v_min_f32_e32 v15, v5, v8
	v_max_f32_e32 v5, v5, v8
	v_cndmask_b32_e32 v8, v5, v15, vcc
	v_and_b32_e32 v5, 0x7f800000, v8
	v_cmp_ne_u32_e32 vcc, s91, v5
                                        ; implicit-def: $vgpr5
	s_and_saveexec_b64 s[28:29], vcc
	s_xor_b64 s[28:29], exec, s[28:29]
; %bb.750:                              ;   in Loop: Header=BB8_303 Depth=3
	v_bfe_u32 v5, v8, 16, 1
	v_add3_u32 v5, v8, v5, s92
                                        ; implicit-def: $vgpr8
; %bb.751:                              ;   in Loop: Header=BB8_303 Depth=3
	s_andn2_saveexec_b64 s[28:29], s[28:29]
; %bb.752:                              ;   in Loop: Header=BB8_303 Depth=3
	v_or_b32_e32 v5, 0x10000, v8
	v_cmp_eq_u32_sdwa vcc, v8, v42 src0_sel:WORD_0 src1_sel:DWORD
	v_cndmask_b32_e32 v5, v5, v8, vcc
; %bb.753:                              ;   in Loop: Header=BB8_303 Depth=3
	s_or_b64 exec, exec, s[28:29]
	flat_store_short_d16_hi v[0:1], v9 glc slc
	flat_store_short_d16_hi v[0:1], v10 offset:128 glc slc
	flat_store_short_d16_hi v[0:1], v11 offset:256 glc slc
	;; [unrolled: 1-line block ×3, first 2 shown]
.LBB8_754:                              ;   in Loop: Header=BB8_303 Depth=3
	s_or_b64 exec, exec, s[30:31]
	v_lshlrev_b32_e32 v0, 9, v13
	v_cmp_ne_u32_e32 vcc, v38, v0
	s_and_saveexec_b64 s[58:59], vcc
	s_cbranch_execz .LBB8_780
; %bb.755:                              ;   in Loop: Header=BB8_303 Depth=3
	v_lshlrev_b32_e32 v1, 6, v14
	v_sub_u32_e32 v1, v17, v1
	v_ashrrev_i32_e32 v5, 31, v1
	v_lshrrev_b32_e32 v5, 26, v5
	v_add_u32_e32 v5, v1, v5
	v_and_b32_e32 v8, 0x7fffffc0, v5
	v_sub_u32_e32 v1, v1, v8
	v_lshlrev_b32_e32 v5, 1, v5
	v_and_b32_e32 v5, 0xffffff80, v5
	v_lshlrev_b32_e32 v1, 1, v1
	v_add3_u32 v0, v5, v1, v0
	v_add_u32_e32 v8, v0, v16
	v_ashrrev_i32_e32 v1, 31, v8
	v_add_co_u32_e32 v10, vcc, v8, v2
	v_sub_u32_e32 v5, v38, v0
	v_addc_co_u32_e32 v11, vcc, v1, v3, vcc
	v_cmp_lt_i32_e32 vcc, 1, v5
	s_mov_b64 s[28:29], 0
	s_and_saveexec_b64 s[60:61], vcc
	s_cbranch_execz .LBB8_774
; %bb.756:                              ;   in Loop: Header=BB8_303 Depth=3
	s_trap 2
	ds_read_b128 v[14:17], v0
	v_cmp_eq_u16_sdwa s[28:29], v12, v42 src0_sel:BYTE_0 src1_sel:DWORD
	s_mov_b64 s[66:67], 0
	s_mov_b64 s[62:63], 0
                                        ; implicit-def: $sgpr64_sgpr65
	s_waitcnt lgkmcnt(0)
	v_add_co_u32_e32 v0, vcc, v14, v8
	v_addc_co_u32_e32 v9, vcc, v15, v1, vcc
	v_add_co_u32_e32 v2, vcc, v16, v8
	v_addc_co_u32_e32 v3, vcc, v17, v1, vcc
	s_branch .LBB8_758
.LBB8_757:                              ;   in Loop: Header=BB8_758 Depth=4
	s_or_b64 exec, exec, s[30:31]
	v_lshrrev_b32_e32 v5, 16, v8
	v_accvgpr_read_b32 v14, a34
	buffer_store_short v5, off, s[0:3], s33 offset:192
	flat_store_short v[10:11], v5 glc slc
	v_accvgpr_read_b32 v15, a35
	v_add_co_u32_e32 v5, vcc, v0, v14
	v_addc_co_u32_e32 v8, vcc, v9, v15, vcc
	v_add_co_u32_e32 v13, vcc, v2, v14
	v_accvgpr_read_b32 v16, a42
	v_mov_b32_e32 v17, 0x80
	v_addc_co_u32_e32 v14, vcc, v3, v15, vcc
	v_accvgpr_read_b32 v15, a43
	v_cndmask_b32_e64 v16, v17, v16, s[66:67]
	v_cndmask_b32_e64 v0, v0, v5, s[66:67]
	v_accvgpr_read_b32 v5, a31
	v_cndmask_b32_e64 v15, 0, v15, s[66:67]
	v_add_co_u32_e32 v10, vcc, v10, v16
	v_cndmask_b32_e64 v5, 0, v5, s[66:67]
	v_addc_co_u32_e32 v11, vcc, v11, v15, vcc
	v_sub_u32_e32 v5, v1, v5
	v_cmp_gt_i32_e32 vcc, 2, v5
	s_or_b64 s[62:63], vcc, s[62:63]
	s_andn2_b64 vcc, s[64:65], exec
	s_and_b64 s[30:31], s[66:67], exec
	v_cndmask_b32_e64 v3, v3, v14, s[66:67]
	v_cndmask_b32_e64 v2, v2, v13, s[66:67]
	;; [unrolled: 1-line block ×3, first 2 shown]
	s_or_b64 s[64:65], vcc, s[30:31]
	s_andn2_b64 exec, exec, s[62:63]
	s_cbranch_execz .LBB8_773
.LBB8_758:                              ;   Parent Loop BB8_47 Depth=1
                                        ;     Parent Loop BB8_300 Depth=2
                                        ;       Parent Loop BB8_303 Depth=3
                                        ; =>      This Loop Header: Depth=4
                                        ;           Child Loop BB8_759 Depth 5
                                        ;           Child Loop BB8_768 Depth 5
	v_lshrrev_b32_e64 v1, 6, s33
	v_add_u32_e32 v1, 0xc0, v1
	s_mov_b64 s[68:69], -1
	s_mov_b64 s[70:71], 0
.LBB8_759:                              ;   Parent Loop BB8_47 Depth=1
                                        ;     Parent Loop BB8_300 Depth=2
                                        ;       Parent Loop BB8_303 Depth=3
                                        ;         Parent Loop BB8_758 Depth=4
                                        ; =>        This Inner Loop Header: Depth=5
	s_cmp_eq_u32 s70, 1
	s_cselect_b64 s[30:31], -1, 0
	v_cndmask_b32_e64 v15, v9, v3, s[30:31]
	v_cndmask_b32_e64 v14, v0, v2, s[30:31]
	flat_load_ushort v8, v[14:15] glc slc
	v_add_co_u32_e32 v13, vcc, 0x80, v14
	s_cmp_eq_u32 s70, 0
	v_addc_co_u32_e32 v14, vcc, 0, v15, vcc
	s_cselect_b64 vcc, -1, 0
	s_and_b64 s[34:35], exec, s[68:69]
	s_mov_b64 s[70:71], 1
	v_cndmask_b32_e64 v2, v2, v13, s[30:31]
	s_mov_b64 s[68:69], 0
	v_cndmask_b32_e64 v3, v3, v14, s[30:31]
	v_cndmask_b32_e32 v9, v9, v14, vcc
	v_cndmask_b32_e32 v0, v0, v13, vcc
	s_mov_b64 vcc, s[34:35]
	s_waitcnt vmcnt(0) lgkmcnt(0)
	buffer_store_short v8, v1, s[0:3], 0 offen
	v_lshrrev_b32_e64 v1, 6, s33
	v_add_u32_e32 v1, 0xe0, v1
	s_cbranch_vccnz .LBB8_759
; %bb.760:                              ;   in Loop: Header=BB8_758 Depth=4
	s_and_saveexec_b64 s[30:31], s[66:67]
	s_cbranch_execz .LBB8_766
; %bb.761:                              ;   in Loop: Header=BB8_758 Depth=4
	buffer_load_ushort v1, off, s[0:3], s33 offset:188
	buffer_load_ushort v8, off, s[0:3], s33 offset:190
	s_waitcnt vmcnt(1)
	v_lshlrev_b32_e32 v1, 16, v1
	s_waitcnt vmcnt(0)
	v_lshlrev_b32_e32 v8, 16, v8
	v_max_f32_e32 v8, v8, v8
	v_max_f32_e32 v1, v1, v1
	v_min_f32_e32 v13, v1, v8
	v_max_f32_e32 v1, v1, v8
	v_cndmask_b32_e64 v1, v1, v13, s[28:29]
	v_and_b32_e32 v8, 0x7f800000, v1
	v_cmp_ne_u32_e32 vcc, s91, v8
                                        ; implicit-def: $vgpr8
	s_and_saveexec_b64 s[34:35], vcc
	s_xor_b64 vcc, exec, s[34:35]
; %bb.762:                              ;   in Loop: Header=BB8_758 Depth=4
	v_bfe_u32 v8, v1, 16, 1
	v_add3_u32 v8, v1, v8, s92
                                        ; implicit-def: $vgpr1
; %bb.763:                              ;   in Loop: Header=BB8_758 Depth=4
	s_andn2_saveexec_b64 s[34:35], vcc
; %bb.764:                              ;   in Loop: Header=BB8_758 Depth=4
	v_or_b32_e32 v8, 0x10000, v1
	v_cmp_eq_u32_sdwa vcc, v1, v42 src0_sel:WORD_0 src1_sel:DWORD
	v_cndmask_b32_e32 v8, v8, v1, vcc
; %bb.765:                              ;   in Loop: Header=BB8_758 Depth=4
	s_or_b64 exec, exec, s[34:35]
	v_lshrrev_b32_e32 v1, 16, v8
	buffer_store_short v1, off, s[0:3], s33 offset:188
	flat_store_short v[10:11], v1 glc slc
	v_accvgpr_read_b32 v1, a42
	v_add_co_u32_e32 v10, vcc, v10, v1
	v_accvgpr_read_b32 v1, a43
	v_addc_co_u32_e32 v11, vcc, v11, v1, vcc
.LBB8_766:                              ;   in Loop: Header=BB8_758 Depth=4
	s_or_b64 exec, exec, s[30:31]
	v_accvgpr_read_b32 v14, a34
	v_accvgpr_read_b32 v15, a35
	v_add_co_u32_e32 v0, vcc, v0, v14
	v_addc_co_u32_e32 v9, vcc, v9, v15, vcc
	v_accvgpr_read_b32 v1, a31
	v_add_co_u32_e32 v2, vcc, v2, v14
	v_sub_u32_e32 v1, v5, v1
	v_addc_co_u32_e32 v3, vcc, v3, v15, vcc
	v_cmp_lt_i32_e64 s[66:67], 1, v1
	s_and_saveexec_b64 s[68:69], s[66:67]
	s_cbranch_execz .LBB8_769
; %bb.767:                              ;   in Loop: Header=BB8_758 Depth=4
	v_lshrrev_b32_e64 v5, 6, s33
	v_add_u32_e32 v5, 0xbc, v5
	s_mov_b64 s[72:73], 0
	s_mov_b64 s[70:71], -1
.LBB8_768:                              ;   Parent Loop BB8_47 Depth=1
                                        ;     Parent Loop BB8_300 Depth=2
                                        ;       Parent Loop BB8_303 Depth=3
                                        ;         Parent Loop BB8_758 Depth=4
                                        ; =>        This Inner Loop Header: Depth=5
	s_cmp_eq_u32 s72, 1
	s_cselect_b64 s[30:31], -1, 0
	v_cndmask_b32_e64 v15, v9, v3, s[30:31]
	v_cndmask_b32_e64 v14, v0, v2, s[30:31]
	flat_load_ushort v8, v[14:15] glc slc
	v_add_co_u32_e32 v13, vcc, 0x80, v14
	s_cmp_eq_u32 s72, 0
	v_addc_co_u32_e32 v14, vcc, 0, v15, vcc
	s_cselect_b64 vcc, -1, 0
	s_and_b64 s[34:35], exec, s[70:71]
	s_mov_b64 s[72:73], 1
	v_cndmask_b32_e64 v2, v2, v13, s[30:31]
	s_mov_b64 s[70:71], 0
	v_cndmask_b32_e32 v9, v9, v14, vcc
	v_cndmask_b32_e32 v0, v0, v13, vcc
	v_cndmask_b32_e64 v3, v3, v14, s[30:31]
	s_mov_b64 vcc, s[34:35]
	s_waitcnt vmcnt(0) lgkmcnt(0)
	buffer_store_short v8, v5, s[0:3], 0 offen
	v_lshrrev_b32_e64 v5, 6, s33
	v_add_u32_e32 v5, 0xbe, v5
	s_cbranch_vccnz .LBB8_768
.LBB8_769:                              ;   in Loop: Header=BB8_758 Depth=4
	s_or_b64 exec, exec, s[68:69]
	buffer_load_ushort v5, off, s[0:3], s33 offset:192
	buffer_load_ushort v8, off, s[0:3], s33 offset:224
	s_waitcnt vmcnt(0)
	v_lshlrev_b32_e32 v5, 16, v5
	v_lshlrev_b32_e32 v8, 16, v8
	v_max_f32_e32 v8, v8, v8
	v_max_f32_e32 v5, v5, v5
	v_min_f32_e32 v13, v5, v8
	v_max_f32_e32 v5, v5, v8
	v_cndmask_b32_e64 v5, v5, v13, s[28:29]
	v_and_b32_e32 v8, 0x7f800000, v5
	v_cmp_ne_u32_e32 vcc, s91, v8
                                        ; implicit-def: $vgpr8
	s_and_saveexec_b64 s[30:31], vcc
	s_xor_b64 vcc, exec, s[30:31]
; %bb.770:                              ;   in Loop: Header=BB8_758 Depth=4
	v_bfe_u32 v8, v5, 16, 1
	v_add3_u32 v8, v5, v8, s92
                                        ; implicit-def: $vgpr5
; %bb.771:                              ;   in Loop: Header=BB8_758 Depth=4
	s_andn2_saveexec_b64 s[30:31], vcc
	s_cbranch_execz .LBB8_757
; %bb.772:                              ;   in Loop: Header=BB8_758 Depth=4
	v_or_b32_e32 v8, 0x10000, v5
	v_cmp_eq_u32_sdwa vcc, v5, v42 src0_sel:WORD_0 src1_sel:DWORD
	v_cndmask_b32_e32 v8, v8, v5, vcc
	s_branch .LBB8_757
.LBB8_773:                              ;   in Loop: Header=BB8_303 Depth=3
	s_or_b64 exec, exec, s[62:63]
	s_and_b64 s[28:29], s[64:65], exec
.LBB8_774:                              ;   in Loop: Header=BB8_303 Depth=3
	s_or_b64 exec, exec, s[60:61]
	s_and_b64 exec, exec, s[28:29]
	s_cbranch_execz .LBB8_780
; %bb.775:                              ;   in Loop: Header=BB8_303 Depth=3
	buffer_load_ushort v0, off, s[0:3], s33 offset:188
	buffer_load_ushort v1, off, s[0:3], s33 offset:190
	v_cmp_eq_u16_sdwa vcc, v12, v42 src0_sel:BYTE_0 src1_sel:DWORD
	s_waitcnt vmcnt(0)
	v_lshlrev_b32_e32 v0, 16, v0
	v_lshlrev_b32_e32 v1, 16, v1
	v_max_f32_e32 v1, v1, v1
	v_max_f32_e32 v0, v0, v0
	v_min_f32_e32 v2, v0, v1
	v_max_f32_e32 v0, v0, v1
	v_cndmask_b32_e32 v0, v0, v2, vcc
	v_and_b32_e32 v1, 0x7f800000, v0
	v_cmp_ne_u32_e32 vcc, s91, v1
                                        ; implicit-def: $vgpr1
	s_and_saveexec_b64 s[28:29], vcc
	s_xor_b64 s[28:29], exec, s[28:29]
; %bb.776:                              ;   in Loop: Header=BB8_303 Depth=3
	v_bfe_u32 v1, v0, 16, 1
	v_add3_u32 v1, v0, v1, s92
                                        ; implicit-def: $vgpr0
; %bb.777:                              ;   in Loop: Header=BB8_303 Depth=3
	s_andn2_saveexec_b64 s[28:29], s[28:29]
; %bb.778:                              ;   in Loop: Header=BB8_303 Depth=3
	v_or_b32_e32 v1, 0x10000, v0
	v_cmp_eq_u32_sdwa vcc, v0, v42 src0_sel:WORD_0 src1_sel:DWORD
	v_cndmask_b32_e32 v1, v1, v0, vcc
; %bb.779:                              ;   in Loop: Header=BB8_303 Depth=3
	s_or_b64 exec, exec, s[28:29]
	flat_store_short_d16_hi v[10:11], v1 glc slc
.LBB8_780:                              ;   in Loop: Header=BB8_303 Depth=3
	s_or_b64 exec, exec, s[58:59]
.LBB8_781:                              ;   in Loop: Header=BB8_303 Depth=3
	s_or_b64 exec, exec, s[36:37]
.LBB8_782:                              ;   in Loop: Header=BB8_303 Depth=3
	s_and_saveexec_b64 s[28:29], s[10:11]
	s_cbranch_execz .LBB8_801
; %bb.783:                              ;   in Loop: Header=BB8_303 Depth=3
	s_and_saveexec_b64 vcc, s[44:45]
	s_xor_b64 s[30:31], exec, vcc
	s_cbranch_execz .LBB8_798
; %bb.784:                              ;   in Loop: Header=BB8_303 Depth=3
	s_and_saveexec_b64 s[34:35], s[16:17]
	s_cbranch_execz .LBB8_797
; %bb.785:                              ;   in Loop: Header=BB8_303 Depth=3
	s_mov_b64 s[58:59], exec
	v_mbcnt_lo_u32_b32 v0, s58, 0
	v_mbcnt_hi_u32_b32 v0, s59, v0
	v_cmp_eq_u32_e32 vcc, 0, v0
	s_waitcnt vmcnt(0) lgkmcnt(0)
	buffer_wbinvl1_vol
	s_and_saveexec_b64 s[36:37], vcc
	s_cbranch_execz .LBB8_787
; %bb.786:                              ;   in Loop: Header=BB8_303 Depth=3
	s_bcnt1_i32_b64 vcc_lo, s[58:59]
	v_mov_b32_e32 v0, vcc_lo
	v_mov_b32_e32 v1, v42
	ds_add_u64 v0, v[0:1]
	s_trap 2
.LBB8_787:                              ;   in Loop: Header=BB8_303 Depth=3
	s_or_b64 exec, exec, s[36:37]
	s_trap 2
	ds_read_b64 v[0:1], v0
	v_accvgpr_read_b32 v2, a12
	v_accvgpr_read_b32 v8, a20
	;; [unrolled: 1-line block ×3, first 2 shown]
	v_add_co_u32_e32 v2, vcc, v2, v8
	v_addc_co_u32_e32 v3, vcc, 0, v3, vcc
	v_accvgpr_write_b32 a13, v3
	v_accvgpr_write_b32 a12, v2
	s_waitcnt lgkmcnt(0)
	v_cmp_lt_u64_e32 vcc, v[0:1], v[2:3]
	s_and_saveexec_b64 s[36:37], vcc
	s_cbranch_execz .LBB8_796
; %bb.788:                              ;   in Loop: Header=BB8_303 Depth=3
	s_mov_b32 s68, 0
	s_mov_b64 s[58:59], 0
                                        ; implicit-def: $sgpr60_sgpr61
                                        ; implicit-def: $sgpr62_sgpr63
	s_branch .LBB8_790
.LBB8_789:                              ;   in Loop: Header=BB8_790 Depth=4
	s_or_b64 exec, exec, s[66:67]
	s_and_b64 vcc, exec, vcc
	s_or_b64 s[58:59], vcc, s[58:59]
	s_andn2_b64 vcc, s[60:61], exec
	s_and_b64 s[60:61], s[62:63], exec
	s_or_b64 s[60:61], vcc, s[60:61]
	s_andn2_b64 exec, exec, s[58:59]
	s_cbranch_execz .LBB8_794
.LBB8_790:                              ;   Parent Loop BB8_47 Depth=1
                                        ;     Parent Loop BB8_300 Depth=2
                                        ;       Parent Loop BB8_303 Depth=3
                                        ; =>      This Inner Loop Header: Depth=4
	s_add_i32 s68, s68, 1
	s_cmpk_lg_i32 s68, 0x2710
	s_cselect_b64 s[64:65], -1, 0
	s_and_b64 vcc, exec, s[64:65]
                                        ; implicit-def: $sgpr66_sgpr67
	s_cbranch_vccnz .LBB8_792
; %bb.791:                              ;   in Loop: Header=BB8_790 Depth=4
	s_trap 2
	ds_read_b64 v[0:1], v0
	s_andn2_b64 s[64:65], s[64:65], exec
	s_mov_b32 s68, 0
	s_mov_b64 s[66:67], -1
	s_waitcnt lgkmcnt(0)
	flat_load_dword v0, v[0:1] glc
	s_waitcnt vmcnt(0) lgkmcnt(0)
	buffer_invl2
	buffer_wbinvl1_vol
	v_cmp_eq_u32_e32 vcc, 0, v0
	s_and_b64 vcc, vcc, exec
	s_or_b64 s[64:65], s[64:65], vcc
.LBB8_792:                              ;   in Loop: Header=BB8_790 Depth=4
	s_andn2_b64 s[62:63], s[62:63], exec
	s_and_b64 s[66:67], s[66:67], exec
	s_mov_b64 vcc, -1
	s_or_b64 s[62:63], s[62:63], s[66:67]
	s_and_saveexec_b64 s[66:67], s[64:65]
	s_cbranch_execz .LBB8_789
; %bb.793:                              ;   in Loop: Header=BB8_790 Depth=4
	s_sleep 1
	s_trap 2
	ds_read_b64 v[0:1], v0
	v_accvgpr_read_b32 v2, a12
	v_accvgpr_read_b32 v3, a13
	s_andn2_b64 s[62:63], s[62:63], exec
	s_waitcnt lgkmcnt(0)
	v_cmp_ge_u64_e32 vcc, v[0:1], v[2:3]
	s_orn2_b64 vcc, vcc, exec
	s_branch .LBB8_789
.LBB8_794:                              ;   in Loop: Header=BB8_303 Depth=3
	s_or_b64 exec, exec, s[58:59]
	s_and_saveexec_b64 vcc, s[60:61]
	s_xor_b64 vcc, exec, vcc
	s_cbranch_execz .LBB8_796
; %bb.795:                              ;   in Loop: Header=BB8_303 Depth=3
	v_mov_b32_e32 v0, 1
	ds_write_b32 v0, v0
	s_trap 2
.LBB8_796:                              ;   in Loop: Header=BB8_303 Depth=3
	s_or_b64 exec, exec, s[36:37]
	;;#ASMSTART
	s_wakeup
	;;#ASMEND
.LBB8_797:                              ;   in Loop: Header=BB8_303 Depth=3
	s_or_b64 exec, exec, s[34:35]
.LBB8_798:                              ;   in Loop: Header=BB8_303 Depth=3
	s_andn2_saveexec_b64 vcc, s[30:31]
	s_cbranch_execz .LBB8_800
; %bb.799:                              ;   in Loop: Header=BB8_303 Depth=3
	s_waitcnt vmcnt(0) lgkmcnt(0)
	buffer_wbinvl1_vol
	s_barrier
.LBB8_800:                              ;   in Loop: Header=BB8_303 Depth=3
	s_or_b64 exec, exec, vcc
.LBB8_801:                              ;   in Loop: Header=BB8_303 Depth=3
	s_or_b64 exec, exec, s[28:29]
	v_and_b32_e32 v0, 16, v62
	s_and_saveexec_b64 s[28:29], s[24:25]
	s_xor_b64 s[30:31], exec, s[28:29]
	s_cbranch_execz .LBB8_805
; %bb.802:                              ;   in Loop: Header=BB8_303 Depth=3
	v_and_b32_e32 v1, 16, v62
	v_cmp_lt_i32_e32 vcc, 0, v35
	v_cmp_ne_u32_e64 s[28:29], 0, v1
	v_and_b32_e32 v0, 16, v62
	s_and_b64 vcc, s[28:29], vcc
	s_and_saveexec_b64 s[28:29], vcc
	s_cbranch_execz .LBB8_804
; %bb.803:                              ;   in Loop: Header=BB8_303 Depth=3
	v_mov_b32_e32 v0, 1
	s_waitcnt vmcnt(0) lgkmcnt(0)
	buffer_wbinvl1_vol
.LBB8_804:                              ;   in Loop: Header=BB8_303 Depth=3
	s_or_b64 exec, exec, s[28:29]
.LBB8_805:                              ;   in Loop: Header=BB8_303 Depth=3
	s_andn2_saveexec_b64 s[28:29], s[30:31]
	s_cbranch_execz .LBB8_824
; %bb.806:                              ;   in Loop: Header=BB8_303 Depth=3
	s_and_saveexec_b64 vcc, s[44:45]
	s_xor_b64 s[30:31], exec, vcc
	s_cbranch_execz .LBB8_821
; %bb.807:                              ;   in Loop: Header=BB8_303 Depth=3
	s_and_saveexec_b64 s[34:35], s[16:17]
	s_cbranch_execz .LBB8_820
; %bb.808:                              ;   in Loop: Header=BB8_303 Depth=3
	s_mov_b64 s[58:59], exec
	v_mbcnt_lo_u32_b32 v1, s58, 0
	v_mbcnt_hi_u32_b32 v1, s59, v1
	v_cmp_eq_u32_e32 vcc, 0, v1
	;;#ASMSTART
	s_waitcnt lgkmcnt(0) vmcnt(0)
	;;#ASMEND
	s_and_saveexec_b64 s[36:37], vcc
	s_cbranch_execz .LBB8_810
; %bb.809:                              ;   in Loop: Header=BB8_303 Depth=3
	s_bcnt1_i32_b64 vcc_lo, s[58:59]
	v_mov_b32_e32 v2, vcc_lo
	v_mov_b32_e32 v3, v42
	ds_add_u64 v0, v[2:3]
	s_trap 2
.LBB8_810:                              ;   in Loop: Header=BB8_303 Depth=3
	s_or_b64 exec, exec, s[36:37]
	s_trap 2
	ds_read_b64 v[2:3], v0
	v_accvgpr_read_b32 v8, a12
	v_accvgpr_read_b32 v10, a20
	;; [unrolled: 1-line block ×3, first 2 shown]
	v_add_co_u32_e32 v8, vcc, v8, v10
	v_addc_co_u32_e32 v9, vcc, 0, v9, vcc
	v_accvgpr_write_b32 a13, v9
	v_accvgpr_write_b32 a12, v8
	s_waitcnt lgkmcnt(0)
	v_cmp_lt_u64_e32 vcc, v[2:3], v[8:9]
	s_and_saveexec_b64 s[36:37], vcc
	s_cbranch_execz .LBB8_819
; %bb.811:                              ;   in Loop: Header=BB8_303 Depth=3
	s_mov_b32 s68, 0
	s_mov_b64 s[58:59], 0
                                        ; implicit-def: $sgpr60_sgpr61
                                        ; implicit-def: $sgpr62_sgpr63
	s_branch .LBB8_813
.LBB8_812:                              ;   in Loop: Header=BB8_813 Depth=4
	s_or_b64 exec, exec, s[66:67]
	s_and_b64 vcc, exec, vcc
	s_or_b64 s[58:59], vcc, s[58:59]
	s_andn2_b64 vcc, s[60:61], exec
	s_and_b64 s[60:61], s[62:63], exec
	s_or_b64 s[60:61], vcc, s[60:61]
	s_andn2_b64 exec, exec, s[58:59]
	s_cbranch_execz .LBB8_817
.LBB8_813:                              ;   Parent Loop BB8_47 Depth=1
                                        ;     Parent Loop BB8_300 Depth=2
                                        ;       Parent Loop BB8_303 Depth=3
                                        ; =>      This Inner Loop Header: Depth=4
	s_add_i32 s68, s68, 1
	s_cmpk_lg_i32 s68, 0x2710
	s_cselect_b64 s[64:65], -1, 0
	s_and_b64 vcc, exec, s[64:65]
                                        ; implicit-def: $sgpr66_sgpr67
	s_cbranch_vccnz .LBB8_815
; %bb.814:                              ;   in Loop: Header=BB8_813 Depth=4
	s_trap 2
	ds_read_b64 v[2:3], v0
	s_andn2_b64 s[64:65], s[64:65], exec
	s_mov_b32 s68, 0
	s_mov_b64 s[66:67], -1
	s_waitcnt vmcnt(0) lgkmcnt(0)
	flat_load_dword v1, v[2:3] glc
	s_waitcnt vmcnt(0) lgkmcnt(0)
	buffer_invl2
	buffer_wbinvl1_vol
	v_cmp_eq_u32_e32 vcc, 0, v1
	s_and_b64 vcc, vcc, exec
	s_or_b64 s[64:65], s[64:65], vcc
.LBB8_815:                              ;   in Loop: Header=BB8_813 Depth=4
	s_andn2_b64 s[62:63], s[62:63], exec
	s_and_b64 s[66:67], s[66:67], exec
	s_mov_b64 vcc, -1
	s_or_b64 s[62:63], s[62:63], s[66:67]
	s_and_saveexec_b64 s[66:67], s[64:65]
	s_cbranch_execz .LBB8_812
; %bb.816:                              ;   in Loop: Header=BB8_813 Depth=4
	s_sleep 1
	s_trap 2
	ds_read_b64 v[2:3], v0
	v_accvgpr_read_b32 v8, a12
	v_accvgpr_read_b32 v9, a13
	s_andn2_b64 s[62:63], s[62:63], exec
	s_waitcnt lgkmcnt(0)
	v_cmp_ge_u64_e32 vcc, v[2:3], v[8:9]
	s_orn2_b64 vcc, vcc, exec
	s_branch .LBB8_812
.LBB8_817:                              ;   in Loop: Header=BB8_303 Depth=3
	s_or_b64 exec, exec, s[58:59]
	s_and_saveexec_b64 vcc, s[60:61]
	s_xor_b64 vcc, exec, vcc
	s_cbranch_execz .LBB8_819
; %bb.818:                              ;   in Loop: Header=BB8_303 Depth=3
	v_mov_b32_e32 v1, 1
	ds_write_b32 v0, v1
	s_trap 2
.LBB8_819:                              ;   in Loop: Header=BB8_303 Depth=3
	s_or_b64 exec, exec, s[36:37]
	;;#ASMSTART
	s_wakeup
	;;#ASMEND
.LBB8_820:                              ;   in Loop: Header=BB8_303 Depth=3
	s_or_b64 exec, exec, s[34:35]
.LBB8_821:                              ;   in Loop: Header=BB8_303 Depth=3
	s_andn2_saveexec_b64 vcc, s[30:31]
	s_cbranch_execz .LBB8_823
; %bb.822:                              ;   in Loop: Header=BB8_303 Depth=3
	;;#ASMSTART
	s_waitcnt lgkmcnt(0) vmcnt(0)
	;;#ASMEND
	s_barrier
.LBB8_823:                              ;   in Loop: Header=BB8_303 Depth=3
	s_or_b64 exec, exec, vcc
.LBB8_824:                              ;   in Loop: Header=BB8_303 Depth=3
	s_or_b64 exec, exec, s[28:29]
	v_cmp_ne_u32_e32 vcc, 0, v0
	s_xor_b64 s[28:29], s[12:13], -1
	s_and_b64 vcc, vcc, s[28:29]
	s_and_saveexec_b64 s[28:29], vcc
	s_cbranch_execz .LBB8_826
; %bb.825:                              ;   in Loop: Header=BB8_303 Depth=3
	v_accvgpr_read_b32 v0, a18
	v_accvgpr_read_b32 v1, a19
	v_mov_b32_e32 v2, 1
	flat_store_dword v[0:1], v2
.LBB8_826:                              ;   in Loop: Header=BB8_303 Depth=3
	s_or_b64 exec, exec, s[28:29]
	v_and_b32_e32 v0, 48, v62
	v_cmp_ne_u32_e32 vcc, 0, v0
	s_and_saveexec_b64 s[28:29], vcc
	s_cbranch_execz .LBB8_302
; %bb.827:                              ;   in Loop: Header=BB8_303 Depth=3
	v_add_co_u32_e32 v44, vcc, 2, v44
	v_addc_co_u32_e32 v45, vcc, 0, v45, vcc
	flat_store_dwordx2 v[46:47], v[44:45]
	s_branch .LBB8_302
.LBB8_828:                              ;   in Loop: Header=BB8_300 Depth=2
	s_or_b64 exec, exec, s[54:55]
.LBB8_829:                              ;   in Loop: Header=BB8_300 Depth=2
	s_or_b64 exec, exec, s[52:53]
	v_cmp_gt_i32_e32 vcc, 2, v2
	s_and_saveexec_b64 s[30:31], vcc
	s_cbranch_execz .LBB8_299
; %bb.830:                              ;   in Loop: Header=BB8_300 Depth=2
	v_cmp_eq_u32_e64 s[28:29], 0, v2
	s_mov_b64 s[34:35], 0
	s_branch .LBB8_832
.LBB8_831:                              ;   in Loop: Header=BB8_832 Depth=3
	s_or_b64 exec, exec, s[28:29]
	v_add_u32_e32 v54, v52, v54
	s_mov_b64 s[28:29], 0
	s_andn2_b64 exec, exec, s[34:35]
	s_cbranch_execz .LBB8_298
.LBB8_832:                              ;   Parent Loop BB8_47 Depth=1
                                        ;     Parent Loop BB8_300 Depth=2
                                        ; =>    This Loop Header: Depth=3
                                        ;         Child Loop BB8_838 Depth 4
                                        ;         Child Loop BB8_878 Depth 4
	;; [unrolled: 1-line block ×3, first 2 shown]
	v_and_b32_e32 v0, 12, v62
	s_mov_b64 s[52:53], -1
	v_cmp_ne_u32_e32 vcc, 0, v0
	s_and_saveexec_b64 s[36:37], vcc
	s_cbranch_execz .LBB8_844
; %bb.833:                              ;   in Loop: Header=BB8_832 Depth=3
	v_and_b32_e32 v0, 8, v62
	v_add_co_u32_e32 v8, vcc, v60, v0
	v_addc_co_u32_e32 v9, vcc, 0, v61, vcc
	v_add_co_u32_e32 v2, vcc, 2, v44
	v_addc_co_u32_e32 v3, vcc, 0, v45, vcc
	v_cmp_lt_u64_e32 vcc, v[8:9], v[2:3]
	v_mov_b32_e32 v1, 1
	s_and_saveexec_b64 s[52:53], vcc
	s_cbranch_execz .LBB8_843
; %bb.834:                              ;   in Loop: Header=BB8_832 Depth=3
	s_mov_b64 s[54:55], 0
	v_mov_b32_e32 v1, 0
                                        ; implicit-def: $sgpr56_sgpr57
	s_branch .LBB8_838
.LBB8_835:                              ;   in Loop: Header=BB8_838 Depth=4
	s_or_b64 exec, exec, s[64:65]
	v_mov_b32_e32 v5, 0
	s_orn2_b64 s[62:63], s[62:63], exec
.LBB8_836:                              ;   in Loop: Header=BB8_838 Depth=4
	s_or_b64 exec, exec, s[60:61]
	s_andn2_b64 vcc, s[56:57], exec
	s_and_b64 s[56:57], s[62:63], exec
	s_or_b64 s[56:57], vcc, s[56:57]
	v_mov_b32_e32 v1, v5
.LBB8_837:                              ;   in Loop: Header=BB8_838 Depth=4
	s_or_b64 exec, exec, s[58:59]
	s_waitcnt vmcnt(0) lgkmcnt(0)
	v_add_co_u32_e32 v8, vcc, v60, v0
	v_addc_co_u32_e32 v9, vcc, 0, v61, vcc
	v_cmp_ge_u64_e32 vcc, v[8:9], v[2:3]
	s_xor_b64 s[58:59], s[56:57], -1
	s_or_b64 vcc, s[58:59], vcc
	s_and_b64 vcc, exec, vcc
	s_or_b64 s[54:55], vcc, s[54:55]
	s_andn2_b64 exec, exec, s[54:55]
	s_cbranch_execz .LBB8_842
.LBB8_838:                              ;   Parent Loop BB8_47 Depth=1
                                        ;     Parent Loop BB8_300 Depth=2
                                        ;       Parent Loop BB8_832 Depth=3
                                        ; =>      This Inner Loop Header: Depth=4
	s_sleep 1
	flat_load_dwordx2 v[60:61], v[46:47] glc
	v_and_b32_e32 v5, 64, v62
	v_cmp_eq_u32_e32 vcc, 0, v5
	s_andn2_b64 s[56:57], s[56:57], exec
	s_and_saveexec_b64 s[58:59], vcc
	s_cbranch_execz .LBB8_837
; %bb.839:                              ;   in Loop: Header=BB8_838 Depth=4
	v_add_u32_e32 v5, 1, v1
	v_cmp_lt_i32_e32 vcc, s89, v1
	s_mov_b64 s[62:63], -1
	s_and_saveexec_b64 s[60:61], vcc
	s_cbranch_execz .LBB8_836
; %bb.840:                              ;   in Loop: Header=BB8_838 Depth=4
	s_trap 2
	ds_read_b64 v[8:9], v0
	s_waitcnt vmcnt(0) lgkmcnt(0)
	flat_load_dword v1, v[8:9] glc
	s_waitcnt vmcnt(0) lgkmcnt(0)
	buffer_invl2
	buffer_wbinvl1_vol
	v_cmp_ne_u32_e32 vcc, 0, v1
	s_and_saveexec_b64 s[64:65], vcc
	s_cbranch_execz .LBB8_835
; %bb.841:                              ;   in Loop: Header=BB8_838 Depth=4
	v_or_b32_e32 v62, 64, v62
	s_xor_b64 s[62:63], exec, -1
	ds_write_b32 v0, v1
	s_trap 2
	s_branch .LBB8_835
.LBB8_842:                              ;   in Loop: Header=BB8_832 Depth=3
	s_or_b64 exec, exec, s[54:55]
	v_and_b32_e32 v1, 12, v62
.LBB8_843:                              ;   in Loop: Header=BB8_832 Depth=3
	s_or_b64 exec, exec, s[52:53]
	v_cmp_eq_u32_e32 vcc, 0, v1
	s_orn2_b64 s[52:53], vcc, exec
	;;#ASMSTART
	s_wakeup
	;;#ASMEND
.LBB8_844:                              ;   in Loop: Header=BB8_832 Depth=3
	s_or_b64 exec, exec, s[36:37]
	s_xor_b64 s[28:29], s[28:29], -1
	s_and_b64 s[28:29], exec, s[28:29]
	s_or_b64 s[34:35], s[28:29], s[34:35]
	v_sub_u32_e32 v0, v34, v54
	s_xor_b64 s[28:29], s[52:53], -1
	v_min_i32_e32 v52, v52, v0
	s_and_saveexec_b64 s[36:37], s[28:29]
	s_cbranch_execz .LBB8_870
; %bb.845:                              ;   in Loop: Header=BB8_832 Depth=3
	v_and_b32_e32 v0, 0x108, v62
	v_cmp_ne_u32_e32 vcc, s90, v0
	v_and_b32_e32 v0, 7, v44
	s_and_saveexec_b64 s[28:29], vcc
	s_xor_b64 s[28:29], exec, s[28:29]
                                        ; implicit-def: $vgpr2_vgpr3
; %bb.846:                              ;   in Loop: Header=BB8_832 Depth=3
	v_mov_b32_e32 v3, v42
; %bb.847:                              ;   in Loop: Header=BB8_832 Depth=3
	s_andn2_saveexec_b64 s[28:29], s[28:29]
	s_cbranch_execz .LBB8_849
; %bb.848:                              ;   in Loop: Header=BB8_832 Depth=3
	v_accvgpr_read_b32 v8, a10
	v_accvgpr_read_b32 v9, a11
	v_ashrrev_i32_e32 v53, 31, v52
	v_mov_b32_e32 v3, v42
	v_mad_u64_u32 v[8:9], vcc, v0, 24, v[8:9]
	v_lshlrev_b64 v[10:11], 1, v[52:53]
	flat_store_dwordx2 v[8:9], v[10:11] offset:8
.LBB8_849:                              ;   in Loop: Header=BB8_832 Depth=3
	s_or_b64 exec, exec, s[28:29]
	v_and_b32_e32 v1, 0x100, v62
	v_cmp_ne_u32_e32 vcc, 0, v1
	s_mov_b64 s[28:29], -1
                                        ; implicit-def: $vgpr8_vgpr9
	s_and_saveexec_b64 s[52:53], vcc
	s_cbranch_execz .LBB8_853
; %bb.850:                              ;   in Loop: Header=BB8_832 Depth=3
	v_accvgpr_read_b32 v8, a10
	v_accvgpr_read_b32 v9, a11
	v_mad_u64_u32 v[10:11], s[28:29], v0, 24, v[8:9]
	v_mov_b32_e32 v2, v11
	v_mad_u64_u32 v[8:9], s[28:29], v3, 24, v[2:3]
	v_mov_b32_e32 v11, v8
	flat_load_dword v1, v[10:11]
                                        ; implicit-def: $vgpr8_vgpr9
	s_waitcnt vmcnt(0) lgkmcnt(0)
	v_cmp_ne_u32_e32 vcc, 1, v1
	v_cmp_eq_u32_e64 s[28:29], 1, v1
	s_and_saveexec_b64 s[54:55], s[28:29]
	s_cbranch_execz .LBB8_852
; %bb.851:                              ;   in Loop: Header=BB8_832 Depth=3
	flat_load_dword v8, v[10:11] offset:4 glc
	s_waitcnt vmcnt(0) lgkmcnt(0)
	v_ashrrev_i32_e32 v9, 31, v8
	v_lshrrev_b64 v[8:9], 1, v[8:9]
.LBB8_852:                              ;   in Loop: Header=BB8_832 Depth=3
	s_or_b64 exec, exec, s[54:55]
	s_orn2_b64 s[28:29], vcc, exec
.LBB8_853:                              ;   in Loop: Header=BB8_832 Depth=3
	s_or_b64 exec, exec, s[52:53]
	s_and_saveexec_b64 vcc, s[28:29]
; %bb.854:                              ;   in Loop: Header=BB8_832 Depth=3
	v_accvgpr_read_b32 v8, a14
	v_mul_lo_u32 v1, v3, v8
	v_accvgpr_read_b32 v3, a15
	v_mul_lo_u32 v2, v0, v3
	v_mad_u64_u32 v[8:9], s[28:29], v0, v8, 0
	v_add3_u32 v9, v9, v2, v1
; %bb.855:                              ;   in Loop: Header=BB8_832 Depth=3
	s_or_b64 exec, exec, vcc
	v_lshlrev_b64 v[0:1], 1, v[8:9]
	v_accvgpr_read_b32 v2, a16
	v_accvgpr_read_b32 v3, a17
	v_add_co_u32_e32 v0, vcc, v2, v0
	v_addc_co_u32_e32 v1, vcc, v3, v1, vcc
	s_trap 2
	ds_write_b64 v0, v[0:1]
	v_and_b32_e32 v0, 0x2000, v62
	v_cmp_ne_u32_e32 vcc, 0, v0
	s_and_saveexec_b64 s[28:29], vcc
	s_cbranch_execz .LBB8_857
; %bb.856:                              ;   in Loop: Header=BB8_832 Depth=3
	ds_read_b64 v[0:1], v0 offset:584
	s_waitcnt lgkmcnt(0)
	v_add_co_u32_e32 v0, vcc, 1, v0
	v_addc_co_u32_e32 v1, vcc, 0, v1, vcc
	ds_write_b64 v0, v[0:1] offset:584
.LBB8_857:                              ;   in Loop: Header=BB8_832 Depth=3
	s_or_b64 exec, exec, s[28:29]
	v_add_co_u32_e32 v44, vcc, 2, v44
	v_addc_co_u32_e32 v45, vcc, 0, v45, vcc
	s_or_b64 exec, exec, s[36:37]
	s_and_saveexec_b64 s[28:29], s[10:11]
	s_cbranch_execnz .LBB8_871
.LBB8_858:                              ;   in Loop: Header=BB8_832 Depth=3
	s_or_b64 exec, exec, s[28:29]
                                        ; implicit-def: $vgpr0
	s_and_saveexec_b64 s[28:29], s[48:49]
	s_xor_b64 s[28:29], exec, s[28:29]
	s_cbranch_execz .LBB8_896
.LBB8_859:                              ;   in Loop: Header=BB8_832 Depth=3
	s_and_saveexec_b64 vcc, s[44:45]
	s_xor_b64 s[36:37], exec, vcc
	s_cbranch_execz .LBB8_886
; %bb.860:                              ;   in Loop: Header=BB8_832 Depth=3
	s_and_saveexec_b64 s[52:53], s[16:17]
	s_cbranch_execz .LBB8_885
; %bb.861:                              ;   in Loop: Header=BB8_832 Depth=3
	s_mov_b64 s[56:57], exec
	v_mbcnt_lo_u32_b32 v0, s56, 0
	v_mbcnt_hi_u32_b32 v0, s57, v0
	v_cmp_eq_u32_e32 vcc, 0, v0
	;;#ASMSTART
	s_waitcnt lgkmcnt(0) vmcnt(0)
	;;#ASMEND
	s_and_saveexec_b64 s[54:55], vcc
	s_cbranch_execz .LBB8_863
; %bb.862:                              ;   in Loop: Header=BB8_832 Depth=3
	s_bcnt1_i32_b64 vcc_lo, s[56:57]
	v_mov_b32_e32 v0, vcc_lo
	v_mov_b32_e32 v1, v42
	ds_add_u64 v0, v[0:1]
	s_trap 2
.LBB8_863:                              ;   in Loop: Header=BB8_832 Depth=3
	s_or_b64 exec, exec, s[54:55]
	s_trap 2
	ds_read_b64 v[0:1], v0
	v_accvgpr_read_b32 v2, a12
	v_accvgpr_read_b32 v8, a20
	;; [unrolled: 1-line block ×3, first 2 shown]
	v_add_co_u32_e32 v2, vcc, v2, v8
	v_addc_co_u32_e32 v3, vcc, 0, v3, vcc
	v_accvgpr_write_b32 a13, v3
	v_accvgpr_write_b32 a12, v2
	s_waitcnt lgkmcnt(0)
	v_cmp_lt_u64_e32 vcc, v[0:1], v[2:3]
	s_and_saveexec_b64 s[54:55], vcc
	s_cbranch_execz .LBB8_884
; %bb.864:                              ;   in Loop: Header=BB8_832 Depth=3
	s_mov_b32 s66, 0
	s_mov_b64 s[56:57], 0
                                        ; implicit-def: $sgpr58_sgpr59
                                        ; implicit-def: $sgpr60_sgpr61
	s_branch .LBB8_866
.LBB8_865:                              ;   in Loop: Header=BB8_866 Depth=4
	s_or_b64 exec, exec, s[64:65]
	s_and_b64 vcc, exec, vcc
	s_or_b64 s[56:57], vcc, s[56:57]
	s_andn2_b64 vcc, s[58:59], exec
	s_and_b64 s[58:59], s[60:61], exec
	s_or_b64 s[58:59], vcc, s[58:59]
	s_andn2_b64 exec, exec, s[56:57]
	s_cbranch_execz .LBB8_882
.LBB8_866:                              ;   Parent Loop BB8_47 Depth=1
                                        ;     Parent Loop BB8_300 Depth=2
                                        ;       Parent Loop BB8_832 Depth=3
                                        ; =>      This Inner Loop Header: Depth=4
	s_add_i32 s66, s66, 1
	s_cmpk_lg_i32 s66, 0x2710
	s_cselect_b64 s[62:63], -1, 0
	s_and_b64 vcc, exec, s[62:63]
                                        ; implicit-def: $sgpr64_sgpr65
	s_cbranch_vccnz .LBB8_868
; %bb.867:                              ;   in Loop: Header=BB8_866 Depth=4
	s_trap 2
	ds_read_b64 v[0:1], v0
	s_andn2_b64 s[62:63], s[62:63], exec
	s_mov_b32 s66, 0
	s_mov_b64 s[64:65], -1
	s_waitcnt vmcnt(0) lgkmcnt(0)
	flat_load_dword v0, v[0:1] glc
	s_waitcnt vmcnt(0) lgkmcnt(0)
	buffer_invl2
	buffer_wbinvl1_vol
	v_cmp_eq_u32_e32 vcc, 0, v0
	s_and_b64 vcc, vcc, exec
	s_or_b64 s[62:63], s[62:63], vcc
.LBB8_868:                              ;   in Loop: Header=BB8_866 Depth=4
	s_andn2_b64 s[60:61], s[60:61], exec
	s_and_b64 s[64:65], s[64:65], exec
	s_mov_b64 vcc, -1
	s_or_b64 s[60:61], s[60:61], s[64:65]
	s_and_saveexec_b64 s[64:65], s[62:63]
	s_cbranch_execz .LBB8_865
; %bb.869:                              ;   in Loop: Header=BB8_866 Depth=4
	s_sleep 1
	s_trap 2
	ds_read_b64 v[0:1], v0
	v_accvgpr_read_b32 v2, a12
	v_accvgpr_read_b32 v3, a13
	s_andn2_b64 s[60:61], s[60:61], exec
	s_waitcnt lgkmcnt(0)
	v_cmp_ge_u64_e32 vcc, v[0:1], v[2:3]
	s_orn2_b64 vcc, vcc, exec
	s_branch .LBB8_865
.LBB8_870:                              ;   in Loop: Header=BB8_832 Depth=3
	s_or_b64 exec, exec, s[36:37]
	s_and_saveexec_b64 s[28:29], s[10:11]
	s_cbranch_execz .LBB8_858
.LBB8_871:                              ;   in Loop: Header=BB8_832 Depth=3
	s_and_saveexec_b64 vcc, s[44:45]
	s_xor_b64 s[36:37], exec, vcc
	s_cbranch_execz .LBB8_893
; %bb.872:                              ;   in Loop: Header=BB8_832 Depth=3
	s_and_saveexec_b64 s[52:53], s[16:17]
	s_cbranch_execz .LBB8_892
; %bb.873:                              ;   in Loop: Header=BB8_832 Depth=3
	s_mov_b64 s[56:57], exec
	v_mbcnt_lo_u32_b32 v0, s56, 0
	v_mbcnt_hi_u32_b32 v0, s57, v0
	v_cmp_eq_u32_e32 vcc, 0, v0
	s_waitcnt vmcnt(0) lgkmcnt(0)
	buffer_wbinvl1_vol
	s_and_saveexec_b64 s[54:55], vcc
	s_cbranch_execz .LBB8_875
; %bb.874:                              ;   in Loop: Header=BB8_832 Depth=3
	s_bcnt1_i32_b64 vcc_lo, s[56:57]
	v_mov_b32_e32 v0, vcc_lo
	v_mov_b32_e32 v1, v42
	ds_add_u64 v0, v[0:1]
	s_trap 2
.LBB8_875:                              ;   in Loop: Header=BB8_832 Depth=3
	s_or_b64 exec, exec, s[54:55]
	s_trap 2
	ds_read_b64 v[0:1], v0
	v_accvgpr_read_b32 v2, a12
	v_accvgpr_read_b32 v8, a20
	;; [unrolled: 1-line block ×3, first 2 shown]
	v_add_co_u32_e32 v2, vcc, v2, v8
	v_addc_co_u32_e32 v3, vcc, 0, v3, vcc
	v_accvgpr_write_b32 a13, v3
	v_accvgpr_write_b32 a12, v2
	s_waitcnt lgkmcnt(0)
	v_cmp_lt_u64_e32 vcc, v[0:1], v[2:3]
	s_and_saveexec_b64 s[54:55], vcc
	s_cbranch_execz .LBB8_891
; %bb.876:                              ;   in Loop: Header=BB8_832 Depth=3
	s_mov_b32 s66, 0
	s_mov_b64 s[56:57], 0
                                        ; implicit-def: $sgpr58_sgpr59
                                        ; implicit-def: $sgpr60_sgpr61
	s_branch .LBB8_878
.LBB8_877:                              ;   in Loop: Header=BB8_878 Depth=4
	s_or_b64 exec, exec, s[64:65]
	s_and_b64 vcc, exec, vcc
	s_or_b64 s[56:57], vcc, s[56:57]
	s_andn2_b64 vcc, s[58:59], exec
	s_and_b64 s[58:59], s[60:61], exec
	s_or_b64 s[58:59], vcc, s[58:59]
	s_andn2_b64 exec, exec, s[56:57]
	s_cbranch_execz .LBB8_889
.LBB8_878:                              ;   Parent Loop BB8_47 Depth=1
                                        ;     Parent Loop BB8_300 Depth=2
                                        ;       Parent Loop BB8_832 Depth=3
                                        ; =>      This Inner Loop Header: Depth=4
	s_add_i32 s66, s66, 1
	s_cmpk_lg_i32 s66, 0x2710
	s_cselect_b64 s[62:63], -1, 0
	s_and_b64 vcc, exec, s[62:63]
                                        ; implicit-def: $sgpr64_sgpr65
	s_cbranch_vccnz .LBB8_880
; %bb.879:                              ;   in Loop: Header=BB8_878 Depth=4
	s_trap 2
	ds_read_b64 v[0:1], v0
	s_andn2_b64 s[62:63], s[62:63], exec
	s_mov_b32 s66, 0
	s_mov_b64 s[64:65], -1
	s_waitcnt lgkmcnt(0)
	flat_load_dword v0, v[0:1] glc
	s_waitcnt vmcnt(0) lgkmcnt(0)
	buffer_invl2
	buffer_wbinvl1_vol
	v_cmp_eq_u32_e32 vcc, 0, v0
	s_and_b64 vcc, vcc, exec
	s_or_b64 s[62:63], s[62:63], vcc
.LBB8_880:                              ;   in Loop: Header=BB8_878 Depth=4
	s_andn2_b64 s[60:61], s[60:61], exec
	s_and_b64 s[64:65], s[64:65], exec
	s_mov_b64 vcc, -1
	s_or_b64 s[60:61], s[60:61], s[64:65]
	s_and_saveexec_b64 s[64:65], s[62:63]
	s_cbranch_execz .LBB8_877
; %bb.881:                              ;   in Loop: Header=BB8_878 Depth=4
	s_sleep 1
	s_trap 2
	ds_read_b64 v[0:1], v0
	v_accvgpr_read_b32 v2, a12
	v_accvgpr_read_b32 v3, a13
	s_andn2_b64 s[60:61], s[60:61], exec
	s_waitcnt lgkmcnt(0)
	v_cmp_ge_u64_e32 vcc, v[0:1], v[2:3]
	s_orn2_b64 vcc, vcc, exec
	s_branch .LBB8_877
.LBB8_882:                              ;   in Loop: Header=BB8_832 Depth=3
	s_or_b64 exec, exec, s[56:57]
	s_and_saveexec_b64 vcc, s[58:59]
	s_xor_b64 vcc, exec, vcc
	s_cbranch_execz .LBB8_884
; %bb.883:                              ;   in Loop: Header=BB8_832 Depth=3
	v_mov_b32_e32 v0, 1
	ds_write_b32 v0, v0
	s_trap 2
.LBB8_884:                              ;   in Loop: Header=BB8_832 Depth=3
	s_or_b64 exec, exec, s[54:55]
	;;#ASMSTART
	s_wakeup
	;;#ASMEND
.LBB8_885:                              ;   in Loop: Header=BB8_832 Depth=3
	s_or_b64 exec, exec, s[52:53]
.LBB8_886:                              ;   in Loop: Header=BB8_832 Depth=3
	s_andn2_saveexec_b64 vcc, s[36:37]
	s_cbranch_execz .LBB8_888
; %bb.887:                              ;   in Loop: Header=BB8_832 Depth=3
	;;#ASMSTART
	s_waitcnt lgkmcnt(0) vmcnt(0)
	;;#ASMEND
	s_barrier
.LBB8_888:                              ;   in Loop: Header=BB8_832 Depth=3
	s_or_b64 exec, exec, vcc
	v_and_b32_e32 v0, 16, v62
	s_andn2_saveexec_b64 s[28:29], s[28:29]
	s_cbranch_execz .LBB8_900
	s_branch .LBB8_897
.LBB8_889:                              ;   in Loop: Header=BB8_832 Depth=3
	s_or_b64 exec, exec, s[56:57]
	s_and_saveexec_b64 vcc, s[58:59]
	s_xor_b64 vcc, exec, vcc
	s_cbranch_execz .LBB8_891
; %bb.890:                              ;   in Loop: Header=BB8_832 Depth=3
	v_mov_b32_e32 v0, 1
	ds_write_b32 v0, v0
	s_trap 2
.LBB8_891:                              ;   in Loop: Header=BB8_832 Depth=3
	s_or_b64 exec, exec, s[54:55]
	;;#ASMSTART
	s_wakeup
	;;#ASMEND
.LBB8_892:                              ;   in Loop: Header=BB8_832 Depth=3
	s_or_b64 exec, exec, s[52:53]
.LBB8_893:                              ;   in Loop: Header=BB8_832 Depth=3
	s_andn2_saveexec_b64 vcc, s[36:37]
	s_cbranch_execz .LBB8_895
; %bb.894:                              ;   in Loop: Header=BB8_832 Depth=3
	s_waitcnt vmcnt(0) lgkmcnt(0)
	buffer_wbinvl1_vol
	s_barrier
.LBB8_895:                              ;   in Loop: Header=BB8_832 Depth=3
	s_or_b64 exec, exec, vcc
	s_or_b64 exec, exec, s[28:29]
                                        ; implicit-def: $vgpr0
	s_and_saveexec_b64 s[28:29], s[48:49]
	s_xor_b64 s[28:29], exec, s[28:29]
	s_cbranch_execnz .LBB8_859
.LBB8_896:                              ;   in Loop: Header=BB8_832 Depth=3
	s_andn2_saveexec_b64 s[28:29], s[28:29]
	s_cbranch_execz .LBB8_900
.LBB8_897:                              ;   in Loop: Header=BB8_832 Depth=3
	s_trap 2
	ds_read_b32 v1, v0
	v_cmp_lt_i32_e32 vcc, 0, v52
	v_and_b32_e32 v2, 16, v62
	v_and_b32_e32 v0, 16, v62
	s_waitcnt lgkmcnt(0)
	v_readfirstlane_b32 s36, v1
	s_cmp_eq_u32 s36, 0
	s_cselect_b64 s[36:37], -1, 0
	s_and_b64 s[36:37], vcc, s[36:37]
	v_cmp_ne_u32_e32 vcc, 0, v2
	s_and_b64 s[36:37], vcc, s[36:37]
	s_and_saveexec_b64 vcc, s[36:37]
	s_cbranch_execz .LBB8_899
; %bb.898:                              ;   in Loop: Header=BB8_832 Depth=3
	v_mov_b32_e32 v0, 1
	s_waitcnt vmcnt(0)
	buffer_wbinvl1_vol
.LBB8_899:                              ;   in Loop: Header=BB8_832 Depth=3
	s_or_b64 exec, exec, vcc
.LBB8_900:                              ;   in Loop: Header=BB8_832 Depth=3
	s_or_b64 exec, exec, s[28:29]
	v_cmp_ne_u32_e32 vcc, 0, v0
	s_xor_b64 s[28:29], s[12:13], -1
	s_and_b64 vcc, vcc, s[28:29]
	s_and_saveexec_b64 s[28:29], vcc
	s_cbranch_execz .LBB8_902
; %bb.901:                              ;   in Loop: Header=BB8_832 Depth=3
	v_accvgpr_read_b32 v0, a18
	v_accvgpr_read_b32 v1, a19
	v_mov_b32_e32 v2, 1
	flat_store_dword v[0:1], v2
.LBB8_902:                              ;   in Loop: Header=BB8_832 Depth=3
	s_or_b64 exec, exec, s[28:29]
	v_and_b32_e32 v0, 48, v62
	v_cmp_ne_u32_e32 vcc, 0, v0
	s_and_saveexec_b64 s[28:29], vcc
	s_cbranch_execz .LBB8_831
; %bb.903:                              ;   in Loop: Header=BB8_832 Depth=3
	v_add_co_u32_e32 v44, vcc, 2, v44
	v_addc_co_u32_e32 v45, vcc, 0, v45, vcc
	flat_store_dwordx2 v[46:47], v[44:45]
	s_branch .LBB8_831
.LBB8_904:                              ;   in Loop: Header=BB8_47 Depth=1
	v_accvgpr_read_b32 v8, a50
	v_accvgpr_read_b32 v9, a51
	v_mul_lo_u32 v2, v9, s76
	v_mul_lo_u32 v3, v8, s77
	v_mad_u64_u32 v[0:1], s[28:29], v8, s76, 0
	v_add3_u32 v1, v1, v3, v2
	v_accvgpr_read_b32 v2, a52
	v_accvgpr_read_b32 v3, a53
	v_sub_co_u32_e32 v2, vcc, v2, v0
	v_subb_co_u32_e32 v3, vcc, v3, v1, vcc
	v_cmp_lt_i64_e32 vcc, v[8:9], v[2:3]
	v_cndmask_b32_e32 v2, v2, v8, vcc
	v_max_i32_e32 v40, 0, v2
	v_add_u32_e32 v3, 31, v40
	v_lshrrev_b32_e32 v3, 1, v3
	v_and_b32_e32 v3, 0x3ffffff0, v3
	v_cmp_lt_i32_e32 vcc, 0, v2
	v_max_i32_e32 v12, s85, v3
	s_and_b64 s[28:29], s[50:51], vcc
	v_mov_b32_e32 v2, 0
	v_mov_b32_e32 v14, 0
	s_and_saveexec_b64 s[52:53], s[28:29]
	s_cbranch_execz .LBB8_1862
; %bb.905:                              ;   in Loop: Header=BB8_47 Depth=1
	v_accvgpr_read_b32 v2, a54
	v_accvgpr_read_b32 v3, a55
	v_add_co_u32_e32 v0, vcc, v0, v2
	v_addc_co_u32_e32 v1, vcc, v1, v3, vcc
	v_lshlrev_b64 v[0:1], 1, v[0:1]
	v_accvgpr_write_b32 a61, v1
	s_mov_b32 s94, 1
	s_mov_b64 s[56:57], -1
	s_mov_b64 s[54:55], 0
	v_mov_b32_e32 v14, 0
	v_accvgpr_write_b32 a60, v0
	s_branch .LBB8_907
.LBB8_906:                              ;   in Loop: Header=BB8_907 Depth=2
	s_or_b64 exec, exec, s[28:29]
	v_add_u32_e32 v14, v12, v14
	v_cmp_ge_i32_e32 vcc, v14, v40
	s_xor_b64 s[28:29], s[56:57], -1
	s_or_b64 s[28:29], s[28:29], vcc
	s_and_b64 s[28:29], exec, s[28:29]
	s_or_b64 s[54:55], s[28:29], s[54:55]
	s_mov_b64 s[56:57], 0
	v_mov_b32_e32 v2, s94
	s_mov_b32 s94, 2
	s_andn2_b64 exec, exec, s[54:55]
	s_cbranch_execz .LBB8_1937
.LBB8_907:                              ;   Parent Loop BB8_47 Depth=1
                                        ; =>  This Loop Header: Depth=2
                                        ;       Child Loop BB8_915 Depth 3
                                        ;       Child Loop BB8_943 Depth 3
	;; [unrolled: 1-line block ×5, first 2 shown]
                                        ;         Child Loop BB8_1619 Depth 4
                                        ;         Child Loop BB8_1656 Depth 4
                                        ;       Child Loop BB8_1733 Depth 3
                                        ;       Child Loop BB8_1792 Depth 3
                                        ;         Child Loop BB8_1793 Depth 4
                                        ;         Child Loop BB8_1802 Depth 4
                                        ;       Child Loop BB8_984 Depth 3
                                        ;       Child Loop BB8_1192 Depth 3
                                        ;         Child Loop BB8_1193 Depth 4
                                        ;         Child Loop BB8_1228 Depth 4
	;; [unrolled: 1-line block ×4, first 2 shown]
                                        ;       Child Loop BB8_1304 Depth 3
                                        ;       Child Loop BB8_1312 Depth 3
	;; [unrolled: 1-line block ×3, first 2 shown]
                                        ;         Child Loop BB8_1374 Depth 4
                                        ;         Child Loop BB8_1381 Depth 4
	;; [unrolled: 1-line block ×4, first 2 shown]
                                        ;       Child Loop BB8_1401 Depth 3
                                        ;       Child Loop BB8_1824 Depth 3
	;; [unrolled: 1-line block ×3, first 2 shown]
	s_and_saveexec_b64 s[28:29], s[4:5]
	s_cbranch_execz .LBB8_909
; %bb.908:                              ;   in Loop: Header=BB8_907 Depth=2
	s_trap 2
	ds_read2_b64 v[0:3], v0 offset1:1
	v_accvgpr_read_b32 v16, a60
	v_accvgpr_read_b32 v17, a61
	v_ashrrev_i32_e32 v15, 31, v14
	s_waitcnt lgkmcnt(0)
	v_add_co_u32_e32 v5, vcc, v0, v16
	ds_read_b64 v[8:9], v0
	v_addc_co_u32_e32 v11, vcc, v1, v17, vcc
	v_lshlrev_b64 v[0:1], 1, v[14:15]
	v_add_co_u32_e32 v10, vcc, v5, v0
	v_addc_co_u32_e32 v11, vcc, v11, v1, vcc
	v_add_co_u32_e32 v2, vcc, v2, v16
	v_addc_co_u32_e32 v3, vcc, v3, v17, vcc
	;; [unrolled: 2-line block ×3, first 2 shown]
	ds_write_b64 v0, v[2:3]
	s_waitcnt lgkmcnt(0)
	v_add_co_u32_e32 v2, vcc, v8, v16
	v_addc_co_u32_e32 v3, vcc, v9, v17, vcc
	ds_write_b64 v0, v[10:11]
	v_add_co_u32_e32 v0, vcc, v2, v0
	v_addc_co_u32_e32 v1, vcc, v3, v1, vcc
	v_cmp_ne_u64_e32 vcc, 0, v[8:9]
	v_cndmask_b32_e32 v1, 0, v1, vcc
	v_cndmask_b32_e32 v0, 0, v0, vcc
	ds_write_b64 v0, v[0:1]
.LBB8_909:                              ;   in Loop: Header=BB8_907 Depth=2
	s_or_b64 exec, exec, s[28:29]
	v_and_b32_e32 v0, 12, v62
	v_cmp_ne_u32_e32 vcc, 0, v0
	s_mov_b64 s[30:31], -1
	s_and_saveexec_b64 s[28:29], vcc
	s_cbranch_execz .LBB8_921
; %bb.910:                              ;   in Loop: Header=BB8_907 Depth=2
	v_and_b32_e32 v0, 8, v62
	v_add_co_u32_e32 v8, vcc, v60, v0
	v_addc_co_u32_e32 v9, vcc, 0, v61, vcc
	v_add_co_u32_e32 v2, vcc, 2, v44
	v_addc_co_u32_e32 v3, vcc, 0, v45, vcc
	v_cmp_lt_u64_e32 vcc, v[8:9], v[2:3]
	v_mov_b32_e32 v1, 1
	s_and_saveexec_b64 s[30:31], vcc
	s_cbranch_execz .LBB8_920
; %bb.911:                              ;   in Loop: Header=BB8_907 Depth=2
	s_mov_b64 s[34:35], 0
	v_mov_b32_e32 v1, 0
                                        ; implicit-def: $sgpr36_sgpr37
	s_branch .LBB8_915
.LBB8_912:                              ;   in Loop: Header=BB8_915 Depth=3
	s_or_b64 exec, exec, s[64:65]
	v_mov_b32_e32 v5, 0
	s_orn2_b64 s[62:63], s[62:63], exec
.LBB8_913:                              ;   in Loop: Header=BB8_915 Depth=3
	s_or_b64 exec, exec, s[60:61]
	s_andn2_b64 vcc, s[36:37], exec
	s_and_b64 s[36:37], s[62:63], exec
	s_or_b64 s[36:37], vcc, s[36:37]
	v_mov_b32_e32 v1, v5
.LBB8_914:                              ;   in Loop: Header=BB8_915 Depth=3
	s_or_b64 exec, exec, s[58:59]
	s_waitcnt vmcnt(0) lgkmcnt(0)
	v_add_co_u32_e32 v8, vcc, v60, v0
	v_addc_co_u32_e32 v9, vcc, 0, v61, vcc
	v_cmp_ge_u64_e32 vcc, v[8:9], v[2:3]
	s_xor_b64 s[58:59], s[36:37], -1
	s_or_b64 vcc, s[58:59], vcc
	s_and_b64 vcc, exec, vcc
	s_or_b64 s[34:35], vcc, s[34:35]
	s_andn2_b64 exec, exec, s[34:35]
	s_cbranch_execz .LBB8_919
.LBB8_915:                              ;   Parent Loop BB8_47 Depth=1
                                        ;     Parent Loop BB8_907 Depth=2
                                        ; =>    This Inner Loop Header: Depth=3
	s_sleep 1
	flat_load_dwordx2 v[60:61], v[46:47] glc
	v_and_b32_e32 v5, 64, v62
	v_cmp_eq_u32_e32 vcc, 0, v5
	s_andn2_b64 s[36:37], s[36:37], exec
	s_and_saveexec_b64 s[58:59], vcc
	s_cbranch_execz .LBB8_914
; %bb.916:                              ;   in Loop: Header=BB8_915 Depth=3
	v_add_u32_e32 v5, 1, v1
	v_cmp_lt_i32_e32 vcc, s89, v1
	s_mov_b64 s[62:63], -1
	s_and_saveexec_b64 s[60:61], vcc
	s_cbranch_execz .LBB8_913
; %bb.917:                              ;   in Loop: Header=BB8_915 Depth=3
	s_trap 2
	ds_read_b64 v[8:9], v0
	s_waitcnt vmcnt(0) lgkmcnt(0)
	flat_load_dword v1, v[8:9] glc
	s_waitcnt vmcnt(0) lgkmcnt(0)
	buffer_invl2
	buffer_wbinvl1_vol
	v_cmp_ne_u32_e32 vcc, 0, v1
	s_and_saveexec_b64 s[64:65], vcc
	s_cbranch_execz .LBB8_912
; %bb.918:                              ;   in Loop: Header=BB8_915 Depth=3
	v_or_b32_e32 v62, 64, v62
	s_xor_b64 s[62:63], exec, -1
	ds_write_b32 v0, v1
	s_trap 2
	s_branch .LBB8_912
.LBB8_919:                              ;   in Loop: Header=BB8_907 Depth=2
	s_or_b64 exec, exec, s[34:35]
	v_and_b32_e32 v1, 12, v62
.LBB8_920:                              ;   in Loop: Header=BB8_907 Depth=2
	s_or_b64 exec, exec, s[30:31]
	v_cmp_eq_u32_e32 vcc, 0, v1
	s_orn2_b64 s[30:31], vcc, exec
	;;#ASMSTART
	s_wakeup
	;;#ASMEND
.LBB8_921:                              ;   in Loop: Header=BB8_907 Depth=2
	s_or_b64 exec, exec, s[28:29]
	v_sub_u32_e32 v0, v40, v14
	s_xor_b64 s[28:29], s[30:31], -1
	v_min_i32_e32 v12, v12, v0
	s_and_saveexec_b64 s[30:31], s[28:29]
	s_cbranch_execz .LBB8_935
; %bb.922:                              ;   in Loop: Header=BB8_907 Depth=2
	v_and_b32_e32 v0, 0x108, v62
	v_cmp_ne_u32_e32 vcc, s90, v0
	v_and_b32_e32 v0, 7, v44
	s_and_saveexec_b64 s[28:29], vcc
	s_xor_b64 s[28:29], exec, s[28:29]
                                        ; implicit-def: $vgpr2_vgpr3
; %bb.923:                              ;   in Loop: Header=BB8_907 Depth=2
	v_mov_b32_e32 v3, v42
; %bb.924:                              ;   in Loop: Header=BB8_907 Depth=2
	s_andn2_saveexec_b64 s[28:29], s[28:29]
	s_cbranch_execz .LBB8_926
; %bb.925:                              ;   in Loop: Header=BB8_907 Depth=2
	v_accvgpr_read_b32 v8, a10
	v_accvgpr_read_b32 v9, a11
	v_ashrrev_i32_e32 v13, 31, v12
	v_mov_b32_e32 v3, v42
	v_mad_u64_u32 v[8:9], vcc, v0, 24, v[8:9]
	v_lshlrev_b64 v[10:11], 1, v[12:13]
	flat_store_dwordx2 v[8:9], v[10:11] offset:8
.LBB8_926:                              ;   in Loop: Header=BB8_907 Depth=2
	s_or_b64 exec, exec, s[28:29]
	v_and_b32_e32 v1, 0x100, v62
	v_cmp_ne_u32_e32 vcc, 0, v1
	s_mov_b64 s[28:29], -1
                                        ; implicit-def: $vgpr8_vgpr9
	s_and_saveexec_b64 s[34:35], vcc
	s_cbranch_execz .LBB8_930
; %bb.927:                              ;   in Loop: Header=BB8_907 Depth=2
	v_accvgpr_read_b32 v8, a10
	v_accvgpr_read_b32 v9, a11
	v_mad_u64_u32 v[10:11], s[28:29], v0, 24, v[8:9]
	v_mov_b32_e32 v2, v11
	v_mad_u64_u32 v[8:9], s[28:29], v3, 24, v[2:3]
	v_mov_b32_e32 v11, v8
	flat_load_dword v1, v[10:11]
                                        ; implicit-def: $vgpr8_vgpr9
	s_waitcnt vmcnt(0) lgkmcnt(0)
	v_cmp_ne_u32_e32 vcc, 1, v1
	v_cmp_eq_u32_e64 s[28:29], 1, v1
	s_and_saveexec_b64 s[36:37], s[28:29]
	s_cbranch_execz .LBB8_929
; %bb.928:                              ;   in Loop: Header=BB8_907 Depth=2
	flat_load_dword v8, v[10:11] offset:4 glc
	s_waitcnt vmcnt(0) lgkmcnt(0)
	v_ashrrev_i32_e32 v9, 31, v8
	v_lshrrev_b64 v[8:9], 1, v[8:9]
.LBB8_929:                              ;   in Loop: Header=BB8_907 Depth=2
	s_or_b64 exec, exec, s[36:37]
	s_orn2_b64 s[28:29], vcc, exec
.LBB8_930:                              ;   in Loop: Header=BB8_907 Depth=2
	s_or_b64 exec, exec, s[34:35]
	s_and_saveexec_b64 vcc, s[28:29]
; %bb.931:                              ;   in Loop: Header=BB8_907 Depth=2
	v_accvgpr_read_b32 v8, a14
	v_mul_lo_u32 v1, v3, v8
	v_accvgpr_read_b32 v3, a15
	v_mul_lo_u32 v2, v0, v3
	v_mad_u64_u32 v[8:9], s[28:29], v0, v8, 0
	v_add3_u32 v9, v9, v2, v1
; %bb.932:                              ;   in Loop: Header=BB8_907 Depth=2
	s_or_b64 exec, exec, vcc
	v_lshlrev_b64 v[0:1], 1, v[8:9]
	v_accvgpr_read_b32 v2, a16
	v_accvgpr_read_b32 v3, a17
	v_add_co_u32_e32 v0, vcc, v2, v0
	v_addc_co_u32_e32 v1, vcc, v3, v1, vcc
	s_trap 2
	ds_write_b64 v0, v[0:1]
	v_and_b32_e32 v0, 0x2000, v62
	v_cmp_ne_u32_e32 vcc, 0, v0
	s_and_saveexec_b64 s[28:29], vcc
	s_cbranch_execz .LBB8_934
; %bb.933:                              ;   in Loop: Header=BB8_907 Depth=2
	ds_read_b64 v[0:1], v0 offset:584
	s_waitcnt lgkmcnt(0)
	v_add_co_u32_e32 v0, vcc, 1, v0
	v_addc_co_u32_e32 v1, vcc, 0, v1, vcc
	ds_write_b64 v0, v[0:1] offset:584
.LBB8_934:                              ;   in Loop: Header=BB8_907 Depth=2
	s_or_b64 exec, exec, s[28:29]
	v_add_co_u32_e32 v44, vcc, 2, v44
	v_addc_co_u32_e32 v45, vcc, 0, v45, vcc
.LBB8_935:                              ;   in Loop: Header=BB8_907 Depth=2
	s_or_b64 exec, exec, s[30:31]
	s_and_saveexec_b64 s[28:29], s[10:11]
	s_cbranch_execz .LBB8_954
; %bb.936:                              ;   in Loop: Header=BB8_907 Depth=2
	s_and_saveexec_b64 vcc, s[44:45]
	s_xor_b64 s[30:31], exec, vcc
	s_cbranch_execz .LBB8_951
; %bb.937:                              ;   in Loop: Header=BB8_907 Depth=2
	s_and_saveexec_b64 s[34:35], s[16:17]
	s_cbranch_execz .LBB8_950
; %bb.938:                              ;   in Loop: Header=BB8_907 Depth=2
	s_mov_b64 s[58:59], exec
	v_mbcnt_lo_u32_b32 v0, s58, 0
	v_mbcnt_hi_u32_b32 v0, s59, v0
	v_cmp_eq_u32_e32 vcc, 0, v0
	s_waitcnt vmcnt(0) lgkmcnt(0)
	buffer_wbinvl1_vol
	s_and_saveexec_b64 s[36:37], vcc
	s_cbranch_execz .LBB8_940
; %bb.939:                              ;   in Loop: Header=BB8_907 Depth=2
	s_bcnt1_i32_b64 vcc_lo, s[58:59]
	v_mov_b32_e32 v0, vcc_lo
	v_mov_b32_e32 v1, v42
	ds_add_u64 v0, v[0:1]
	s_trap 2
.LBB8_940:                              ;   in Loop: Header=BB8_907 Depth=2
	s_or_b64 exec, exec, s[36:37]
	s_trap 2
	ds_read_b64 v[0:1], v0
	v_accvgpr_read_b32 v2, a12
	v_accvgpr_read_b32 v8, a20
	;; [unrolled: 1-line block ×3, first 2 shown]
	v_add_co_u32_e32 v2, vcc, v2, v8
	v_addc_co_u32_e32 v3, vcc, 0, v3, vcc
	v_accvgpr_write_b32 a13, v3
	v_accvgpr_write_b32 a12, v2
	s_waitcnt lgkmcnt(0)
	v_cmp_lt_u64_e32 vcc, v[0:1], v[2:3]
	s_and_saveexec_b64 s[36:37], vcc
	s_cbranch_execz .LBB8_949
; %bb.941:                              ;   in Loop: Header=BB8_907 Depth=2
	s_mov_b32 s68, 0
	s_mov_b64 s[58:59], 0
                                        ; implicit-def: $sgpr60_sgpr61
                                        ; implicit-def: $sgpr62_sgpr63
	s_branch .LBB8_943
.LBB8_942:                              ;   in Loop: Header=BB8_943 Depth=3
	s_or_b64 exec, exec, s[66:67]
	s_and_b64 vcc, exec, vcc
	s_or_b64 s[58:59], vcc, s[58:59]
	s_andn2_b64 vcc, s[60:61], exec
	s_and_b64 s[60:61], s[62:63], exec
	s_or_b64 s[60:61], vcc, s[60:61]
	s_andn2_b64 exec, exec, s[58:59]
	s_cbranch_execz .LBB8_947
.LBB8_943:                              ;   Parent Loop BB8_47 Depth=1
                                        ;     Parent Loop BB8_907 Depth=2
                                        ; =>    This Inner Loop Header: Depth=3
	s_add_i32 s68, s68, 1
	s_cmpk_lg_i32 s68, 0x2710
	s_cselect_b64 s[64:65], -1, 0
	s_and_b64 vcc, exec, s[64:65]
                                        ; implicit-def: $sgpr66_sgpr67
	s_cbranch_vccnz .LBB8_945
; %bb.944:                              ;   in Loop: Header=BB8_943 Depth=3
	s_trap 2
	ds_read_b64 v[0:1], v0
	s_andn2_b64 s[64:65], s[64:65], exec
	s_mov_b32 s68, 0
	s_mov_b64 s[66:67], -1
	s_waitcnt lgkmcnt(0)
	flat_load_dword v0, v[0:1] glc
	s_waitcnt vmcnt(0) lgkmcnt(0)
	buffer_invl2
	buffer_wbinvl1_vol
	v_cmp_eq_u32_e32 vcc, 0, v0
	s_and_b64 vcc, vcc, exec
	s_or_b64 s[64:65], s[64:65], vcc
.LBB8_945:                              ;   in Loop: Header=BB8_943 Depth=3
	s_andn2_b64 s[62:63], s[62:63], exec
	s_and_b64 s[66:67], s[66:67], exec
	s_mov_b64 vcc, -1
	s_or_b64 s[62:63], s[62:63], s[66:67]
	s_and_saveexec_b64 s[66:67], s[64:65]
	s_cbranch_execz .LBB8_942
; %bb.946:                              ;   in Loop: Header=BB8_943 Depth=3
	s_sleep 1
	s_trap 2
	ds_read_b64 v[0:1], v0
	v_accvgpr_read_b32 v2, a12
	v_accvgpr_read_b32 v3, a13
	s_andn2_b64 s[62:63], s[62:63], exec
	s_waitcnt lgkmcnt(0)
	v_cmp_ge_u64_e32 vcc, v[0:1], v[2:3]
	s_orn2_b64 vcc, vcc, exec
	s_branch .LBB8_942
.LBB8_947:                              ;   in Loop: Header=BB8_907 Depth=2
	s_or_b64 exec, exec, s[58:59]
	s_and_saveexec_b64 vcc, s[60:61]
	s_xor_b64 vcc, exec, vcc
	s_cbranch_execz .LBB8_949
; %bb.948:                              ;   in Loop: Header=BB8_907 Depth=2
	v_mov_b32_e32 v0, 1
	ds_write_b32 v0, v0
	s_trap 2
.LBB8_949:                              ;   in Loop: Header=BB8_907 Depth=2
	s_or_b64 exec, exec, s[36:37]
	;;#ASMSTART
	s_wakeup
	;;#ASMEND
.LBB8_950:                              ;   in Loop: Header=BB8_907 Depth=2
	s_or_b64 exec, exec, s[34:35]
.LBB8_951:                              ;   in Loop: Header=BB8_907 Depth=2
	s_andn2_saveexec_b64 vcc, s[30:31]
	s_cbranch_execz .LBB8_953
; %bb.952:                              ;   in Loop: Header=BB8_907 Depth=2
	s_waitcnt vmcnt(0) lgkmcnt(0)
	buffer_wbinvl1_vol
	s_barrier
.LBB8_953:                              ;   in Loop: Header=BB8_907 Depth=2
	s_or_b64 exec, exec, vcc
.LBB8_954:                              ;   in Loop: Header=BB8_907 Depth=2
	s_or_b64 exec, exec, s[28:29]
	s_trap 2
	ds_read_b32 v0, v0
	v_and_b32_e32 v1, 0x4000, v62
	v_cmp_ne_u32_e32 vcc, 0, v1
	s_xor_b64 s[28:29], s[6:7], -1
	s_and_b64 vcc, s[28:29], vcc
	s_and_saveexec_b64 s[28:29], vcc
	s_cbranch_execz .LBB8_973
; %bb.955:                              ;   in Loop: Header=BB8_907 Depth=2
	s_and_saveexec_b64 vcc, s[44:45]
	s_xor_b64 s[30:31], exec, vcc
	s_cbranch_execz .LBB8_970
; %bb.956:                              ;   in Loop: Header=BB8_907 Depth=2
	s_and_saveexec_b64 s[34:35], s[16:17]
	s_cbranch_execz .LBB8_969
; %bb.957:                              ;   in Loop: Header=BB8_907 Depth=2
	s_mov_b64 s[58:59], exec
	v_mbcnt_lo_u32_b32 v1, s58, 0
	v_mbcnt_hi_u32_b32 v1, s59, v1
	v_cmp_eq_u32_e32 vcc, 0, v1
	s_waitcnt vmcnt(0) lgkmcnt(0)
	buffer_wbinvl1_vol
	s_and_saveexec_b64 s[36:37], vcc
	s_cbranch_execz .LBB8_959
; %bb.958:                              ;   in Loop: Header=BB8_907 Depth=2
	s_bcnt1_i32_b64 vcc_lo, s[58:59]
	v_mov_b32_e32 v2, vcc_lo
	v_mov_b32_e32 v3, v42
	ds_add_u64 v0, v[2:3]
	s_trap 2
.LBB8_959:                              ;   in Loop: Header=BB8_907 Depth=2
	s_or_b64 exec, exec, s[36:37]
	s_trap 2
	ds_read_b64 v[2:3], v0
	v_accvgpr_read_b32 v8, a12
	v_accvgpr_read_b32 v10, a20
	;; [unrolled: 1-line block ×3, first 2 shown]
	v_add_co_u32_e32 v8, vcc, v8, v10
	v_addc_co_u32_e32 v9, vcc, 0, v9, vcc
	v_accvgpr_write_b32 a13, v9
	v_accvgpr_write_b32 a12, v8
	s_waitcnt lgkmcnt(0)
	v_cmp_lt_u64_e32 vcc, v[2:3], v[8:9]
	s_and_saveexec_b64 s[36:37], vcc
	s_cbranch_execz .LBB8_968
; %bb.960:                              ;   in Loop: Header=BB8_907 Depth=2
	s_mov_b32 s68, 0
	s_mov_b64 s[58:59], 0
                                        ; implicit-def: $sgpr60_sgpr61
                                        ; implicit-def: $sgpr62_sgpr63
	s_branch .LBB8_962
.LBB8_961:                              ;   in Loop: Header=BB8_962 Depth=3
	s_or_b64 exec, exec, s[66:67]
	s_and_b64 vcc, exec, vcc
	s_or_b64 s[58:59], vcc, s[58:59]
	s_andn2_b64 vcc, s[60:61], exec
	s_and_b64 s[60:61], s[62:63], exec
	s_or_b64 s[60:61], vcc, s[60:61]
	s_andn2_b64 exec, exec, s[58:59]
	s_cbranch_execz .LBB8_966
.LBB8_962:                              ;   Parent Loop BB8_47 Depth=1
                                        ;     Parent Loop BB8_907 Depth=2
                                        ; =>    This Inner Loop Header: Depth=3
	s_add_i32 s68, s68, 1
	s_cmpk_lg_i32 s68, 0x2710
	s_cselect_b64 s[64:65], -1, 0
	s_and_b64 vcc, exec, s[64:65]
                                        ; implicit-def: $sgpr66_sgpr67
	s_cbranch_vccnz .LBB8_964
; %bb.963:                              ;   in Loop: Header=BB8_962 Depth=3
	s_trap 2
	ds_read_b64 v[2:3], v0
	s_andn2_b64 s[64:65], s[64:65], exec
	s_mov_b32 s68, 0
	s_mov_b64 s[66:67], -1
	s_waitcnt lgkmcnt(0)
	flat_load_dword v1, v[2:3] glc
	s_waitcnt vmcnt(0) lgkmcnt(0)
	buffer_invl2
	buffer_wbinvl1_vol
	v_cmp_eq_u32_e32 vcc, 0, v1
	s_and_b64 vcc, vcc, exec
	s_or_b64 s[64:65], s[64:65], vcc
.LBB8_964:                              ;   in Loop: Header=BB8_962 Depth=3
	s_andn2_b64 s[62:63], s[62:63], exec
	s_and_b64 s[66:67], s[66:67], exec
	s_mov_b64 vcc, -1
	s_or_b64 s[62:63], s[62:63], s[66:67]
	s_and_saveexec_b64 s[66:67], s[64:65]
	s_cbranch_execz .LBB8_961
; %bb.965:                              ;   in Loop: Header=BB8_962 Depth=3
	s_sleep 1
	s_trap 2
	ds_read_b64 v[2:3], v0
	v_accvgpr_read_b32 v8, a12
	v_accvgpr_read_b32 v9, a13
	s_andn2_b64 s[62:63], s[62:63], exec
	s_waitcnt lgkmcnt(0)
	v_cmp_ge_u64_e32 vcc, v[2:3], v[8:9]
	s_orn2_b64 vcc, vcc, exec
	s_branch .LBB8_961
.LBB8_966:                              ;   in Loop: Header=BB8_907 Depth=2
	s_or_b64 exec, exec, s[58:59]
	s_and_saveexec_b64 vcc, s[60:61]
	s_xor_b64 vcc, exec, vcc
	s_cbranch_execz .LBB8_968
; %bb.967:                              ;   in Loop: Header=BB8_907 Depth=2
	v_mov_b32_e32 v1, 1
	ds_write_b32 v0, v1
	s_trap 2
.LBB8_968:                              ;   in Loop: Header=BB8_907 Depth=2
	s_or_b64 exec, exec, s[36:37]
	;;#ASMSTART
	s_wakeup
	;;#ASMEND
.LBB8_969:                              ;   in Loop: Header=BB8_907 Depth=2
	s_or_b64 exec, exec, s[34:35]
.LBB8_970:                              ;   in Loop: Header=BB8_907 Depth=2
	s_andn2_saveexec_b64 vcc, s[30:31]
	s_cbranch_execz .LBB8_972
; %bb.971:                              ;   in Loop: Header=BB8_907 Depth=2
	s_waitcnt vmcnt(0) lgkmcnt(0)
	buffer_wbinvl1_vol
	s_barrier
.LBB8_972:                              ;   in Loop: Header=BB8_907 Depth=2
	s_or_b64 exec, exec, vcc
.LBB8_973:                              ;   in Loop: Header=BB8_907 Depth=2
	s_or_b64 exec, exec, s[28:29]
	s_trap 2
	s_waitcnt lgkmcnt(0)
	ds_read_b64 v[2:3], v0
	v_mov_b32_e32 v59, 0
	s_waitcnt lgkmcnt(0)
	v_readfirstlane_b32 s28, v2
	v_readfirstlane_b32 s29, v3
	s_cmp_eq_u64 s[28:29], 0
	s_cselect_b64 s[28:29], -1, 0
	s_or_b64 s[28:29], s[28:29], s[28:29]
	s_and_b64 vcc, exec, s[28:29]
	s_cbranch_vccnz .LBB8_1816
; %bb.974:                              ;   in Loop: Header=BB8_907 Depth=2
	s_trap 2
	ds_read_b64 v[48:49], v0
	v_cmp_eq_u32_e32 vcc, 0, v0
	v_cndmask_b32_e32 v59, 0, v12, vcc
	v_lshlrev_b32_e32 v38, 1, v59
	s_waitcnt lgkmcnt(0)
	v_cmp_ne_u64_e32 vcc, 0, v[48:49]
	s_cbranch_vccz .LBB8_1118
; %bb.975:                              ;   in Loop: Header=BB8_907 Depth=2
	s_mov_b64 s[30:31], -1
	s_and_saveexec_b64 s[28:29], s[22:23]
	s_cbranch_execz .LBB8_977
; %bb.976:                              ;   in Loop: Header=BB8_907 Depth=2
	ds_read_b32 v0, v0 offset:720
	s_waitcnt lgkmcnt(0)
	v_and_b32_e32 v0, 15, v0
	v_cmp_eq_u32_e32 vcc, 0, v0
	s_orn2_b64 s[30:31], vcc, exec
.LBB8_977:                              ;   in Loop: Header=BB8_907 Depth=2
	s_or_b64 exec, exec, s[28:29]
	s_and_saveexec_b64 s[28:29], s[22:23]
	s_cbranch_execz .LBB8_979
; %bb.978:                              ;   in Loop: Header=BB8_907 Depth=2
	ds_read_b32 v0, v0 offset:784
	s_waitcnt lgkmcnt(0)
	v_and_b32_e32 v0, 15, v0
	v_cmp_eq_u32_e32 vcc, 0, v0
	s_and_b64 vcc, s[30:31], vcc
	s_andn2_b64 s[30:31], s[30:31], exec
	s_and_b64 vcc, vcc, exec
	s_or_b64 s[30:31], s[30:31], vcc
.LBB8_979:                              ;   in Loop: Header=BB8_907 Depth=2
	s_or_b64 exec, exec, s[28:29]
	s_xor_b64 vcc, s[30:31], -1
	v_cndmask_b32_e64 v0, 0, 1, vcc
	s_mov_b64 s[28:29], -1
	;;#ASMSTART
	;;#ASMEND
	v_cmp_ne_u32_e32 vcc, 0, v0
	s_cbranch_vccz .LBB8_1119
; %bb.980:                              ;   in Loop: Header=BB8_907 Depth=2
	v_and_b32_e32 v0, 1, v48
	v_accvgpr_write_b32 a59, v0
	s_mov_b64 s[58:59], -1
	s_mov_b32 s30, 0
	v_accvgpr_write_b32 a58, v14
	v_accvgpr_write_b32 a56, v12
	s_cbranch_execnz .LBB8_1120
.LBB8_981:                              ;   in Loop: Header=BB8_907 Depth=2
	v_ashrrev_i32_e32 v0, 31, v38
	v_lshrrev_b32_e32 v0, 21, v0
	s_trap 2
	ds_read_b128 v[30:33], v0
	v_add_u32_e32 v0, v38, v0
	v_ashrrev_i32_e32 v1, 11, v0
	v_accvgpr_read_b32 v0, a36
	v_accvgpr_read_b32 v8, a40
	v_accvgpr_write_b32 a63, v1
	v_sub_u32_e32 v0, v1, v0
	s_waitcnt lgkmcnt(0)
	v_add_co_u32_e32 v2, vcc, v30, v8
	v_accvgpr_read_b32 v1, a41
	v_addc_co_u32_e32 v3, vcc, v31, v1, vcc
	v_add_co_u32_e32 v8, vcc, v32, v8
	v_addc_co_u32_e32 v9, vcc, v33, v1, vcc
	v_and_b32_e32 v1, 1, v48
	v_accvgpr_write_b32 a59, v1
	v_cmp_lt_i32_e32 vcc, 0, v0
	s_mov_b64 s[28:29], 0
                                        ; implicit-def: $vgpr24_vgpr25
                                        ; implicit-def: $vgpr16_vgpr17
                                        ; implicit-def: $vgpr20_vgpr21
                                        ; implicit-def: $vgpr12_vgpr13
	s_and_saveexec_b64 s[30:31], vcc
	s_cbranch_execz .LBB8_1122
; %bb.982:                              ;   in Loop: Header=BB8_907 Depth=2
	s_trap 2
	ds_read_b128 v[10:13], v0
	v_accvgpr_read_b32 v14, a40
	v_accvgpr_read_b32 v1, a41
	v_accvgpr_write_b32 a6, v30
	v_accvgpr_write_b32 a7, v31
	s_waitcnt lgkmcnt(0)
	v_add_co_u32_e32 v10, vcc, v10, v14
	v_addc_co_u32_e32 v11, vcc, v11, v1, vcc
	v_accvgpr_write_b32 a8, v32
	v_accvgpr_write_b32 a9, v33
	v_add_co_u32_e32 v30, vcc, v12, v14
	v_addc_co_u32_e32 v31, vcc, v13, v1, vcc
	v_accvgpr_read_b32 v1, a59
	v_accvgpr_write_b32 a62, v48
	v_accvgpr_write_b32 a57, v38
	v_cmp_eq_u16_e64 s[28:29], 0, v1
	s_mov_b64 s[60:61], 0
	s_mov_b64 s[34:35], 0
                                        ; implicit-def: $sgpr36_sgpr37
                                        ; implicit-def: $vgpr24_vgpr25
                                        ; implicit-def: $vgpr16_vgpr17
                                        ; implicit-def: $vgpr20_vgpr21
                                        ; implicit-def: $vgpr12_vgpr13
	s_branch .LBB8_984
.LBB8_983:                              ;   in Loop: Header=BB8_984 Depth=3
	s_or_b64 exec, exec, s[62:63]
	v_cmp_gt_i32_e32 vcc, 1, v0
	s_or_b64 s[34:35], vcc, s[34:35]
	s_andn2_b64 vcc, s[36:37], exec
	s_and_b64 s[36:37], s[60:61], exec
	s_or_b64 s[36:37], vcc, s[36:37]
	s_andn2_b64 exec, exec, s[34:35]
	s_cbranch_execz .LBB8_1121
.LBB8_984:                              ;   Parent Loop BB8_47 Depth=1
                                        ;     Parent Loop BB8_907 Depth=2
                                        ; =>    This Inner Loop Header: Depth=3
	global_load_dwordx4 v[48:51], v[10:11], off glc slc
	global_load_dwordx4 v[32:35], v[10:11], off offset:1024 glc slc
	global_load_dwordx4 v[52:55], v[30:31], off glc slc
	global_load_dwordx4 v[36:39], v[30:31], off offset:1024 glc slc
	s_and_saveexec_b64 s[62:63], s[60:61]
	s_cbranch_execz .LBB8_1050
; %bb.985:                              ;   in Loop: Header=BB8_984 Depth=3
	v_lshlrev_b32_e32 v1, 16, v24
	v_lshlrev_b32_e32 v5, 16, v20
	v_max_f32_e32 v5, v5, v5
	v_max_f32_e32 v1, v1, v1
	v_min_f32_e32 v28, v1, v5
	v_max_f32_e32 v1, v1, v5
	v_cndmask_b32_e64 v1, v1, v28, s[28:29]
	v_and_b32_e32 v5, 0x7f800000, v1
	v_cmp_ne_u32_e32 vcc, s91, v5
                                        ; implicit-def: $agpr0
	s_and_saveexec_b64 s[60:61], vcc
	s_xor_b64 vcc, exec, s[60:61]
; %bb.986:                              ;   in Loop: Header=BB8_984 Depth=3
	v_bfe_u32 v5, v1, 16, 1
	v_add3_u32 v1, v1, v5, s92
	v_accvgpr_write_b32 a0, v1
                                        ; implicit-def: $vgpr1
; %bb.987:                              ;   in Loop: Header=BB8_984 Depth=3
	s_andn2_saveexec_b64 s[60:61], vcc
; %bb.988:                              ;   in Loop: Header=BB8_984 Depth=3
	v_or_b32_e32 v5, 0x10000, v1
	v_cmp_eq_u32_sdwa vcc, v1, v42 src0_sel:WORD_0 src1_sel:DWORD
	v_cndmask_b32_e32 v1, v5, v1, vcc
	v_accvgpr_write_b32 a0, v1
; %bb.989:                              ;   in Loop: Header=BB8_984 Depth=3
	s_or_b64 exec, exec, s[60:61]
	v_and_b32_e32 v1, 0xffff0000, v24
	v_and_b32_e32 v5, 0xffff0000, v20
	v_max_f32_e32 v5, v5, v5
	v_max_f32_e32 v1, v1, v1
	v_min_f32_e32 v24, v1, v5
	v_max_f32_e32 v1, v1, v5
	v_cndmask_b32_e64 v1, v1, v24, s[28:29]
	v_and_b32_e32 v5, 0x7f800000, v1
	v_cmp_ne_u32_e32 vcc, s91, v5
                                        ; implicit-def: $vgpr41
	s_and_saveexec_b64 s[60:61], vcc
	s_xor_b64 vcc, exec, s[60:61]
; %bb.990:                              ;   in Loop: Header=BB8_984 Depth=3
	v_bfe_u32 v5, v1, 16, 1
	v_add3_u32 v41, v1, v5, s92
                                        ; implicit-def: $vgpr1
; %bb.991:                              ;   in Loop: Header=BB8_984 Depth=3
	s_andn2_saveexec_b64 s[60:61], vcc
; %bb.992:                              ;   in Loop: Header=BB8_984 Depth=3
	v_or_b32_e32 v5, 0x10000, v1
	v_cmp_eq_u32_sdwa vcc, v1, v42 src0_sel:WORD_0 src1_sel:DWORD
	v_cndmask_b32_e32 v41, v5, v1, vcc
; %bb.993:                              ;   in Loop: Header=BB8_984 Depth=3
	s_or_b64 exec, exec, s[60:61]
	v_lshlrev_b32_e32 v1, 16, v25
	v_lshlrev_b32_e32 v5, 16, v21
	v_max_f32_e32 v5, v5, v5
	v_max_f32_e32 v1, v1, v1
	v_min_f32_e32 v24, v1, v5
	v_max_f32_e32 v1, v1, v5
	v_cndmask_b32_e64 v1, v1, v24, s[28:29]
	v_and_b32_e32 v5, 0x7f800000, v1
	v_cmp_ne_u32_e32 vcc, s91, v5
                                        ; implicit-def: $vgpr24
	s_and_saveexec_b64 s[60:61], vcc
	s_xor_b64 vcc, exec, s[60:61]
; %bb.994:                              ;   in Loop: Header=BB8_984 Depth=3
	v_bfe_u32 v5, v1, 16, 1
	v_add3_u32 v24, v1, v5, s92
                                        ; implicit-def: $vgpr1
; %bb.995:                              ;   in Loop: Header=BB8_984 Depth=3
	s_andn2_saveexec_b64 s[60:61], vcc
; %bb.996:                              ;   in Loop: Header=BB8_984 Depth=3
	v_or_b32_e32 v5, 0x10000, v1
	v_cmp_eq_u32_sdwa vcc, v1, v42 src0_sel:WORD_0 src1_sel:DWORD
	v_cndmask_b32_e32 v24, v5, v1, vcc
; %bb.997:                              ;   in Loop: Header=BB8_984 Depth=3
	s_or_b64 exec, exec, s[60:61]
	v_and_b32_e32 v1, 0xffff0000, v25
	v_and_b32_e32 v5, 0xffff0000, v21
	v_max_f32_e32 v5, v5, v5
	v_max_f32_e32 v1, v1, v1
	v_min_f32_e32 v25, v1, v5
	v_max_f32_e32 v1, v1, v5
	v_cndmask_b32_e64 v1, v1, v25, s[28:29]
	v_and_b32_e32 v5, 0x7f800000, v1
	v_cmp_ne_u32_e32 vcc, s91, v5
                                        ; implicit-def: $vgpr25
	s_and_saveexec_b64 s[60:61], vcc
	s_xor_b64 vcc, exec, s[60:61]
; %bb.998:                              ;   in Loop: Header=BB8_984 Depth=3
	v_bfe_u32 v5, v1, 16, 1
	v_add3_u32 v25, v1, v5, s92
                                        ; implicit-def: $vgpr1
; %bb.999:                              ;   in Loop: Header=BB8_984 Depth=3
	s_andn2_saveexec_b64 s[60:61], vcc
; %bb.1000:                             ;   in Loop: Header=BB8_984 Depth=3
	v_or_b32_e32 v5, 0x10000, v1
	v_cmp_eq_u32_sdwa vcc, v1, v42 src0_sel:WORD_0 src1_sel:DWORD
	v_cndmask_b32_e32 v25, v5, v1, vcc
; %bb.1001:                             ;   in Loop: Header=BB8_984 Depth=3
	s_or_b64 exec, exec, s[60:61]
	v_lshlrev_b32_e32 v1, 16, v26
	v_lshlrev_b32_e32 v5, 16, v22
	v_max_f32_e32 v5, v5, v5
	v_max_f32_e32 v1, v1, v1
	v_min_f32_e32 v28, v1, v5
	v_max_f32_e32 v1, v1, v5
	v_cndmask_b32_e64 v1, v1, v28, s[28:29]
	v_and_b32_e32 v5, 0x7f800000, v1
	v_cmp_ne_u32_e32 vcc, s91, v5
                                        ; implicit-def: $vgpr56
	s_and_saveexec_b64 s[60:61], vcc
	s_xor_b64 vcc, exec, s[60:61]
; %bb.1002:                             ;   in Loop: Header=BB8_984 Depth=3
	v_bfe_u32 v5, v1, 16, 1
	v_add3_u32 v56, v1, v5, s92
                                        ; implicit-def: $vgpr1
; %bb.1003:                             ;   in Loop: Header=BB8_984 Depth=3
	s_andn2_saveexec_b64 s[60:61], vcc
; %bb.1004:                             ;   in Loop: Header=BB8_984 Depth=3
	v_or_b32_e32 v5, 0x10000, v1
	v_cmp_eq_u32_sdwa vcc, v1, v42 src0_sel:WORD_0 src1_sel:DWORD
	v_cndmask_b32_e32 v56, v5, v1, vcc
; %bb.1005:                             ;   in Loop: Header=BB8_984 Depth=3
	s_or_b64 exec, exec, s[60:61]
	v_and_b32_e32 v1, 0xffff0000, v26
	v_and_b32_e32 v5, 0xffff0000, v22
	v_max_f32_e32 v5, v5, v5
	v_max_f32_e32 v1, v1, v1
	v_min_f32_e32 v26, v1, v5
	v_max_f32_e32 v1, v1, v5
	v_cndmask_b32_e64 v1, v1, v26, s[28:29]
	v_and_b32_e32 v5, 0x7f800000, v1
	v_cmp_ne_u32_e32 vcc, s91, v5
                                        ; implicit-def: $vgpr26
	s_and_saveexec_b64 s[60:61], vcc
	s_xor_b64 vcc, exec, s[60:61]
; %bb.1006:                             ;   in Loop: Header=BB8_984 Depth=3
	v_bfe_u32 v5, v1, 16, 1
	v_add3_u32 v26, v1, v5, s92
                                        ; implicit-def: $vgpr1
; %bb.1007:                             ;   in Loop: Header=BB8_984 Depth=3
	s_andn2_saveexec_b64 s[60:61], vcc
; %bb.1008:                             ;   in Loop: Header=BB8_984 Depth=3
	v_or_b32_e32 v5, 0x10000, v1
	v_cmp_eq_u32_sdwa vcc, v1, v42 src0_sel:WORD_0 src1_sel:DWORD
	v_cndmask_b32_e32 v26, v5, v1, vcc
; %bb.1009:                             ;   in Loop: Header=BB8_984 Depth=3
	s_or_b64 exec, exec, s[60:61]
	v_lshlrev_b32_e32 v1, 16, v27
	v_lshlrev_b32_e32 v5, 16, v23
	v_max_f32_e32 v5, v5, v5
	v_max_f32_e32 v1, v1, v1
	v_min_f32_e32 v28, v1, v5
	v_max_f32_e32 v1, v1, v5
	v_cndmask_b32_e64 v1, v1, v28, s[28:29]
	v_and_b32_e32 v5, 0x7f800000, v1
	v_cmp_ne_u32_e32 vcc, s91, v5
                                        ; implicit-def: $vgpr57
	s_and_saveexec_b64 s[60:61], vcc
	s_xor_b64 vcc, exec, s[60:61]
; %bb.1010:                             ;   in Loop: Header=BB8_984 Depth=3
	v_bfe_u32 v5, v1, 16, 1
	v_add3_u32 v57, v1, v5, s92
                                        ; implicit-def: $vgpr1
; %bb.1011:                             ;   in Loop: Header=BB8_984 Depth=3
	s_andn2_saveexec_b64 s[60:61], vcc
; %bb.1012:                             ;   in Loop: Header=BB8_984 Depth=3
	v_or_b32_e32 v5, 0x10000, v1
	v_cmp_eq_u32_sdwa vcc, v1, v42 src0_sel:WORD_0 src1_sel:DWORD
	v_cndmask_b32_e32 v57, v5, v1, vcc
; %bb.1013:                             ;   in Loop: Header=BB8_984 Depth=3
	s_or_b64 exec, exec, s[60:61]
	v_and_b32_e32 v1, 0xffff0000, v27
	v_and_b32_e32 v5, 0xffff0000, v23
	v_max_f32_e32 v5, v5, v5
	v_max_f32_e32 v1, v1, v1
	v_min_f32_e32 v27, v1, v5
	v_max_f32_e32 v1, v1, v5
	v_cndmask_b32_e64 v1, v1, v27, s[28:29]
	v_and_b32_e32 v5, 0x7f800000, v1
	v_cmp_ne_u32_e32 vcc, s91, v5
                                        ; implicit-def: $vgpr5
	s_and_saveexec_b64 s[60:61], vcc
	s_xor_b64 vcc, exec, s[60:61]
; %bb.1014:                             ;   in Loop: Header=BB8_984 Depth=3
	v_bfe_u32 v5, v1, 16, 1
	v_add3_u32 v5, v1, v5, s92
                                        ; implicit-def: $vgpr1
; %bb.1015:                             ;   in Loop: Header=BB8_984 Depth=3
	s_andn2_saveexec_b64 s[60:61], vcc
; %bb.1016:                             ;   in Loop: Header=BB8_984 Depth=3
	v_or_b32_e32 v5, 0x10000, v1
	v_cmp_eq_u32_sdwa vcc, v1, v42 src0_sel:WORD_0 src1_sel:DWORD
	v_cndmask_b32_e32 v5, v5, v1, vcc
; %bb.1017:                             ;   in Loop: Header=BB8_984 Depth=3
	s_or_b64 exec, exec, s[60:61]
	v_lshlrev_b32_e32 v1, 16, v16
	v_lshlrev_b32_e32 v27, 16, v12
	v_max_f32_e32 v27, v27, v27
	v_max_f32_e32 v1, v1, v1
	v_min_f32_e32 v28, v1, v27
	v_max_f32_e32 v1, v1, v27
	v_cndmask_b32_e64 v27, v1, v28, s[28:29]
	v_and_b32_e32 v1, 0x7f800000, v27
	v_cmp_ne_u32_e32 vcc, s91, v1
                                        ; implicit-def: $vgpr1
	s_and_saveexec_b64 s[60:61], vcc
	s_xor_b64 vcc, exec, s[60:61]
; %bb.1018:                             ;   in Loop: Header=BB8_984 Depth=3
	v_bfe_u32 v1, v27, 16, 1
	v_add3_u32 v1, v27, v1, s92
                                        ; implicit-def: $vgpr27
; %bb.1019:                             ;   in Loop: Header=BB8_984 Depth=3
	s_andn2_saveexec_b64 s[60:61], vcc
; %bb.1020:                             ;   in Loop: Header=BB8_984 Depth=3
	v_or_b32_e32 v1, 0x10000, v27
	v_cmp_eq_u32_sdwa vcc, v27, v42 src0_sel:WORD_0 src1_sel:DWORD
	v_cndmask_b32_e32 v1, v1, v27, vcc
; %bb.1021:                             ;   in Loop: Header=BB8_984 Depth=3
	s_or_b64 exec, exec, s[60:61]
	v_and_b32_e32 v16, 0xffff0000, v16
	v_and_b32_e32 v27, 0xffff0000, v12
	v_max_f32_e32 v27, v27, v27
	v_max_f32_e32 v16, v16, v16
	v_min_f32_e32 v28, v16, v27
	v_max_f32_e32 v16, v16, v27
	v_cndmask_b32_e64 v27, v16, v28, s[28:29]
	v_and_b32_e32 v16, 0x7f800000, v27
	v_cmp_ne_u32_e32 vcc, s91, v16
                                        ; implicit-def: $vgpr16
	s_and_saveexec_b64 s[60:61], vcc
	s_xor_b64 vcc, exec, s[60:61]
; %bb.1022:                             ;   in Loop: Header=BB8_984 Depth=3
	v_bfe_u32 v16, v27, 16, 1
	v_add3_u32 v16, v27, v16, s92
                                        ; implicit-def: $vgpr27
; %bb.1023:                             ;   in Loop: Header=BB8_984 Depth=3
	s_andn2_saveexec_b64 s[60:61], vcc
; %bb.1024:                             ;   in Loop: Header=BB8_984 Depth=3
	v_or_b32_e32 v16, 0x10000, v27
	v_cmp_eq_u32_sdwa vcc, v27, v42 src0_sel:WORD_0 src1_sel:DWORD
	v_cndmask_b32_e32 v16, v16, v27, vcc
; %bb.1025:                             ;   in Loop: Header=BB8_984 Depth=3
	s_or_b64 exec, exec, s[60:61]
	v_lshlrev_b32_e32 v27, 16, v17
	v_lshlrev_b32_e32 v28, 16, v13
	v_max_f32_e32 v28, v28, v28
	v_max_f32_e32 v27, v27, v27
	v_min_f32_e32 v29, v27, v28
	v_max_f32_e32 v27, v27, v28
	v_cndmask_b32_e64 v27, v27, v29, s[28:29]
	v_and_b32_e32 v28, 0x7f800000, v27
	v_cmp_ne_u32_e32 vcc, s91, v28
                                        ; implicit-def: $vgpr29
	s_and_saveexec_b64 s[60:61], vcc
	s_xor_b64 vcc, exec, s[60:61]
; %bb.1026:                             ;   in Loop: Header=BB8_984 Depth=3
	v_bfe_u32 v28, v27, 16, 1
	v_add3_u32 v29, v27, v28, s92
                                        ; implicit-def: $vgpr27
; %bb.1027:                             ;   in Loop: Header=BB8_984 Depth=3
	s_andn2_saveexec_b64 s[60:61], vcc
; %bb.1028:                             ;   in Loop: Header=BB8_984 Depth=3
	v_or_b32_e32 v28, 0x10000, v27
	v_cmp_eq_u32_sdwa vcc, v27, v42 src0_sel:WORD_0 src1_sel:DWORD
	v_cndmask_b32_e32 v29, v28, v27, vcc
; %bb.1029:                             ;   in Loop: Header=BB8_984 Depth=3
	s_or_b64 exec, exec, s[60:61]
	v_and_b32_e32 v17, 0xffff0000, v17
	v_and_b32_e32 v27, 0xffff0000, v13
	v_max_f32_e32 v27, v27, v27
	v_max_f32_e32 v17, v17, v17
	v_min_f32_e32 v28, v17, v27
	v_max_f32_e32 v17, v17, v27
	v_cndmask_b32_e64 v27, v17, v28, s[28:29]
	v_and_b32_e32 v17, 0x7f800000, v27
	v_cmp_ne_u32_e32 vcc, s91, v17
                                        ; implicit-def: $vgpr17
	s_and_saveexec_b64 s[60:61], vcc
	s_xor_b64 vcc, exec, s[60:61]
; %bb.1030:                             ;   in Loop: Header=BB8_984 Depth=3
	v_bfe_u32 v17, v27, 16, 1
	v_add3_u32 v17, v27, v17, s92
                                        ; implicit-def: $vgpr27
; %bb.1031:                             ;   in Loop: Header=BB8_984 Depth=3
	s_andn2_saveexec_b64 s[60:61], vcc
; %bb.1032:                             ;   in Loop: Header=BB8_984 Depth=3
	v_or_b32_e32 v17, 0x10000, v27
	v_cmp_eq_u32_sdwa vcc, v27, v42 src0_sel:WORD_0 src1_sel:DWORD
	v_cndmask_b32_e32 v17, v17, v27, vcc
; %bb.1033:                             ;   in Loop: Header=BB8_984 Depth=3
	s_or_b64 exec, exec, s[60:61]
	v_lshlrev_b32_e32 v27, 16, v18
	v_lshlrev_b32_e32 v28, 16, v14
	v_max_f32_e32 v28, v28, v28
	v_max_f32_e32 v27, v27, v27
	v_min_f32_e32 v43, v27, v28
	v_max_f32_e32 v27, v27, v28
	v_cndmask_b32_e64 v27, v27, v43, s[28:29]
	v_and_b32_e32 v28, 0x7f800000, v27
	v_cmp_ne_u32_e32 vcc, s91, v28
                                        ; implicit-def: $vgpr43
	s_and_saveexec_b64 s[60:61], vcc
	s_xor_b64 vcc, exec, s[60:61]
; %bb.1034:                             ;   in Loop: Header=BB8_984 Depth=3
	v_bfe_u32 v28, v27, 16, 1
	v_add3_u32 v43, v27, v28, s92
                                        ; implicit-def: $vgpr27
; %bb.1035:                             ;   in Loop: Header=BB8_984 Depth=3
	s_andn2_saveexec_b64 s[60:61], vcc
; %bb.1036:                             ;   in Loop: Header=BB8_984 Depth=3
	v_or_b32_e32 v28, 0x10000, v27
	v_cmp_eq_u32_sdwa vcc, v27, v42 src0_sel:WORD_0 src1_sel:DWORD
	v_cndmask_b32_e32 v43, v28, v27, vcc
; %bb.1037:                             ;   in Loop: Header=BB8_984 Depth=3
	s_or_b64 exec, exec, s[60:61]
	v_and_b32_e32 v18, 0xffff0000, v18
	v_and_b32_e32 v27, 0xffff0000, v14
	v_max_f32_e32 v27, v27, v27
	v_max_f32_e32 v18, v18, v18
	v_min_f32_e32 v28, v18, v27
	v_max_f32_e32 v18, v18, v27
	v_cndmask_b32_e64 v27, v18, v28, s[28:29]
	v_and_b32_e32 v18, 0x7f800000, v27
	v_cmp_ne_u32_e32 vcc, s91, v18
                                        ; implicit-def: $vgpr18
	s_and_saveexec_b64 s[60:61], vcc
	s_xor_b64 vcc, exec, s[60:61]
; %bb.1038:                             ;   in Loop: Header=BB8_984 Depth=3
	v_bfe_u32 v18, v27, 16, 1
	v_add3_u32 v18, v27, v18, s92
                                        ; implicit-def: $vgpr27
; %bb.1039:                             ;   in Loop: Header=BB8_984 Depth=3
	s_andn2_saveexec_b64 s[60:61], vcc
; %bb.1040:                             ;   in Loop: Header=BB8_984 Depth=3
	v_or_b32_e32 v18, 0x10000, v27
	v_cmp_eq_u32_sdwa vcc, v27, v42 src0_sel:WORD_0 src1_sel:DWORD
	v_cndmask_b32_e32 v18, v18, v27, vcc
; %bb.1041:                             ;   in Loop: Header=BB8_984 Depth=3
	s_or_b64 exec, exec, s[60:61]
	v_lshlrev_b32_e32 v27, 16, v19
	v_lshlrev_b32_e32 v28, 16, v15
	v_max_f32_e32 v28, v28, v28
	v_max_f32_e32 v27, v27, v27
	v_min_f32_e32 v58, v27, v28
	v_max_f32_e32 v27, v27, v28
	v_cndmask_b32_e64 v27, v27, v58, s[28:29]
	v_and_b32_e32 v28, 0x7f800000, v27
	v_cmp_ne_u32_e32 vcc, s91, v28
                                        ; implicit-def: $vgpr58
	s_and_saveexec_b64 s[60:61], vcc
	s_xor_b64 vcc, exec, s[60:61]
; %bb.1042:                             ;   in Loop: Header=BB8_984 Depth=3
	v_bfe_u32 v28, v27, 16, 1
	v_add3_u32 v58, v27, v28, s92
                                        ; implicit-def: $vgpr27
; %bb.1043:                             ;   in Loop: Header=BB8_984 Depth=3
	s_andn2_saveexec_b64 s[60:61], vcc
; %bb.1044:                             ;   in Loop: Header=BB8_984 Depth=3
	v_or_b32_e32 v28, 0x10000, v27
	v_cmp_eq_u32_sdwa vcc, v27, v42 src0_sel:WORD_0 src1_sel:DWORD
	v_cndmask_b32_e32 v58, v28, v27, vcc
; %bb.1045:                             ;   in Loop: Header=BB8_984 Depth=3
	s_or_b64 exec, exec, s[60:61]
	v_and_b32_e32 v19, 0xffff0000, v19
	v_and_b32_e32 v27, 0xffff0000, v15
	v_max_f32_e32 v27, v27, v27
	v_max_f32_e32 v19, v19, v19
	v_min_f32_e32 v28, v19, v27
	v_max_f32_e32 v19, v19, v27
	v_cndmask_b32_e64 v27, v19, v28, s[28:29]
	v_and_b32_e32 v19, 0x7f800000, v27
	v_cmp_ne_u32_e32 vcc, s91, v19
                                        ; implicit-def: $vgpr19
	s_and_saveexec_b64 s[60:61], vcc
	s_xor_b64 vcc, exec, s[60:61]
; %bb.1046:                             ;   in Loop: Header=BB8_984 Depth=3
	v_bfe_u32 v19, v27, 16, 1
	v_add3_u32 v19, v27, v19, s92
                                        ; implicit-def: $vgpr27
; %bb.1047:                             ;   in Loop: Header=BB8_984 Depth=3
	s_andn2_saveexec_b64 s[60:61], vcc
; %bb.1048:                             ;   in Loop: Header=BB8_984 Depth=3
	v_or_b32_e32 v19, 0x10000, v27
	v_cmp_eq_u32_sdwa vcc, v27, v42 src0_sel:WORD_0 src1_sel:DWORD
	v_cndmask_b32_e32 v19, v19, v27, vcc
; %bb.1049:                             ;   in Loop: Header=BB8_984 Depth=3
	s_or_b64 exec, exec, s[60:61]
	v_lshrrev_b32_e32 v24, 16, v24
	v_and_or_b32 v25, v25, s93, v24
	v_accvgpr_read_b32 v24, a0
	v_lshrrev_b32_e32 v27, 16, v56
	v_lshrrev_b32_e32 v1, 16, v1
	;; [unrolled: 1-line block ×3, first 2 shown]
	v_and_or_b32 v26, v26, s93, v27
	v_lshrrev_b32_e32 v27, 16, v57
	v_and_or_b32 v16, v16, s93, v1
	v_lshrrev_b32_e32 v1, 16, v43
	v_and_or_b32 v24, v41, s93, v24
	v_and_or_b32 v27, v5, s93, v27
	v_lshrrev_b32_e32 v5, 16, v29
	v_and_or_b32 v18, v18, s93, v1
	v_lshrrev_b32_e32 v1, 16, v58
	v_and_or_b32 v17, v17, s93, v5
	v_and_or_b32 v19, v19, s93, v1
	global_store_dwordx4 v[2:3], v[24:27], off glc slc
	global_store_dwordx4 v[2:3], v[16:19], off offset:1024 glc slc
	global_store_dwordx4 v[8:9], v[24:27], off glc slc
	global_store_dwordx4 v[8:9], v[16:19], off offset:1024 glc slc
	v_add_co_u32_e32 v2, vcc, v2, v7
	v_addc_co_u32_e32 v3, vcc, v3, v4, vcc
	v_add_co_u32_e32 v8, vcc, v8, v7
	v_addc_co_u32_e32 v9, vcc, v9, v4, vcc
.LBB8_1050:                             ;   in Loop: Header=BB8_984 Depth=3
	s_or_b64 exec, exec, s[62:63]
	v_add_co_u32_e32 v10, vcc, v10, v7
	v_addc_co_u32_e32 v11, vcc, v11, v4, vcc
	v_accvgpr_read_b32 v28, a20
	v_add_co_u32_e32 v30, vcc, v30, v7
	v_sub_u32_e32 v0, v0, v28
	v_addc_co_u32_e32 v31, vcc, v31, v4, vcc
	v_cmp_lt_i32_e64 s[60:61], 0, v0
	s_and_saveexec_b64 s[62:63], s[60:61]
	s_cbranch_execz .LBB8_1052
; %bb.1051:                             ;   in Loop: Header=BB8_984 Depth=3
	global_load_dwordx4 v[24:27], v[10:11], off glc slc
	global_load_dwordx4 v[16:19], v[10:11], off offset:1024 glc slc
	global_load_dwordx4 v[20:23], v[30:31], off glc slc
	global_load_dwordx4 v[12:15], v[30:31], off offset:1024 glc slc
	v_add_co_u32_e32 v10, vcc, s78, v10
	v_addc_co_u32_e32 v11, vcc, 0, v11, vcc
	v_add_co_u32_e32 v30, vcc, 0x800, v30
	v_addc_co_u32_e32 v31, vcc, 0, v31, vcc
.LBB8_1052:                             ;   in Loop: Header=BB8_984 Depth=3
	s_or_b64 exec, exec, s[62:63]
	s_waitcnt vmcnt(0)
	v_lshlrev_b32_e32 v1, 16, v48
	v_lshlrev_b32_e32 v5, 16, v52
	v_max_f32_e32 v5, v5, v5
	v_max_f32_e32 v1, v1, v1
	v_min_f32_e32 v28, v1, v5
	v_max_f32_e32 v1, v1, v5
	v_cndmask_b32_e64 v5, v1, v28, s[28:29]
	v_and_b32_e32 v1, 0x7f800000, v5
	v_cmp_ne_u32_e32 vcc, s91, v1
                                        ; implicit-def: $vgpr1
	s_and_saveexec_b64 s[62:63], vcc
	s_xor_b64 vcc, exec, s[62:63]
; %bb.1053:                             ;   in Loop: Header=BB8_984 Depth=3
	v_bfe_u32 v1, v5, 16, 1
	v_add3_u32 v1, v5, v1, s92
                                        ; implicit-def: $vgpr5
; %bb.1054:                             ;   in Loop: Header=BB8_984 Depth=3
	s_andn2_saveexec_b64 s[62:63], vcc
; %bb.1055:                             ;   in Loop: Header=BB8_984 Depth=3
	v_or_b32_e32 v1, 0x10000, v5
	v_cmp_eq_u32_sdwa vcc, v5, v42 src0_sel:WORD_0 src1_sel:DWORD
	v_cndmask_b32_e32 v1, v1, v5, vcc
; %bb.1056:                             ;   in Loop: Header=BB8_984 Depth=3
	s_or_b64 exec, exec, s[62:63]
	v_and_b32_e32 v5, 0xffff0000, v48
	v_and_b32_e32 v28, 0xffff0000, v52
	v_max_f32_e32 v28, v28, v28
	v_max_f32_e32 v5, v5, v5
	v_min_f32_e32 v29, v5, v28
	v_max_f32_e32 v5, v5, v28
	v_cndmask_b32_e64 v5, v5, v29, s[28:29]
	v_and_b32_e32 v28, 0x7f800000, v5
	v_cmp_ne_u32_e32 vcc, s91, v28
                                        ; implicit-def: $vgpr48
	s_and_saveexec_b64 s[62:63], vcc
	s_xor_b64 vcc, exec, s[62:63]
; %bb.1057:                             ;   in Loop: Header=BB8_984 Depth=3
	v_bfe_u32 v28, v5, 16, 1
	v_add3_u32 v48, v5, v28, s92
                                        ; implicit-def: $vgpr5
; %bb.1058:                             ;   in Loop: Header=BB8_984 Depth=3
	s_andn2_saveexec_b64 s[62:63], vcc
; %bb.1059:                             ;   in Loop: Header=BB8_984 Depth=3
	v_or_b32_e32 v28, 0x10000, v5
	v_cmp_eq_u32_sdwa vcc, v5, v42 src0_sel:WORD_0 src1_sel:DWORD
	v_cndmask_b32_e32 v48, v28, v5, vcc
; %bb.1060:                             ;   in Loop: Header=BB8_984 Depth=3
	s_or_b64 exec, exec, s[62:63]
	v_lshlrev_b32_e32 v5, 16, v49
	v_lshlrev_b32_e32 v28, 16, v53
	v_max_f32_e32 v28, v28, v28
	v_max_f32_e32 v5, v5, v5
	v_min_f32_e32 v29, v5, v28
	v_max_f32_e32 v5, v5, v28
	v_cndmask_b32_e64 v5, v5, v29, s[28:29]
	v_and_b32_e32 v28, 0x7f800000, v5
	v_cmp_ne_u32_e32 vcc, s91, v28
                                        ; implicit-def: $vgpr52
	s_and_saveexec_b64 s[62:63], vcc
	s_xor_b64 vcc, exec, s[62:63]
; %bb.1061:                             ;   in Loop: Header=BB8_984 Depth=3
	v_bfe_u32 v28, v5, 16, 1
	v_add3_u32 v52, v5, v28, s92
                                        ; implicit-def: $vgpr5
; %bb.1062:                             ;   in Loop: Header=BB8_984 Depth=3
	s_andn2_saveexec_b64 s[62:63], vcc
; %bb.1063:                             ;   in Loop: Header=BB8_984 Depth=3
	v_or_b32_e32 v28, 0x10000, v5
	v_cmp_eq_u32_sdwa vcc, v5, v42 src0_sel:WORD_0 src1_sel:DWORD
	v_cndmask_b32_e32 v52, v28, v5, vcc
; %bb.1064:                             ;   in Loop: Header=BB8_984 Depth=3
	s_or_b64 exec, exec, s[62:63]
	v_and_b32_e32 v5, 0xffff0000, v49
	v_and_b32_e32 v28, 0xffff0000, v53
	v_max_f32_e32 v28, v28, v28
	v_max_f32_e32 v5, v5, v5
	v_min_f32_e32 v29, v5, v28
	v_max_f32_e32 v5, v5, v28
	v_cndmask_b32_e64 v5, v5, v29, s[28:29]
	v_and_b32_e32 v28, 0x7f800000, v5
	v_cmp_ne_u32_e32 vcc, s91, v28
                                        ; implicit-def: $vgpr49
	s_and_saveexec_b64 s[62:63], vcc
	s_xor_b64 vcc, exec, s[62:63]
; %bb.1065:                             ;   in Loop: Header=BB8_984 Depth=3
	v_bfe_u32 v28, v5, 16, 1
	v_add3_u32 v49, v5, v28, s92
                                        ; implicit-def: $vgpr5
; %bb.1066:                             ;   in Loop: Header=BB8_984 Depth=3
	s_andn2_saveexec_b64 s[62:63], vcc
; %bb.1067:                             ;   in Loop: Header=BB8_984 Depth=3
	v_or_b32_e32 v28, 0x10000, v5
	v_cmp_eq_u32_sdwa vcc, v5, v42 src0_sel:WORD_0 src1_sel:DWORD
	v_cndmask_b32_e32 v49, v28, v5, vcc
; %bb.1068:                             ;   in Loop: Header=BB8_984 Depth=3
	s_or_b64 exec, exec, s[62:63]
	v_lshlrev_b32_e32 v5, 16, v50
	v_lshlrev_b32_e32 v28, 16, v54
	v_max_f32_e32 v28, v28, v28
	v_max_f32_e32 v5, v5, v5
	v_min_f32_e32 v29, v5, v28
	v_max_f32_e32 v5, v5, v28
	v_cndmask_b32_e64 v5, v5, v29, s[28:29]
	v_and_b32_e32 v28, 0x7f800000, v5
	v_cmp_ne_u32_e32 vcc, s91, v28
                                        ; implicit-def: $vgpr53
	s_and_saveexec_b64 s[62:63], vcc
	s_xor_b64 vcc, exec, s[62:63]
; %bb.1069:                             ;   in Loop: Header=BB8_984 Depth=3
	v_bfe_u32 v28, v5, 16, 1
	v_add3_u32 v53, v5, v28, s92
                                        ; implicit-def: $vgpr5
; %bb.1070:                             ;   in Loop: Header=BB8_984 Depth=3
	s_andn2_saveexec_b64 s[62:63], vcc
; %bb.1071:                             ;   in Loop: Header=BB8_984 Depth=3
	v_or_b32_e32 v28, 0x10000, v5
	v_cmp_eq_u32_sdwa vcc, v5, v42 src0_sel:WORD_0 src1_sel:DWORD
	v_cndmask_b32_e32 v53, v28, v5, vcc
; %bb.1072:                             ;   in Loop: Header=BB8_984 Depth=3
	s_or_b64 exec, exec, s[62:63]
	v_and_b32_e32 v5, 0xffff0000, v50
	v_and_b32_e32 v28, 0xffff0000, v54
	v_max_f32_e32 v28, v28, v28
	v_max_f32_e32 v5, v5, v5
	v_min_f32_e32 v29, v5, v28
	v_max_f32_e32 v5, v5, v28
	v_cndmask_b32_e64 v5, v5, v29, s[28:29]
	v_and_b32_e32 v28, 0x7f800000, v5
	v_cmp_ne_u32_e32 vcc, s91, v28
                                        ; implicit-def: $vgpr50
	s_and_saveexec_b64 s[62:63], vcc
	s_xor_b64 vcc, exec, s[62:63]
; %bb.1073:                             ;   in Loop: Header=BB8_984 Depth=3
	v_bfe_u32 v28, v5, 16, 1
	v_add3_u32 v50, v5, v28, s92
                                        ; implicit-def: $vgpr5
; %bb.1074:                             ;   in Loop: Header=BB8_984 Depth=3
	s_andn2_saveexec_b64 s[62:63], vcc
; %bb.1075:                             ;   in Loop: Header=BB8_984 Depth=3
	v_or_b32_e32 v28, 0x10000, v5
	v_cmp_eq_u32_sdwa vcc, v5, v42 src0_sel:WORD_0 src1_sel:DWORD
	v_cndmask_b32_e32 v50, v28, v5, vcc
; %bb.1076:                             ;   in Loop: Header=BB8_984 Depth=3
	s_or_b64 exec, exec, s[62:63]
	v_lshlrev_b32_e32 v5, 16, v51
	v_lshlrev_b32_e32 v28, 16, v55
	v_max_f32_e32 v28, v28, v28
	v_max_f32_e32 v5, v5, v5
	v_min_f32_e32 v29, v5, v28
	v_max_f32_e32 v5, v5, v28
	v_cndmask_b32_e64 v29, v5, v29, s[28:29]
	v_and_b32_e32 v5, 0x7f800000, v29
	v_cmp_ne_u32_e32 vcc, s91, v5
                                        ; implicit-def: $vgpr5
	s_and_saveexec_b64 s[62:63], vcc
	s_xor_b64 vcc, exec, s[62:63]
; %bb.1077:                             ;   in Loop: Header=BB8_984 Depth=3
	v_bfe_u32 v5, v29, 16, 1
	v_add3_u32 v5, v29, v5, s92
                                        ; implicit-def: $vgpr29
; %bb.1078:                             ;   in Loop: Header=BB8_984 Depth=3
	s_andn2_saveexec_b64 s[62:63], vcc
; %bb.1079:                             ;   in Loop: Header=BB8_984 Depth=3
	v_or_b32_e32 v5, 0x10000, v29
	v_cmp_eq_u32_sdwa vcc, v29, v42 src0_sel:WORD_0 src1_sel:DWORD
	v_cndmask_b32_e32 v5, v5, v29, vcc
; %bb.1080:                             ;   in Loop: Header=BB8_984 Depth=3
	s_or_b64 exec, exec, s[62:63]
	v_and_b32_e32 v28, 0xffff0000, v51
	v_and_b32_e32 v29, 0xffff0000, v55
	v_max_f32_e32 v29, v29, v29
	v_max_f32_e32 v28, v28, v28
	v_min_f32_e32 v51, v28, v29
	v_max_f32_e32 v28, v28, v29
	v_cndmask_b32_e64 v29, v28, v51, s[28:29]
	v_and_b32_e32 v28, 0x7f800000, v29
	v_cmp_ne_u32_e32 vcc, s91, v28
                                        ; implicit-def: $vgpr51
	s_and_saveexec_b64 s[62:63], vcc
	s_xor_b64 vcc, exec, s[62:63]
; %bb.1081:                             ;   in Loop: Header=BB8_984 Depth=3
	v_bfe_u32 v28, v29, 16, 1
	v_add3_u32 v51, v29, v28, s92
                                        ; implicit-def: $vgpr29
; %bb.1082:                             ;   in Loop: Header=BB8_984 Depth=3
	s_andn2_saveexec_b64 s[62:63], vcc
; %bb.1083:                             ;   in Loop: Header=BB8_984 Depth=3
	v_or_b32_e32 v28, 0x10000, v29
	v_cmp_eq_u32_sdwa vcc, v29, v42 src0_sel:WORD_0 src1_sel:DWORD
	v_cndmask_b32_e32 v51, v28, v29, vcc
; %bb.1084:                             ;   in Loop: Header=BB8_984 Depth=3
	s_or_b64 exec, exec, s[62:63]
	v_lshlrev_b32_e32 v28, 16, v32
	v_lshlrev_b32_e32 v29, 16, v36
	v_max_f32_e32 v29, v29, v29
	v_max_f32_e32 v28, v28, v28
	v_min_f32_e32 v54, v28, v29
	v_max_f32_e32 v28, v28, v29
	v_cndmask_b32_e64 v54, v28, v54, s[28:29]
	v_and_b32_e32 v28, 0x7f800000, v54
	v_cmp_ne_u32_e32 vcc, s91, v28
                                        ; implicit-def: $vgpr29
	s_and_saveexec_b64 s[62:63], vcc
	s_xor_b64 vcc, exec, s[62:63]
; %bb.1085:                             ;   in Loop: Header=BB8_984 Depth=3
	v_bfe_u32 v28, v54, 16, 1
	v_add3_u32 v29, v54, v28, s92
                                        ; implicit-def: $vgpr54
; %bb.1086:                             ;   in Loop: Header=BB8_984 Depth=3
	s_andn2_saveexec_b64 s[62:63], vcc
; %bb.1087:                             ;   in Loop: Header=BB8_984 Depth=3
	v_or_b32_e32 v28, 0x10000, v54
	v_cmp_eq_u32_sdwa vcc, v54, v42 src0_sel:WORD_0 src1_sel:DWORD
	v_cndmask_b32_e32 v29, v28, v54, vcc
; %bb.1088:                             ;   in Loop: Header=BB8_984 Depth=3
	s_or_b64 exec, exec, s[62:63]
	v_and_b32_e32 v28, 0xffff0000, v32
	v_and_b32_e32 v32, 0xffff0000, v36
	v_max_f32_e32 v32, v32, v32
	v_max_f32_e32 v28, v28, v28
	v_min_f32_e32 v36, v28, v32
	v_max_f32_e32 v28, v28, v32
	v_cndmask_b32_e64 v36, v28, v36, s[28:29]
	v_and_b32_e32 v28, 0x7f800000, v36
	v_cmp_ne_u32_e32 vcc, s91, v28
                                        ; implicit-def: $vgpr32
	s_and_saveexec_b64 s[62:63], vcc
	s_xor_b64 vcc, exec, s[62:63]
; %bb.1089:                             ;   in Loop: Header=BB8_984 Depth=3
	v_bfe_u32 v28, v36, 16, 1
	v_add3_u32 v32, v36, v28, s92
                                        ; implicit-def: $vgpr36
; %bb.1090:                             ;   in Loop: Header=BB8_984 Depth=3
	s_andn2_saveexec_b64 s[62:63], vcc
; %bb.1091:                             ;   in Loop: Header=BB8_984 Depth=3
	v_or_b32_e32 v28, 0x10000, v36
	v_cmp_eq_u32_sdwa vcc, v36, v42 src0_sel:WORD_0 src1_sel:DWORD
	v_cndmask_b32_e32 v32, v28, v36, vcc
; %bb.1092:                             ;   in Loop: Header=BB8_984 Depth=3
	s_or_b64 exec, exec, s[62:63]
	v_lshlrev_b32_e32 v28, 16, v33
	v_lshlrev_b32_e32 v36, 16, v37
	v_max_f32_e32 v36, v36, v36
	v_max_f32_e32 v28, v28, v28
	v_min_f32_e32 v54, v28, v36
	v_max_f32_e32 v28, v28, v36
	v_cndmask_b32_e64 v54, v28, v54, s[28:29]
	v_and_b32_e32 v28, 0x7f800000, v54
	v_cmp_ne_u32_e32 vcc, s91, v28
                                        ; implicit-def: $vgpr36
	s_and_saveexec_b64 s[62:63], vcc
	s_xor_b64 vcc, exec, s[62:63]
; %bb.1093:                             ;   in Loop: Header=BB8_984 Depth=3
	v_bfe_u32 v28, v54, 16, 1
	v_add3_u32 v36, v54, v28, s92
                                        ; implicit-def: $vgpr54
; %bb.1094:                             ;   in Loop: Header=BB8_984 Depth=3
	s_andn2_saveexec_b64 s[62:63], vcc
; %bb.1095:                             ;   in Loop: Header=BB8_984 Depth=3
	v_or_b32_e32 v28, 0x10000, v54
	v_cmp_eq_u32_sdwa vcc, v54, v42 src0_sel:WORD_0 src1_sel:DWORD
	v_cndmask_b32_e32 v36, v28, v54, vcc
; %bb.1096:                             ;   in Loop: Header=BB8_984 Depth=3
	s_or_b64 exec, exec, s[62:63]
	v_and_b32_e32 v28, 0xffff0000, v33
	v_and_b32_e32 v33, 0xffff0000, v37
	v_max_f32_e32 v33, v33, v33
	v_max_f32_e32 v28, v28, v28
	v_min_f32_e32 v37, v28, v33
	v_max_f32_e32 v28, v28, v33
	v_cndmask_b32_e64 v37, v28, v37, s[28:29]
	v_and_b32_e32 v28, 0x7f800000, v37
	v_cmp_ne_u32_e32 vcc, s91, v28
                                        ; implicit-def: $vgpr33
	s_and_saveexec_b64 s[62:63], vcc
	s_xor_b64 vcc, exec, s[62:63]
; %bb.1097:                             ;   in Loop: Header=BB8_984 Depth=3
	v_bfe_u32 v28, v37, 16, 1
	v_add3_u32 v33, v37, v28, s92
                                        ; implicit-def: $vgpr37
; %bb.1098:                             ;   in Loop: Header=BB8_984 Depth=3
	s_andn2_saveexec_b64 s[62:63], vcc
; %bb.1099:                             ;   in Loop: Header=BB8_984 Depth=3
	v_or_b32_e32 v28, 0x10000, v37
	v_cmp_eq_u32_sdwa vcc, v37, v42 src0_sel:WORD_0 src1_sel:DWORD
	v_cndmask_b32_e32 v33, v28, v37, vcc
; %bb.1100:                             ;   in Loop: Header=BB8_984 Depth=3
	s_or_b64 exec, exec, s[62:63]
	v_lshlrev_b32_e32 v28, 16, v34
	v_lshlrev_b32_e32 v37, 16, v38
	v_max_f32_e32 v37, v37, v37
	v_max_f32_e32 v28, v28, v28
	v_min_f32_e32 v54, v28, v37
	v_max_f32_e32 v28, v28, v37
	v_cndmask_b32_e64 v54, v28, v54, s[28:29]
	v_and_b32_e32 v28, 0x7f800000, v54
	v_cmp_ne_u32_e32 vcc, s91, v28
                                        ; implicit-def: $vgpr37
	s_and_saveexec_b64 s[62:63], vcc
	s_xor_b64 vcc, exec, s[62:63]
; %bb.1101:                             ;   in Loop: Header=BB8_984 Depth=3
	v_bfe_u32 v28, v54, 16, 1
	v_add3_u32 v37, v54, v28, s92
                                        ; implicit-def: $vgpr54
; %bb.1102:                             ;   in Loop: Header=BB8_984 Depth=3
	s_andn2_saveexec_b64 s[62:63], vcc
; %bb.1103:                             ;   in Loop: Header=BB8_984 Depth=3
	v_or_b32_e32 v28, 0x10000, v54
	v_cmp_eq_u32_sdwa vcc, v54, v42 src0_sel:WORD_0 src1_sel:DWORD
	v_cndmask_b32_e32 v37, v28, v54, vcc
; %bb.1104:                             ;   in Loop: Header=BB8_984 Depth=3
	s_or_b64 exec, exec, s[62:63]
	v_and_b32_e32 v28, 0xffff0000, v34
	v_and_b32_e32 v34, 0xffff0000, v38
	v_max_f32_e32 v34, v34, v34
	v_max_f32_e32 v28, v28, v28
	v_min_f32_e32 v38, v28, v34
	v_max_f32_e32 v28, v28, v34
	v_cndmask_b32_e64 v38, v28, v38, s[28:29]
	v_and_b32_e32 v28, 0x7f800000, v38
	v_cmp_ne_u32_e32 vcc, s91, v28
                                        ; implicit-def: $vgpr34
	s_and_saveexec_b64 s[62:63], vcc
	s_xor_b64 vcc, exec, s[62:63]
; %bb.1105:                             ;   in Loop: Header=BB8_984 Depth=3
	v_bfe_u32 v28, v38, 16, 1
	v_add3_u32 v34, v38, v28, s92
                                        ; implicit-def: $vgpr38
; %bb.1106:                             ;   in Loop: Header=BB8_984 Depth=3
	s_andn2_saveexec_b64 s[62:63], vcc
; %bb.1107:                             ;   in Loop: Header=BB8_984 Depth=3
	v_or_b32_e32 v28, 0x10000, v38
	v_cmp_eq_u32_sdwa vcc, v38, v42 src0_sel:WORD_0 src1_sel:DWORD
	v_cndmask_b32_e32 v34, v28, v38, vcc
; %bb.1108:                             ;   in Loop: Header=BB8_984 Depth=3
	s_or_b64 exec, exec, s[62:63]
	v_lshlrev_b32_e32 v28, 16, v35
	v_lshlrev_b32_e32 v38, 16, v39
	v_max_f32_e32 v38, v38, v38
	v_max_f32_e32 v28, v28, v28
	v_min_f32_e32 v54, v28, v38
	v_max_f32_e32 v28, v28, v38
	v_cndmask_b32_e64 v54, v28, v54, s[28:29]
	v_and_b32_e32 v28, 0x7f800000, v54
	v_cmp_ne_u32_e32 vcc, s91, v28
                                        ; implicit-def: $vgpr38
	s_and_saveexec_b64 s[62:63], vcc
	s_xor_b64 vcc, exec, s[62:63]
; %bb.1109:                             ;   in Loop: Header=BB8_984 Depth=3
	v_bfe_u32 v28, v54, 16, 1
	v_add3_u32 v38, v54, v28, s92
                                        ; implicit-def: $vgpr54
; %bb.1110:                             ;   in Loop: Header=BB8_984 Depth=3
	s_andn2_saveexec_b64 s[62:63], vcc
; %bb.1111:                             ;   in Loop: Header=BB8_984 Depth=3
	v_or_b32_e32 v28, 0x10000, v54
	v_cmp_eq_u32_sdwa vcc, v54, v42 src0_sel:WORD_0 src1_sel:DWORD
	v_cndmask_b32_e32 v38, v28, v54, vcc
; %bb.1112:                             ;   in Loop: Header=BB8_984 Depth=3
	s_or_b64 exec, exec, s[62:63]
	v_and_b32_e32 v28, 0xffff0000, v35
	v_and_b32_e32 v35, 0xffff0000, v39
	v_max_f32_e32 v35, v35, v35
	v_max_f32_e32 v28, v28, v28
	v_min_f32_e32 v39, v28, v35
	v_max_f32_e32 v28, v28, v35
	v_cndmask_b32_e64 v39, v28, v39, s[28:29]
	v_and_b32_e32 v28, 0x7f800000, v39
	v_cmp_ne_u32_e32 vcc, s91, v28
                                        ; implicit-def: $vgpr35
	s_and_saveexec_b64 s[62:63], vcc
	s_xor_b64 vcc, exec, s[62:63]
; %bb.1113:                             ;   in Loop: Header=BB8_984 Depth=3
	v_bfe_u32 v28, v39, 16, 1
	v_add3_u32 v35, v39, v28, s92
                                        ; implicit-def: $vgpr39
; %bb.1114:                             ;   in Loop: Header=BB8_984 Depth=3
	s_andn2_saveexec_b64 s[62:63], vcc
; %bb.1115:                             ;   in Loop: Header=BB8_984 Depth=3
	v_or_b32_e32 v28, 0x10000, v39
	v_cmp_eq_u32_sdwa vcc, v39, v42 src0_sel:WORD_0 src1_sel:DWORD
	v_cndmask_b32_e32 v35, v28, v39, vcc
; %bb.1116:                             ;   in Loop: Header=BB8_984 Depth=3
	s_or_b64 exec, exec, s[62:63]
	v_lshrrev_b32_e32 v1, 16, v1
	v_and_or_b32 v48, v48, s93, v1
	v_lshrrev_b32_e32 v1, 16, v53
	v_and_or_b32 v50, v50, s93, v1
	;; [unrolled: 2-line block ×4, first 2 shown]
	v_lshrrev_b32_e32 v1, 16, v29
	v_lshrrev_b32_e32 v28, 16, v52
	v_and_or_b32 v32, v32, s93, v1
	v_lshrrev_b32_e32 v1, 16, v37
	v_and_or_b32 v49, v49, s93, v28
	v_and_or_b32 v34, v34, s93, v1
	v_lshrrev_b32_e32 v1, 16, v38
	v_and_or_b32 v35, v35, s93, v1
	global_store_dwordx4 v[2:3], v[48:51], off glc slc
	global_store_dwordx4 v[2:3], v[32:35], off offset:1024 glc slc
	v_add_co_u32_e32 v2, vcc, 0x800, v2
	v_addc_co_u32_e32 v3, vcc, 0, v3, vcc
	global_store_dwordx4 v[8:9], v[48:51], off glc slc
	global_store_dwordx4 v[8:9], v[32:35], off offset:1024 glc slc
	v_add_co_u32_e32 v8, vcc, 0x800, v8
	v_addc_co_u32_e32 v9, vcc, 0, v9, vcc
	s_and_saveexec_b64 s[62:63], s[60:61]
	s_cbranch_execz .LBB8_983
; %bb.1117:                             ;   in Loop: Header=BB8_984 Depth=3
	v_accvgpr_read_b32 v29, a25
	v_accvgpr_read_b32 v28, a24
	v_add_co_u32_e32 v2, vcc, v2, v28
	v_addc_co_u32_e32 v3, vcc, v3, v29, vcc
	v_add_co_u32_e32 v8, vcc, v8, v28
	v_addc_co_u32_e32 v9, vcc, v9, v29, vcc
	v_add_co_u32_e32 v10, vcc, v10, v28
	v_addc_co_u32_e32 v11, vcc, v11, v29, vcc
	v_add_co_u32_e32 v30, vcc, v30, v28
	v_accvgpr_read_b32 v28, a20
	v_addc_co_u32_e32 v31, vcc, v31, v29, vcc
	v_sub_u32_e32 v0, v0, v28
	s_branch .LBB8_983
.LBB8_1118:                             ;   in Loop: Header=BB8_907 Depth=2
	s_cbranch_execnz .LBB8_1404
	s_branch .LBB8_1816
.LBB8_1119:                             ;   in Loop: Header=BB8_907 Depth=2
	s_mov_b64 s[58:59], 0
                                        ; implicit-def: $sgpr30
                                        ; implicit-def: $agpr59
	v_accvgpr_write_b32 a58, v14
	v_accvgpr_write_b32 a56, v12
	s_andn2_b64 vcc, exec, s[28:29]
	s_cbranch_vccz .LBB8_981
.LBB8_1120:                             ;   in Loop: Header=BB8_907 Depth=2
	v_mov_b32_e32 v22, s30
	v_mov_b32_e32 v17, v38
	v_accvgpr_read_b32 v23, a37
	v_accvgpr_read_b32 v1, a36
	s_and_saveexec_b64 s[36:37], s[58:59]
	s_cbranch_execnz .LBB8_1309
	s_branch .LBB8_1403
.LBB8_1121:                             ;   in Loop: Header=BB8_907 Depth=2
	s_or_b64 exec, exec, s[34:35]
	v_accvgpr_read_b32 v33, a9
	s_and_b64 s[28:29], s[36:37], exec
	v_accvgpr_read_b32 v38, a57
	v_accvgpr_read_b32 v48, a62
	;; [unrolled: 1-line block ×5, first 2 shown]
.LBB8_1122:                             ;   in Loop: Header=BB8_907 Depth=2
	s_or_b64 exec, exec, s[30:31]
	s_and_saveexec_b64 s[30:31], s[28:29]
	s_cbranch_execz .LBB8_1188
; %bb.1123:                             ;   in Loop: Header=BB8_907 Depth=2
	v_lshlrev_b32_e32 v1, 16, v24
	v_lshlrev_b32_e32 v5, 16, v20
	v_max_f32_e32 v5, v5, v5
	v_max_f32_e32 v1, v1, v1
	v_min_f32_e32 v10, v1, v5
	v_max_f32_e32 v1, v1, v5
	v_accvgpr_read_b32 v5, a59
	v_cmp_eq_u16_e32 vcc, 0, v5
	v_cndmask_b32_e32 v5, v1, v10, vcc
	v_and_b32_e32 v1, 0x7f800000, v5
	v_cmp_ne_u32_e64 s[28:29], s91, v1
                                        ; implicit-def: $vgpr1
	s_and_saveexec_b64 s[34:35], s[28:29]
	s_xor_b64 s[28:29], exec, s[34:35]
; %bb.1124:                             ;   in Loop: Header=BB8_907 Depth=2
	v_bfe_u32 v1, v5, 16, 1
	v_add3_u32 v1, v5, v1, s92
                                        ; implicit-def: $vgpr5
; %bb.1125:                             ;   in Loop: Header=BB8_907 Depth=2
	s_andn2_saveexec_b64 s[34:35], s[28:29]
; %bb.1126:                             ;   in Loop: Header=BB8_907 Depth=2
	v_or_b32_e32 v1, 0x10000, v5
	v_cmp_eq_u32_sdwa s[28:29], v5, v42 src0_sel:WORD_0 src1_sel:DWORD
	v_cndmask_b32_e64 v1, v1, v5, s[28:29]
; %bb.1127:                             ;   in Loop: Header=BB8_907 Depth=2
	s_or_b64 exec, exec, s[34:35]
	v_and_b32_e32 v5, 0xffff0000, v24
	v_and_b32_e32 v10, 0xffff0000, v20
	v_max_f32_e32 v10, v10, v10
	v_max_f32_e32 v5, v5, v5
	v_min_f32_e32 v11, v5, v10
	v_max_f32_e32 v5, v5, v10
	v_cndmask_b32_e32 v5, v5, v11, vcc
	v_and_b32_e32 v10, 0x7f800000, v5
	v_cmp_ne_u32_e64 s[28:29], s91, v10
                                        ; implicit-def: $vgpr10
	s_and_saveexec_b64 s[34:35], s[28:29]
	s_xor_b64 s[28:29], exec, s[34:35]
; %bb.1128:                             ;   in Loop: Header=BB8_907 Depth=2
	v_bfe_u32 v10, v5, 16, 1
	v_add3_u32 v10, v5, v10, s92
                                        ; implicit-def: $vgpr5
; %bb.1129:                             ;   in Loop: Header=BB8_907 Depth=2
	s_andn2_saveexec_b64 s[34:35], s[28:29]
; %bb.1130:                             ;   in Loop: Header=BB8_907 Depth=2
	v_or_b32_e32 v10, 0x10000, v5
	v_cmp_eq_u32_sdwa s[28:29], v5, v42 src0_sel:WORD_0 src1_sel:DWORD
	v_cndmask_b32_e64 v10, v10, v5, s[28:29]
; %bb.1131:                             ;   in Loop: Header=BB8_907 Depth=2
	s_or_b64 exec, exec, s[34:35]
	v_lshlrev_b32_e32 v5, 16, v25
	v_lshlrev_b32_e32 v11, 16, v21
	v_max_f32_e32 v11, v11, v11
	v_max_f32_e32 v5, v5, v5
	v_min_f32_e32 v20, v5, v11
	v_max_f32_e32 v5, v5, v11
	v_cndmask_b32_e32 v5, v5, v20, vcc
	v_and_b32_e32 v11, 0x7f800000, v5
	v_cmp_ne_u32_e64 s[28:29], s91, v11
                                        ; implicit-def: $vgpr11
	s_and_saveexec_b64 s[34:35], s[28:29]
	s_xor_b64 s[28:29], exec, s[34:35]
; %bb.1132:                             ;   in Loop: Header=BB8_907 Depth=2
	v_bfe_u32 v11, v5, 16, 1
	v_add3_u32 v11, v5, v11, s92
                                        ; implicit-def: $vgpr5
; %bb.1133:                             ;   in Loop: Header=BB8_907 Depth=2
	s_andn2_saveexec_b64 s[34:35], s[28:29]
; %bb.1134:                             ;   in Loop: Header=BB8_907 Depth=2
	v_or_b32_e32 v11, 0x10000, v5
	v_cmp_eq_u32_sdwa s[28:29], v5, v42 src0_sel:WORD_0 src1_sel:DWORD
	v_cndmask_b32_e64 v11, v11, v5, s[28:29]
; %bb.1135:                             ;   in Loop: Header=BB8_907 Depth=2
	s_or_b64 exec, exec, s[34:35]
	v_and_b32_e32 v5, 0xffff0000, v25
	v_and_b32_e32 v20, 0xffff0000, v21
	v_max_f32_e32 v20, v20, v20
	v_max_f32_e32 v5, v5, v5
	v_min_f32_e32 v21, v5, v20
	v_max_f32_e32 v5, v5, v20
	v_cndmask_b32_e32 v5, v5, v21, vcc
	v_and_b32_e32 v20, 0x7f800000, v5
	v_cmp_ne_u32_e64 s[28:29], s91, v20
                                        ; implicit-def: $vgpr20
	s_and_saveexec_b64 s[34:35], s[28:29]
	s_xor_b64 s[28:29], exec, s[34:35]
; %bb.1136:                             ;   in Loop: Header=BB8_907 Depth=2
	v_bfe_u32 v20, v5, 16, 1
	v_add3_u32 v20, v5, v20, s92
                                        ; implicit-def: $vgpr5
; %bb.1137:                             ;   in Loop: Header=BB8_907 Depth=2
	s_andn2_saveexec_b64 s[34:35], s[28:29]
; %bb.1138:                             ;   in Loop: Header=BB8_907 Depth=2
	v_or_b32_e32 v20, 0x10000, v5
	v_cmp_eq_u32_sdwa s[28:29], v5, v42 src0_sel:WORD_0 src1_sel:DWORD
	v_cndmask_b32_e64 v20, v20, v5, s[28:29]
; %bb.1139:                             ;   in Loop: Header=BB8_907 Depth=2
	s_or_b64 exec, exec, s[34:35]
	v_lshlrev_b32_e32 v5, 16, v26
	v_lshlrev_b32_e32 v21, 16, v22
	v_max_f32_e32 v21, v21, v21
	v_max_f32_e32 v5, v5, v5
	v_min_f32_e32 v24, v5, v21
	v_max_f32_e32 v5, v5, v21
	v_cndmask_b32_e32 v5, v5, v24, vcc
	v_and_b32_e32 v21, 0x7f800000, v5
	v_cmp_ne_u32_e64 s[28:29], s91, v21
                                        ; implicit-def: $vgpr21
	s_and_saveexec_b64 s[34:35], s[28:29]
	s_xor_b64 s[28:29], exec, s[34:35]
; %bb.1140:                             ;   in Loop: Header=BB8_907 Depth=2
	v_bfe_u32 v21, v5, 16, 1
	v_add3_u32 v21, v5, v21, s92
                                        ; implicit-def: $vgpr5
; %bb.1141:                             ;   in Loop: Header=BB8_907 Depth=2
	s_andn2_saveexec_b64 s[34:35], s[28:29]
; %bb.1142:                             ;   in Loop: Header=BB8_907 Depth=2
	v_or_b32_e32 v21, 0x10000, v5
	v_cmp_eq_u32_sdwa s[28:29], v5, v42 src0_sel:WORD_0 src1_sel:DWORD
	v_cndmask_b32_e64 v21, v21, v5, s[28:29]
; %bb.1143:                             ;   in Loop: Header=BB8_907 Depth=2
	s_or_b64 exec, exec, s[34:35]
	v_and_b32_e32 v5, 0xffff0000, v26
	v_and_b32_e32 v22, 0xffff0000, v22
	v_max_f32_e32 v22, v22, v22
	v_max_f32_e32 v5, v5, v5
	v_min_f32_e32 v24, v5, v22
	v_max_f32_e32 v5, v5, v22
	v_cndmask_b32_e32 v5, v5, v24, vcc
	v_and_b32_e32 v22, 0x7f800000, v5
	v_cmp_ne_u32_e64 s[28:29], s91, v22
                                        ; implicit-def: $vgpr22
	s_and_saveexec_b64 s[34:35], s[28:29]
	s_xor_b64 s[28:29], exec, s[34:35]
; %bb.1144:                             ;   in Loop: Header=BB8_907 Depth=2
	v_bfe_u32 v22, v5, 16, 1
	v_add3_u32 v22, v5, v22, s92
                                        ; implicit-def: $vgpr5
; %bb.1145:                             ;   in Loop: Header=BB8_907 Depth=2
	s_andn2_saveexec_b64 s[34:35], s[28:29]
; %bb.1146:                             ;   in Loop: Header=BB8_907 Depth=2
	v_or_b32_e32 v22, 0x10000, v5
	v_cmp_eq_u32_sdwa s[28:29], v5, v42 src0_sel:WORD_0 src1_sel:DWORD
	v_cndmask_b32_e64 v22, v22, v5, s[28:29]
; %bb.1147:                             ;   in Loop: Header=BB8_907 Depth=2
	s_or_b64 exec, exec, s[34:35]
	v_lshlrev_b32_e32 v5, 16, v27
	v_lshlrev_b32_e32 v24, 16, v23
	v_max_f32_e32 v24, v24, v24
	v_max_f32_e32 v5, v5, v5
	v_min_f32_e32 v25, v5, v24
	v_max_f32_e32 v5, v5, v24
	v_cndmask_b32_e32 v24, v5, v25, vcc
	v_and_b32_e32 v5, 0x7f800000, v24
	v_cmp_ne_u32_e64 s[28:29], s91, v5
                                        ; implicit-def: $vgpr5
	s_and_saveexec_b64 s[34:35], s[28:29]
	s_xor_b64 s[28:29], exec, s[34:35]
; %bb.1148:                             ;   in Loop: Header=BB8_907 Depth=2
	v_bfe_u32 v5, v24, 16, 1
	v_add3_u32 v5, v24, v5, s92
                                        ; implicit-def: $vgpr24
; %bb.1149:                             ;   in Loop: Header=BB8_907 Depth=2
	s_andn2_saveexec_b64 s[34:35], s[28:29]
; %bb.1150:                             ;   in Loop: Header=BB8_907 Depth=2
	v_or_b32_e32 v5, 0x10000, v24
	v_cmp_eq_u32_sdwa s[28:29], v24, v42 src0_sel:WORD_0 src1_sel:DWORD
	v_cndmask_b32_e64 v5, v5, v24, s[28:29]
; %bb.1151:                             ;   in Loop: Header=BB8_907 Depth=2
	s_or_b64 exec, exec, s[34:35]
	v_and_b32_e32 v24, 0xffff0000, v27
	v_and_b32_e32 v23, 0xffff0000, v23
	v_max_f32_e32 v23, v23, v23
	v_max_f32_e32 v24, v24, v24
	v_min_f32_e32 v25, v24, v23
	v_max_f32_e32 v23, v24, v23
	v_cndmask_b32_e32 v24, v23, v25, vcc
	v_and_b32_e32 v23, 0x7f800000, v24
	v_cmp_ne_u32_e64 s[28:29], s91, v23
                                        ; implicit-def: $vgpr23
	s_and_saveexec_b64 s[34:35], s[28:29]
	s_xor_b64 s[28:29], exec, s[34:35]
; %bb.1152:                             ;   in Loop: Header=BB8_907 Depth=2
	v_bfe_u32 v23, v24, 16, 1
	v_add3_u32 v23, v24, v23, s92
                                        ; implicit-def: $vgpr24
; %bb.1153:                             ;   in Loop: Header=BB8_907 Depth=2
	s_andn2_saveexec_b64 s[34:35], s[28:29]
; %bb.1154:                             ;   in Loop: Header=BB8_907 Depth=2
	v_or_b32_e32 v23, 0x10000, v24
	v_cmp_eq_u32_sdwa s[28:29], v24, v42 src0_sel:WORD_0 src1_sel:DWORD
	v_cndmask_b32_e64 v23, v23, v24, s[28:29]
; %bb.1155:                             ;   in Loop: Header=BB8_907 Depth=2
	s_or_b64 exec, exec, s[34:35]
	v_lshlrev_b32_e32 v24, 16, v16
	v_lshlrev_b32_e32 v25, 16, v12
	v_max_f32_e32 v25, v25, v25
	v_max_f32_e32 v24, v24, v24
	v_min_f32_e32 v26, v24, v25
	v_max_f32_e32 v24, v24, v25
	v_cndmask_b32_e32 v25, v24, v26, vcc
	v_and_b32_e32 v24, 0x7f800000, v25
	v_cmp_ne_u32_e64 s[28:29], s91, v24
                                        ; implicit-def: $vgpr24
	s_and_saveexec_b64 s[34:35], s[28:29]
	s_xor_b64 s[28:29], exec, s[34:35]
; %bb.1156:                             ;   in Loop: Header=BB8_907 Depth=2
	v_bfe_u32 v24, v25, 16, 1
	v_add3_u32 v24, v25, v24, s92
                                        ; implicit-def: $vgpr25
; %bb.1157:                             ;   in Loop: Header=BB8_907 Depth=2
	s_andn2_saveexec_b64 s[34:35], s[28:29]
; %bb.1158:                             ;   in Loop: Header=BB8_907 Depth=2
	v_or_b32_e32 v24, 0x10000, v25
	v_cmp_eq_u32_sdwa s[28:29], v25, v42 src0_sel:WORD_0 src1_sel:DWORD
	v_cndmask_b32_e64 v24, v24, v25, s[28:29]
; %bb.1159:                             ;   in Loop: Header=BB8_907 Depth=2
	s_or_b64 exec, exec, s[34:35]
	v_and_b32_e32 v16, 0xffff0000, v16
	v_and_b32_e32 v12, 0xffff0000, v12
	v_max_f32_e32 v12, v12, v12
	v_max_f32_e32 v16, v16, v16
	v_min_f32_e32 v25, v16, v12
	v_max_f32_e32 v12, v16, v12
	v_cndmask_b32_e32 v16, v12, v25, vcc
	v_and_b32_e32 v12, 0x7f800000, v16
	v_cmp_ne_u32_e64 s[28:29], s91, v12
                                        ; implicit-def: $vgpr12
	s_and_saveexec_b64 s[34:35], s[28:29]
	s_xor_b64 s[28:29], exec, s[34:35]
; %bb.1160:                             ;   in Loop: Header=BB8_907 Depth=2
	v_bfe_u32 v12, v16, 16, 1
	v_add3_u32 v12, v16, v12, s92
                                        ; implicit-def: $vgpr16
; %bb.1161:                             ;   in Loop: Header=BB8_907 Depth=2
	s_andn2_saveexec_b64 s[34:35], s[28:29]
; %bb.1162:                             ;   in Loop: Header=BB8_907 Depth=2
	v_or_b32_e32 v12, 0x10000, v16
	v_cmp_eq_u32_sdwa s[28:29], v16, v42 src0_sel:WORD_0 src1_sel:DWORD
	v_cndmask_b32_e64 v12, v12, v16, s[28:29]
; %bb.1163:                             ;   in Loop: Header=BB8_907 Depth=2
	s_or_b64 exec, exec, s[34:35]
	v_lshlrev_b32_e32 v16, 16, v17
	v_lshlrev_b32_e32 v25, 16, v13
	v_max_f32_e32 v25, v25, v25
	v_max_f32_e32 v16, v16, v16
	v_min_f32_e32 v26, v16, v25
	v_max_f32_e32 v16, v16, v25
	v_cndmask_b32_e32 v25, v16, v26, vcc
	v_and_b32_e32 v16, 0x7f800000, v25
	v_cmp_ne_u32_e64 s[28:29], s91, v16
                                        ; implicit-def: $vgpr16
	s_and_saveexec_b64 s[34:35], s[28:29]
	s_xor_b64 s[28:29], exec, s[34:35]
; %bb.1164:                             ;   in Loop: Header=BB8_907 Depth=2
	v_bfe_u32 v16, v25, 16, 1
	v_add3_u32 v16, v25, v16, s92
                                        ; implicit-def: $vgpr25
; %bb.1165:                             ;   in Loop: Header=BB8_907 Depth=2
	s_andn2_saveexec_b64 s[34:35], s[28:29]
; %bb.1166:                             ;   in Loop: Header=BB8_907 Depth=2
	v_or_b32_e32 v16, 0x10000, v25
	v_cmp_eq_u32_sdwa s[28:29], v25, v42 src0_sel:WORD_0 src1_sel:DWORD
	v_cndmask_b32_e64 v16, v16, v25, s[28:29]
; %bb.1167:                             ;   in Loop: Header=BB8_907 Depth=2
	s_or_b64 exec, exec, s[34:35]
	v_and_b32_e32 v17, 0xffff0000, v17
	v_and_b32_e32 v13, 0xffff0000, v13
	v_max_f32_e32 v13, v13, v13
	v_max_f32_e32 v17, v17, v17
	v_min_f32_e32 v25, v17, v13
	v_max_f32_e32 v13, v17, v13
	v_cndmask_b32_e32 v17, v13, v25, vcc
	v_and_b32_e32 v13, 0x7f800000, v17
	v_cmp_ne_u32_e64 s[28:29], s91, v13
                                        ; implicit-def: $vgpr13
	s_and_saveexec_b64 s[34:35], s[28:29]
	s_xor_b64 s[28:29], exec, s[34:35]
; %bb.1168:                             ;   in Loop: Header=BB8_907 Depth=2
	v_bfe_u32 v13, v17, 16, 1
	v_add3_u32 v13, v17, v13, s92
                                        ; implicit-def: $vgpr17
; %bb.1169:                             ;   in Loop: Header=BB8_907 Depth=2
	s_andn2_saveexec_b64 s[34:35], s[28:29]
; %bb.1170:                             ;   in Loop: Header=BB8_907 Depth=2
	v_or_b32_e32 v13, 0x10000, v17
	v_cmp_eq_u32_sdwa s[28:29], v17, v42 src0_sel:WORD_0 src1_sel:DWORD
	v_cndmask_b32_e64 v13, v13, v17, s[28:29]
; %bb.1171:                             ;   in Loop: Header=BB8_907 Depth=2
	s_or_b64 exec, exec, s[34:35]
	v_lshlrev_b32_e32 v17, 16, v18
	v_lshlrev_b32_e32 v25, 16, v14
	v_max_f32_e32 v25, v25, v25
	v_max_f32_e32 v17, v17, v17
	v_min_f32_e32 v26, v17, v25
	v_max_f32_e32 v17, v17, v25
	v_cndmask_b32_e32 v25, v17, v26, vcc
	v_and_b32_e32 v17, 0x7f800000, v25
	v_cmp_ne_u32_e64 s[28:29], s91, v17
                                        ; implicit-def: $vgpr17
	s_and_saveexec_b64 s[34:35], s[28:29]
	s_xor_b64 s[28:29], exec, s[34:35]
; %bb.1172:                             ;   in Loop: Header=BB8_907 Depth=2
	v_bfe_u32 v17, v25, 16, 1
	v_add3_u32 v17, v25, v17, s92
                                        ; implicit-def: $vgpr25
; %bb.1173:                             ;   in Loop: Header=BB8_907 Depth=2
	s_andn2_saveexec_b64 s[34:35], s[28:29]
; %bb.1174:                             ;   in Loop: Header=BB8_907 Depth=2
	v_or_b32_e32 v17, 0x10000, v25
	v_cmp_eq_u32_sdwa s[28:29], v25, v42 src0_sel:WORD_0 src1_sel:DWORD
	v_cndmask_b32_e64 v17, v17, v25, s[28:29]
; %bb.1175:                             ;   in Loop: Header=BB8_907 Depth=2
	s_or_b64 exec, exec, s[34:35]
	v_and_b32_e32 v18, 0xffff0000, v18
	v_and_b32_e32 v14, 0xffff0000, v14
	v_max_f32_e32 v14, v14, v14
	v_max_f32_e32 v18, v18, v18
	v_min_f32_e32 v25, v18, v14
	v_max_f32_e32 v14, v18, v14
	v_cndmask_b32_e32 v18, v14, v25, vcc
	v_and_b32_e32 v14, 0x7f800000, v18
	v_cmp_ne_u32_e64 s[28:29], s91, v14
                                        ; implicit-def: $vgpr14
	s_and_saveexec_b64 s[34:35], s[28:29]
	s_xor_b64 s[28:29], exec, s[34:35]
; %bb.1176:                             ;   in Loop: Header=BB8_907 Depth=2
	v_bfe_u32 v14, v18, 16, 1
	v_add3_u32 v14, v18, v14, s92
                                        ; implicit-def: $vgpr18
; %bb.1177:                             ;   in Loop: Header=BB8_907 Depth=2
	s_andn2_saveexec_b64 s[34:35], s[28:29]
; %bb.1178:                             ;   in Loop: Header=BB8_907 Depth=2
	v_or_b32_e32 v14, 0x10000, v18
	v_cmp_eq_u32_sdwa s[28:29], v18, v42 src0_sel:WORD_0 src1_sel:DWORD
	v_cndmask_b32_e64 v14, v14, v18, s[28:29]
; %bb.1179:                             ;   in Loop: Header=BB8_907 Depth=2
	s_or_b64 exec, exec, s[34:35]
	v_lshlrev_b32_e32 v18, 16, v19
	v_lshlrev_b32_e32 v25, 16, v15
	v_max_f32_e32 v25, v25, v25
	v_max_f32_e32 v18, v18, v18
	v_min_f32_e32 v26, v18, v25
	v_max_f32_e32 v18, v18, v25
	v_cndmask_b32_e32 v25, v18, v26, vcc
	v_and_b32_e32 v18, 0x7f800000, v25
	v_cmp_ne_u32_e64 s[28:29], s91, v18
                                        ; implicit-def: $vgpr18
	s_and_saveexec_b64 s[34:35], s[28:29]
	s_xor_b64 s[28:29], exec, s[34:35]
; %bb.1180:                             ;   in Loop: Header=BB8_907 Depth=2
	v_bfe_u32 v18, v25, 16, 1
	v_add3_u32 v18, v25, v18, s92
                                        ; implicit-def: $vgpr25
; %bb.1181:                             ;   in Loop: Header=BB8_907 Depth=2
	s_andn2_saveexec_b64 s[34:35], s[28:29]
; %bb.1182:                             ;   in Loop: Header=BB8_907 Depth=2
	v_or_b32_e32 v18, 0x10000, v25
	v_cmp_eq_u32_sdwa s[28:29], v25, v42 src0_sel:WORD_0 src1_sel:DWORD
	v_cndmask_b32_e64 v18, v18, v25, s[28:29]
; %bb.1183:                             ;   in Loop: Header=BB8_907 Depth=2
	s_or_b64 exec, exec, s[34:35]
	v_and_b32_e32 v19, 0xffff0000, v19
	v_and_b32_e32 v15, 0xffff0000, v15
	v_max_f32_e32 v15, v15, v15
	v_max_f32_e32 v19, v19, v19
	v_min_f32_e32 v25, v19, v15
	v_max_f32_e32 v15, v19, v15
	v_cndmask_b32_e32 v19, v15, v25, vcc
	v_and_b32_e32 v15, 0x7f800000, v19
	v_cmp_ne_u32_e32 vcc, s91, v15
                                        ; implicit-def: $vgpr15
	s_and_saveexec_b64 s[28:29], vcc
	s_xor_b64 s[28:29], exec, s[28:29]
; %bb.1184:                             ;   in Loop: Header=BB8_907 Depth=2
	v_bfe_u32 v15, v19, 16, 1
	v_add3_u32 v15, v19, v15, s92
                                        ; implicit-def: $vgpr19
; %bb.1185:                             ;   in Loop: Header=BB8_907 Depth=2
	s_andn2_saveexec_b64 s[28:29], s[28:29]
; %bb.1186:                             ;   in Loop: Header=BB8_907 Depth=2
	v_or_b32_e32 v15, 0x10000, v19
	v_cmp_eq_u32_sdwa vcc, v19, v42 src0_sel:WORD_0 src1_sel:DWORD
	v_cndmask_b32_e32 v15, v15, v19, vcc
; %bb.1187:                             ;   in Loop: Header=BB8_907 Depth=2
	s_or_b64 exec, exec, s[28:29]
	v_lshrrev_b32_e32 v1, 16, v1
	v_and_or_b32 v26, v10, s93, v1
	v_lshrrev_b32_e32 v1, 16, v21
	v_and_or_b32 v28, v22, s93, v1
	v_lshrrev_b32_e32 v1, 16, v5
	v_lshrrev_b32_e32 v11, 16, v11
	v_and_or_b32 v29, v23, s93, v1
	v_lshrrev_b32_e32 v1, 16, v16
	v_and_or_b32 v27, v20, s93, v11
	v_and_or_b32 v11, v13, s93, v1
	v_lshrrev_b32_e32 v1, 16, v24
	v_and_or_b32 v10, v12, s93, v1
	v_lshrrev_b32_e32 v1, 16, v17
	;; [unrolled: 2-line block ×3, first 2 shown]
	v_and_or_b32 v13, v15, s93, v1
	global_store_dwordx4 v[2:3], v[26:29], off glc slc
	global_store_dwordx4 v[2:3], v[10:13], off offset:1024 glc slc
	global_store_dwordx4 v[8:9], v[26:29], off glc slc
	global_store_dwordx4 v[8:9], v[10:13], off offset:1024 glc slc
.LBB8_1188:                             ;   in Loop: Header=BB8_907 Depth=2
	s_or_b64 exec, exec, s[30:31]
	v_accvgpr_read_b32 v1, a63
	v_lshlrev_b32_e32 v16, 11, v1
	v_cmp_ne_u32_e32 vcc, v38, v16
                                        ; implicit-def: $vgpr17
                                        ; implicit-def: $vgpr22
                                        ; implicit-def: $vgpr23
                                        ; implicit-def: $vgpr1
	s_and_saveexec_b64 s[60:61], vcc
	s_cbranch_execz .LBB8_1308
; %bb.1189:                             ;   in Loop: Header=BB8_907 Depth=2
	v_lshlrev_b32_e32 v0, 6, v0
	v_accvgpr_read_b32 v2, a37
	v_sub_u32_e32 v0, v2, v0
	v_ashrrev_i32_e32 v2, 31, v0
	v_lshrrev_b32_e32 v2, 26, v2
	v_add_u32_e32 v2, v0, v2
	v_ashrrev_i32_e32 v3, 6, v2
	v_and_b32_e32 v2, 0xffffffc0, v2
	v_sub_u32_e32 v18, v0, v2
	v_lshlrev_b32_e32 v0, 4, v18
	v_sub_u32_e32 v1, v38, v16
	v_lshl_add_u32 v0, v3, 10, v0
	v_add_u32_e32 v10, v0, v16
	v_sub_u32_e32 v22, v1, v0
	v_ashrrev_i32_e32 v0, 31, v1
	v_lshrrev_b32_e32 v0, 22, v0
	v_add_u32_e32 v0, v1, v0
	v_and_b32_e32 v19, 0xfffffc00, v0
	v_sub_u32_e32 v20, v1, v19
	v_ashrrev_i32_e32 v2, 10, v0
	v_cmp_lt_i32_e64 s[28:29], 15, v20
	v_addc_co_u32_e64 v0, vcc, 0, v2, s[28:29]
	v_ashrrev_i32_e32 v1, 31, v10
	v_sub_u32_e32 v21, v0, v3
	v_add_co_u32_e32 v0, vcc, v10, v30
	v_addc_co_u32_e32 v3, vcc, v1, v31, vcc
	v_add_co_u32_e32 v2, vcc, v10, v32
	v_addc_co_u32_e32 v9, vcc, v1, v33, vcc
	v_cmp_lt_i32_e32 vcc, 15, v22
	s_mov_b64 s[30:31], 0
	s_and_saveexec_b64 s[62:63], vcc
	s_cbranch_execz .LBB8_1270
; %bb.1190:                             ;   in Loop: Header=BB8_907 Depth=2
	s_trap 2
	ds_read_b128 v[24:27], v0
	s_mov_b64 s[68:69], 0
	s_mov_b64 s[64:65], 0
                                        ; implicit-def: $sgpr66_sgpr67
	s_waitcnt lgkmcnt(0)
	v_add_co_u32_e32 v8, vcc, v24, v10
	v_addc_co_u32_e32 v15, vcc, v25, v1, vcc
	v_add_co_u32_e32 v14, vcc, v26, v10
	v_addc_co_u32_e32 v17, vcc, v27, v1, vcc
	v_accvgpr_read_b32 v1, a59
	v_cmp_eq_u16_e64 s[30:31], 0, v1
	s_branch .LBB8_1192
.LBB8_1191:                             ;   in Loop: Header=BB8_1192 Depth=3
	s_or_b64 exec, exec, s[34:35]
	v_cmp_gt_i32_e32 vcc, 16, v22
	s_or_b64 s[64:65], vcc, s[64:65]
	s_andn2_b64 vcc, s[66:67], exec
	s_and_b64 s[34:35], s[68:69], exec
	s_or_b64 s[66:67], vcc, s[34:35]
	s_andn2_b64 exec, exec, s[64:65]
	s_cbranch_execz .LBB8_1269
.LBB8_1192:                             ;   Parent Loop BB8_47 Depth=1
                                        ;     Parent Loop BB8_907 Depth=2
                                        ; =>    This Loop Header: Depth=3
                                        ;         Child Loop BB8_1193 Depth 4
                                        ;         Child Loop BB8_1228 Depth 4
	;; [unrolled: 1-line block ×4, first 2 shown]
	v_lshrrev_b32_e64 v1, 6, s33
	v_add_u32_e32 v1, 0xc0, v1
	s_mov_b64 s[70:71], -1
	s_mov_b64 s[72:73], 0
	v_accvgpr_read_b32 v26, a28
.LBB8_1193:                             ;   Parent Loop BB8_47 Depth=1
                                        ;     Parent Loop BB8_907 Depth=2
                                        ;       Parent Loop BB8_1192 Depth=3
                                        ; =>      This Inner Loop Header: Depth=4
	s_cmp_eq_u32 s72, 1
	s_cselect_b64 s[34:35], -1, 0
	v_cndmask_b32_e64 v25, v15, v17, s[34:35]
	v_cndmask_b32_e64 v24, v8, v14, s[34:35]
	global_load_dwordx4 v[10:13], v[24:25], off glc slc
	v_add_co_u32_e32 v5, vcc, s79, v24
	s_cmp_eq_u32 s72, 0
	v_addc_co_u32_e32 v23, vcc, 0, v25, vcc
	s_cselect_b64 vcc, -1, 0
	s_and_b64 s[36:37], exec, s[70:71]
	s_mov_b64 s[72:73], 1
	v_cndmask_b32_e64 v14, v14, v5, s[34:35]
	s_mov_b64 s[70:71], 0
	v_cndmask_b32_e32 v15, v15, v23, vcc
	v_cndmask_b32_e32 v8, v8, v5, vcc
	v_cndmask_b32_e64 v17, v17, v23, s[34:35]
	s_mov_b64 vcc, s[36:37]
	s_waitcnt vmcnt(0)
	buffer_store_dword v11, v1, s[0:3], 0 offen offset:4
	buffer_store_dword v10, v1, s[0:3], 0 offen
	buffer_store_dword v13, v1, s[0:3], 0 offen offset:12
	buffer_store_dword v12, v1, s[0:3], 0 offen offset:8
	v_mov_b32_e32 v1, v26
	s_cbranch_vccnz .LBB8_1193
; %bb.1194:                             ;   in Loop: Header=BB8_1192 Depth=3
	s_and_saveexec_b64 s[70:71], s[68:69]
	s_cbranch_execz .LBB8_1230
; %bb.1195:                             ;   in Loop: Header=BB8_1192 Depth=3
	buffer_load_dword v11, off, s[0:3], s33 offset:224
	buffer_load_dword v12, off, s[0:3], s33 offset:240
	;; [unrolled: 1-line block ×8, first 2 shown]
	s_waitcnt vmcnt(7)
	v_lshlrev_b32_e32 v1, 16, v11
	s_waitcnt vmcnt(6)
	v_lshlrev_b32_e32 v26, 16, v12
	v_max_f32_e32 v26, v26, v26
	v_max_f32_e32 v1, v1, v1
	v_min_f32_e32 v27, v1, v26
	v_max_f32_e32 v1, v1, v26
	v_cndmask_b32_e64 v26, v1, v27, s[30:31]
	v_and_b32_e32 v1, 0x7f800000, v26
	v_cmp_ne_u32_e32 vcc, s91, v1
                                        ; implicit-def: $vgpr1
	s_and_saveexec_b64 s[34:35], vcc
	s_xor_b64 vcc, exec, s[34:35]
; %bb.1196:                             ;   in Loop: Header=BB8_1192 Depth=3
	v_bfe_u32 v1, v26, 16, 1
	v_add3_u32 v1, v26, v1, s92
                                        ; implicit-def: $vgpr26
; %bb.1197:                             ;   in Loop: Header=BB8_1192 Depth=3
	s_andn2_saveexec_b64 s[34:35], vcc
; %bb.1198:                             ;   in Loop: Header=BB8_1192 Depth=3
	v_or_b32_e32 v1, 0x10000, v26
	v_cmp_eq_u32_sdwa vcc, v26, v42 src0_sel:WORD_0 src1_sel:DWORD
	v_cndmask_b32_e32 v1, v1, v26, vcc
; %bb.1199:                             ;   in Loop: Header=BB8_1192 Depth=3
	s_or_b64 exec, exec, s[34:35]
	v_and_b32_e32 v11, 0xffff0000, v11
	v_and_b32_e32 v12, 0xffff0000, v12
	v_max_f32_e32 v12, v12, v12
	v_max_f32_e32 v11, v11, v11
	v_min_f32_e32 v26, v11, v12
	v_max_f32_e32 v11, v11, v12
	v_cndmask_b32_e64 v11, v11, v26, s[30:31]
	v_and_b32_e32 v12, 0x7f800000, v11
	v_cmp_ne_u32_e32 vcc, s91, v12
                                        ; implicit-def: $vgpr12
	s_and_saveexec_b64 s[34:35], vcc
	s_xor_b64 vcc, exec, s[34:35]
; %bb.1200:                             ;   in Loop: Header=BB8_1192 Depth=3
	v_bfe_u32 v12, v11, 16, 1
	v_add3_u32 v12, v11, v12, s92
                                        ; implicit-def: $vgpr11
; %bb.1201:                             ;   in Loop: Header=BB8_1192 Depth=3
	s_andn2_saveexec_b64 s[34:35], vcc
; %bb.1202:                             ;   in Loop: Header=BB8_1192 Depth=3
	v_or_b32_e32 v12, 0x10000, v11
	v_cmp_eq_u32_sdwa vcc, v11, v42 src0_sel:WORD_0 src1_sel:DWORD
	v_cndmask_b32_e32 v12, v12, v11, vcc
; %bb.1203:                             ;   in Loop: Header=BB8_1192 Depth=3
	s_or_b64 exec, exec, s[34:35]
	s_waitcnt vmcnt(5)
	v_lshlrev_b32_e32 v11, 16, v24
	s_waitcnt vmcnt(2)
	v_lshlrev_b32_e32 v26, 16, v25
	v_max_f32_e32 v26, v26, v26
	v_max_f32_e32 v11, v11, v11
	v_min_f32_e32 v27, v11, v26
	v_max_f32_e32 v11, v11, v26
	v_cndmask_b32_e64 v26, v11, v27, s[30:31]
	v_and_b32_e32 v11, 0x7f800000, v26
	v_cmp_ne_u32_e32 vcc, s91, v11
                                        ; implicit-def: $vgpr11
	s_and_saveexec_b64 s[34:35], vcc
	s_xor_b64 vcc, exec, s[34:35]
; %bb.1204:                             ;   in Loop: Header=BB8_1192 Depth=3
	v_bfe_u32 v11, v26, 16, 1
	v_add3_u32 v11, v26, v11, s92
                                        ; implicit-def: $vgpr26
; %bb.1205:                             ;   in Loop: Header=BB8_1192 Depth=3
	s_andn2_saveexec_b64 s[34:35], vcc
; %bb.1206:                             ;   in Loop: Header=BB8_1192 Depth=3
	v_or_b32_e32 v11, 0x10000, v26
	v_cmp_eq_u32_sdwa vcc, v26, v42 src0_sel:WORD_0 src1_sel:DWORD
	v_cndmask_b32_e32 v11, v11, v26, vcc
; %bb.1207:                             ;   in Loop: Header=BB8_1192 Depth=3
	s_or_b64 exec, exec, s[34:35]
	v_and_b32_e32 v24, 0xffff0000, v24
	v_and_b32_e32 v25, 0xffff0000, v25
	v_max_f32_e32 v25, v25, v25
	v_max_f32_e32 v24, v24, v24
	v_min_f32_e32 v26, v24, v25
	v_max_f32_e32 v24, v24, v25
	v_cndmask_b32_e64 v25, v24, v26, s[30:31]
	v_and_b32_e32 v24, 0x7f800000, v25
	v_cmp_ne_u32_e32 vcc, s91, v24
                                        ; implicit-def: $vgpr24
	s_and_saveexec_b64 s[34:35], vcc
	s_xor_b64 vcc, exec, s[34:35]
; %bb.1208:                             ;   in Loop: Header=BB8_1192 Depth=3
	v_bfe_u32 v24, v25, 16, 1
	v_add3_u32 v24, v25, v24, s92
                                        ; implicit-def: $vgpr25
; %bb.1209:                             ;   in Loop: Header=BB8_1192 Depth=3
	s_andn2_saveexec_b64 s[34:35], vcc
; %bb.1210:                             ;   in Loop: Header=BB8_1192 Depth=3
	v_or_b32_e32 v24, 0x10000, v25
	v_cmp_eq_u32_sdwa vcc, v25, v42 src0_sel:WORD_0 src1_sel:DWORD
	v_cndmask_b32_e32 v24, v24, v25, vcc
; %bb.1211:                             ;   in Loop: Header=BB8_1192 Depth=3
	s_or_b64 exec, exec, s[34:35]
	v_lshlrev_b32_e32 v25, 16, v13
	s_waitcnt vmcnt(1)
	v_lshlrev_b32_e32 v26, 16, v23
	v_max_f32_e32 v26, v26, v26
	v_max_f32_e32 v25, v25, v25
	v_min_f32_e32 v27, v25, v26
	v_max_f32_e32 v25, v25, v26
	v_cndmask_b32_e64 v26, v25, v27, s[30:31]
	v_and_b32_e32 v25, 0x7f800000, v26
	v_cmp_ne_u32_e32 vcc, s91, v25
                                        ; implicit-def: $vgpr25
	s_and_saveexec_b64 s[34:35], vcc
	s_xor_b64 vcc, exec, s[34:35]
; %bb.1212:                             ;   in Loop: Header=BB8_1192 Depth=3
	v_bfe_u32 v25, v26, 16, 1
	v_add3_u32 v25, v26, v25, s92
                                        ; implicit-def: $vgpr26
; %bb.1213:                             ;   in Loop: Header=BB8_1192 Depth=3
	s_andn2_saveexec_b64 s[34:35], vcc
; %bb.1214:                             ;   in Loop: Header=BB8_1192 Depth=3
	v_or_b32_e32 v25, 0x10000, v26
	v_cmp_eq_u32_sdwa vcc, v26, v42 src0_sel:WORD_0 src1_sel:DWORD
	v_cndmask_b32_e32 v25, v25, v26, vcc
; %bb.1215:                             ;   in Loop: Header=BB8_1192 Depth=3
	s_or_b64 exec, exec, s[34:35]
	v_and_b32_e32 v13, 0xffff0000, v13
	v_and_b32_e32 v23, 0xffff0000, v23
	v_max_f32_e32 v23, v23, v23
	v_max_f32_e32 v13, v13, v13
	v_min_f32_e32 v26, v13, v23
	v_max_f32_e32 v13, v13, v23
	v_cndmask_b32_e64 v23, v13, v26, s[30:31]
	v_and_b32_e32 v13, 0x7f800000, v23
	v_cmp_ne_u32_e32 vcc, s91, v13
                                        ; implicit-def: $vgpr13
	s_and_saveexec_b64 s[34:35], vcc
	s_xor_b64 vcc, exec, s[34:35]
; %bb.1216:                             ;   in Loop: Header=BB8_1192 Depth=3
	v_bfe_u32 v13, v23, 16, 1
	v_add3_u32 v13, v23, v13, s92
                                        ; implicit-def: $vgpr23
; %bb.1217:                             ;   in Loop: Header=BB8_1192 Depth=3
	s_andn2_saveexec_b64 s[34:35], vcc
; %bb.1218:                             ;   in Loop: Header=BB8_1192 Depth=3
	v_or_b32_e32 v13, 0x10000, v23
	v_cmp_eq_u32_sdwa vcc, v23, v42 src0_sel:WORD_0 src1_sel:DWORD
	v_cndmask_b32_e32 v13, v13, v23, vcc
; %bb.1219:                             ;   in Loop: Header=BB8_1192 Depth=3
	s_or_b64 exec, exec, s[34:35]
	v_lshlrev_b32_e32 v23, 16, v5
	s_waitcnt vmcnt(0)
	v_lshlrev_b32_e32 v26, 16, v10
	v_max_f32_e32 v26, v26, v26
	v_max_f32_e32 v23, v23, v23
	v_min_f32_e32 v27, v23, v26
	v_max_f32_e32 v23, v23, v26
	v_cndmask_b32_e64 v26, v23, v27, s[30:31]
	v_and_b32_e32 v23, 0x7f800000, v26
	v_cmp_ne_u32_e32 vcc, s91, v23
                                        ; implicit-def: $vgpr23
	s_and_saveexec_b64 s[34:35], vcc
	s_xor_b64 vcc, exec, s[34:35]
; %bb.1220:                             ;   in Loop: Header=BB8_1192 Depth=3
	v_bfe_u32 v23, v26, 16, 1
	v_add3_u32 v23, v26, v23, s92
                                        ; implicit-def: $vgpr26
; %bb.1221:                             ;   in Loop: Header=BB8_1192 Depth=3
	s_andn2_saveexec_b64 s[34:35], vcc
; %bb.1222:                             ;   in Loop: Header=BB8_1192 Depth=3
	v_or_b32_e32 v23, 0x10000, v26
	v_cmp_eq_u32_sdwa vcc, v26, v42 src0_sel:WORD_0 src1_sel:DWORD
	v_cndmask_b32_e32 v23, v23, v26, vcc
; %bb.1223:                             ;   in Loop: Header=BB8_1192 Depth=3
	s_or_b64 exec, exec, s[34:35]
	v_and_b32_e32 v5, 0xffff0000, v5
	v_and_b32_e32 v10, 0xffff0000, v10
	v_max_f32_e32 v10, v10, v10
	v_max_f32_e32 v5, v5, v5
	v_min_f32_e32 v26, v5, v10
	v_max_f32_e32 v5, v5, v10
	v_cndmask_b32_e64 v10, v5, v26, s[30:31]
	v_and_b32_e32 v5, 0x7f800000, v10
	v_cmp_ne_u32_e32 vcc, s91, v5
                                        ; implicit-def: $vgpr5
	s_and_saveexec_b64 s[34:35], vcc
	s_xor_b64 vcc, exec, s[34:35]
; %bb.1224:                             ;   in Loop: Header=BB8_1192 Depth=3
	v_bfe_u32 v5, v10, 16, 1
	v_add3_u32 v5, v10, v5, s92
                                        ; implicit-def: $vgpr10
; %bb.1225:                             ;   in Loop: Header=BB8_1192 Depth=3
	s_andn2_saveexec_b64 s[34:35], vcc
; %bb.1226:                             ;   in Loop: Header=BB8_1192 Depth=3
	v_or_b32_e32 v5, 0x10000, v10
	v_cmp_eq_u32_sdwa vcc, v10, v42 src0_sel:WORD_0 src1_sel:DWORD
	v_cndmask_b32_e32 v5, v5, v10, vcc
; %bb.1227:                             ;   in Loop: Header=BB8_1192 Depth=3
	s_or_b64 exec, exec, s[34:35]
	v_lshrrev_b32_e32 v10, 16, v11
	v_lshrrev_b32_e32 v1, 16, v1
	v_and_or_b32 v11, v24, s93, v10
	v_and_or_b32 v10, v12, s93, v1
	v_lshrrev_b32_e32 v1, 16, v25
	v_and_or_b32 v12, v13, s93, v1
	v_lshrrev_b32_e32 v1, 16, v23
	v_and_or_b32 v13, v5, s93, v1
	s_mov_b64 s[72:73], 0
	s_mov_b64 s[68:69], -1
	buffer_store_dword v11, off, s[0:3], s33 offset:228
	buffer_store_dword v10, off, s[0:3], s33 offset:224
	;; [unrolled: 1-line block ×4, first 2 shown]
.LBB8_1228:                             ;   Parent Loop BB8_47 Depth=1
                                        ;     Parent Loop BB8_907 Depth=2
                                        ;       Parent Loop BB8_1192 Depth=3
                                        ; =>      This Inner Loop Header: Depth=4
	s_cmp_eq_u32 s72, 1
	s_cselect_b64 s[34:35], -1, 0
	v_cndmask_b32_e64 v24, v0, v2, s[34:35]
	v_cndmask_b32_e64 v25, v3, v9, s[34:35]
	v_add_co_u32_e32 v1, vcc, 0x400, v24
	s_cmp_eq_u32 s72, 0
	v_addc_co_u32_e32 v5, vcc, 0, v25, vcc
	s_cselect_b64 vcc, -1, 0
	s_and_b64 s[36:37], exec, s[68:69]
	s_mov_b64 s[72:73], 1
	v_cndmask_b32_e64 v2, v2, v1, s[34:35]
	s_mov_b64 s[68:69], 0
	v_cndmask_b32_e64 v9, v9, v5, s[34:35]
	v_cndmask_b32_e32 v3, v3, v5, vcc
	v_cndmask_b32_e32 v0, v0, v1, vcc
	s_mov_b64 vcc, s[36:37]
	global_store_dwordx4 v[24:25], v[10:13], off glc slc
	s_cbranch_vccnz .LBB8_1228
; %bb.1229:                             ;   in Loop: Header=BB8_1192 Depth=3
	v_accvgpr_read_b32 v10, a32
	v_accvgpr_read_b32 v11, a33
	v_add_co_u32_e32 v0, vcc, v0, v10
	v_addc_co_u32_e32 v3, vcc, v3, v11, vcc
	v_add_co_u32_e32 v2, vcc, v2, v10
	v_addc_co_u32_e32 v9, vcc, v9, v11, vcc
.LBB8_1230:                             ;   in Loop: Header=BB8_1192 Depth=3
	s_or_b64 exec, exec, s[70:71]
	v_accvgpr_read_b32 v10, a32
	v_accvgpr_read_b32 v11, a33
	v_add_co_u32_e32 v8, vcc, v8, v10
	v_addc_co_u32_e32 v15, vcc, v15, v11, vcc
	v_accvgpr_read_b32 v1, a21
	v_add_co_u32_e32 v14, vcc, v14, v10
	v_sub_u32_e32 v22, v22, v1
	v_addc_co_u32_e32 v17, vcc, v17, v11, vcc
	v_cmp_lt_i32_e64 s[68:69], 15, v22
	s_and_saveexec_b64 s[70:71], s[68:69]
	s_cbranch_execz .LBB8_1233
; %bb.1231:                             ;   in Loop: Header=BB8_1192 Depth=3
	v_lshrrev_b32_e64 v1, 6, s33
	v_add_u32_e32 v1, 0xe0, v1
	s_mov_b64 s[74:75], 0
	s_mov_b64 s[72:73], -1
	v_accvgpr_read_b32 v26, a27
.LBB8_1232:                             ;   Parent Loop BB8_47 Depth=1
                                        ;     Parent Loop BB8_907 Depth=2
                                        ;       Parent Loop BB8_1192 Depth=3
                                        ; =>      This Inner Loop Header: Depth=4
	s_cmp_eq_u32 s74, 1
	s_cselect_b64 s[34:35], -1, 0
	v_cndmask_b32_e64 v25, v15, v17, s[34:35]
	v_cndmask_b32_e64 v24, v8, v14, s[34:35]
	global_load_dwordx4 v[10:13], v[24:25], off glc slc
	v_add_co_u32_e32 v5, vcc, s79, v24
	s_cmp_eq_u32 s74, 0
	v_addc_co_u32_e32 v23, vcc, 0, v25, vcc
	s_cselect_b64 vcc, -1, 0
	s_and_b64 s[36:37], exec, s[72:73]
	s_mov_b64 s[74:75], 1
	v_cndmask_b32_e64 v14, v14, v5, s[34:35]
	s_mov_b64 s[72:73], 0
	v_cndmask_b32_e32 v15, v15, v23, vcc
	v_cndmask_b32_e32 v8, v8, v5, vcc
	v_cndmask_b32_e64 v17, v17, v23, s[34:35]
	s_mov_b64 vcc, s[36:37]
	s_waitcnt vmcnt(0)
	buffer_store_dword v11, v1, s[0:3], 0 offen offset:4
	buffer_store_dword v10, v1, s[0:3], 0 offen
	buffer_store_dword v13, v1, s[0:3], 0 offen offset:12
	buffer_store_dword v12, v1, s[0:3], 0 offen offset:8
	v_mov_b32_e32 v1, v26
	s_cbranch_vccnz .LBB8_1232
.LBB8_1233:                             ;   in Loop: Header=BB8_1192 Depth=3
	s_or_b64 exec, exec, s[70:71]
	buffer_load_dword v11, off, s[0:3], s33 offset:192
	buffer_load_dword v12, off, s[0:3], s33 offset:208
	;; [unrolled: 1-line block ×8, first 2 shown]
	s_waitcnt vmcnt(7)
	v_lshlrev_b32_e32 v1, 16, v11
	s_waitcnt vmcnt(6)
	v_lshlrev_b32_e32 v26, 16, v12
	v_max_f32_e32 v26, v26, v26
	v_max_f32_e32 v1, v1, v1
	v_min_f32_e32 v27, v1, v26
	v_max_f32_e32 v1, v1, v26
	v_cndmask_b32_e64 v26, v1, v27, s[30:31]
	v_and_b32_e32 v1, 0x7f800000, v26
	v_cmp_ne_u32_e32 vcc, s91, v1
                                        ; implicit-def: $vgpr1
	s_and_saveexec_b64 s[34:35], vcc
	s_xor_b64 vcc, exec, s[34:35]
; %bb.1234:                             ;   in Loop: Header=BB8_1192 Depth=3
	v_bfe_u32 v1, v26, 16, 1
	v_add3_u32 v1, v26, v1, s92
                                        ; implicit-def: $vgpr26
; %bb.1235:                             ;   in Loop: Header=BB8_1192 Depth=3
	s_andn2_saveexec_b64 s[34:35], vcc
; %bb.1236:                             ;   in Loop: Header=BB8_1192 Depth=3
	v_or_b32_e32 v1, 0x10000, v26
	v_cmp_eq_u32_sdwa vcc, v26, v42 src0_sel:WORD_0 src1_sel:DWORD
	v_cndmask_b32_e32 v1, v1, v26, vcc
; %bb.1237:                             ;   in Loop: Header=BB8_1192 Depth=3
	s_or_b64 exec, exec, s[34:35]
	v_and_b32_e32 v11, 0xffff0000, v11
	v_and_b32_e32 v12, 0xffff0000, v12
	v_max_f32_e32 v12, v12, v12
	v_max_f32_e32 v11, v11, v11
	v_min_f32_e32 v26, v11, v12
	v_max_f32_e32 v11, v11, v12
	v_cndmask_b32_e64 v11, v11, v26, s[30:31]
	v_and_b32_e32 v12, 0x7f800000, v11
	v_cmp_ne_u32_e32 vcc, s91, v12
                                        ; implicit-def: $vgpr12
	s_and_saveexec_b64 s[34:35], vcc
	s_xor_b64 vcc, exec, s[34:35]
; %bb.1238:                             ;   in Loop: Header=BB8_1192 Depth=3
	v_bfe_u32 v12, v11, 16, 1
	v_add3_u32 v12, v11, v12, s92
                                        ; implicit-def: $vgpr11
; %bb.1239:                             ;   in Loop: Header=BB8_1192 Depth=3
	s_andn2_saveexec_b64 s[34:35], vcc
; %bb.1240:                             ;   in Loop: Header=BB8_1192 Depth=3
	v_or_b32_e32 v12, 0x10000, v11
	v_cmp_eq_u32_sdwa vcc, v11, v42 src0_sel:WORD_0 src1_sel:DWORD
	v_cndmask_b32_e32 v12, v12, v11, vcc
; %bb.1241:                             ;   in Loop: Header=BB8_1192 Depth=3
	s_or_b64 exec, exec, s[34:35]
	s_waitcnt vmcnt(5)
	v_lshlrev_b32_e32 v11, 16, v24
	s_waitcnt vmcnt(2)
	v_lshlrev_b32_e32 v26, 16, v25
	v_max_f32_e32 v26, v26, v26
	v_max_f32_e32 v11, v11, v11
	v_min_f32_e32 v27, v11, v26
	v_max_f32_e32 v11, v11, v26
	v_cndmask_b32_e64 v26, v11, v27, s[30:31]
	v_and_b32_e32 v11, 0x7f800000, v26
	v_cmp_ne_u32_e32 vcc, s91, v11
                                        ; implicit-def: $vgpr11
	s_and_saveexec_b64 s[34:35], vcc
	s_xor_b64 vcc, exec, s[34:35]
; %bb.1242:                             ;   in Loop: Header=BB8_1192 Depth=3
	v_bfe_u32 v11, v26, 16, 1
	v_add3_u32 v11, v26, v11, s92
                                        ; implicit-def: $vgpr26
; %bb.1243:                             ;   in Loop: Header=BB8_1192 Depth=3
	s_andn2_saveexec_b64 s[34:35], vcc
; %bb.1244:                             ;   in Loop: Header=BB8_1192 Depth=3
	v_or_b32_e32 v11, 0x10000, v26
	v_cmp_eq_u32_sdwa vcc, v26, v42 src0_sel:WORD_0 src1_sel:DWORD
	v_cndmask_b32_e32 v11, v11, v26, vcc
; %bb.1245:                             ;   in Loop: Header=BB8_1192 Depth=3
	s_or_b64 exec, exec, s[34:35]
	v_and_b32_e32 v24, 0xffff0000, v24
	v_and_b32_e32 v25, 0xffff0000, v25
	v_max_f32_e32 v25, v25, v25
	v_max_f32_e32 v24, v24, v24
	v_min_f32_e32 v26, v24, v25
	v_max_f32_e32 v24, v24, v25
	v_cndmask_b32_e64 v25, v24, v26, s[30:31]
	v_and_b32_e32 v24, 0x7f800000, v25
	v_cmp_ne_u32_e32 vcc, s91, v24
                                        ; implicit-def: $vgpr24
	s_and_saveexec_b64 s[34:35], vcc
	s_xor_b64 vcc, exec, s[34:35]
; %bb.1246:                             ;   in Loop: Header=BB8_1192 Depth=3
	v_bfe_u32 v24, v25, 16, 1
	v_add3_u32 v24, v25, v24, s92
                                        ; implicit-def: $vgpr25
; %bb.1247:                             ;   in Loop: Header=BB8_1192 Depth=3
	s_andn2_saveexec_b64 s[34:35], vcc
; %bb.1248:                             ;   in Loop: Header=BB8_1192 Depth=3
	v_or_b32_e32 v24, 0x10000, v25
	v_cmp_eq_u32_sdwa vcc, v25, v42 src0_sel:WORD_0 src1_sel:DWORD
	v_cndmask_b32_e32 v24, v24, v25, vcc
; %bb.1249:                             ;   in Loop: Header=BB8_1192 Depth=3
	s_or_b64 exec, exec, s[34:35]
	v_lshlrev_b32_e32 v25, 16, v13
	s_waitcnt vmcnt(1)
	v_lshlrev_b32_e32 v26, 16, v23
	v_max_f32_e32 v26, v26, v26
	v_max_f32_e32 v25, v25, v25
	v_min_f32_e32 v27, v25, v26
	v_max_f32_e32 v25, v25, v26
	v_cndmask_b32_e64 v26, v25, v27, s[30:31]
	v_and_b32_e32 v25, 0x7f800000, v26
	v_cmp_ne_u32_e32 vcc, s91, v25
                                        ; implicit-def: $vgpr25
	s_and_saveexec_b64 s[34:35], vcc
	s_xor_b64 vcc, exec, s[34:35]
; %bb.1250:                             ;   in Loop: Header=BB8_1192 Depth=3
	v_bfe_u32 v25, v26, 16, 1
	v_add3_u32 v25, v26, v25, s92
                                        ; implicit-def: $vgpr26
; %bb.1251:                             ;   in Loop: Header=BB8_1192 Depth=3
	s_andn2_saveexec_b64 s[34:35], vcc
; %bb.1252:                             ;   in Loop: Header=BB8_1192 Depth=3
	v_or_b32_e32 v25, 0x10000, v26
	v_cmp_eq_u32_sdwa vcc, v26, v42 src0_sel:WORD_0 src1_sel:DWORD
	v_cndmask_b32_e32 v25, v25, v26, vcc
; %bb.1253:                             ;   in Loop: Header=BB8_1192 Depth=3
	s_or_b64 exec, exec, s[34:35]
	v_and_b32_e32 v13, 0xffff0000, v13
	v_and_b32_e32 v23, 0xffff0000, v23
	v_max_f32_e32 v23, v23, v23
	v_max_f32_e32 v13, v13, v13
	v_min_f32_e32 v26, v13, v23
	v_max_f32_e32 v13, v13, v23
	v_cndmask_b32_e64 v23, v13, v26, s[30:31]
	v_and_b32_e32 v13, 0x7f800000, v23
	v_cmp_ne_u32_e32 vcc, s91, v13
                                        ; implicit-def: $vgpr13
	s_and_saveexec_b64 s[34:35], vcc
	s_xor_b64 vcc, exec, s[34:35]
; %bb.1254:                             ;   in Loop: Header=BB8_1192 Depth=3
	v_bfe_u32 v13, v23, 16, 1
	v_add3_u32 v13, v23, v13, s92
                                        ; implicit-def: $vgpr23
; %bb.1255:                             ;   in Loop: Header=BB8_1192 Depth=3
	s_andn2_saveexec_b64 s[34:35], vcc
; %bb.1256:                             ;   in Loop: Header=BB8_1192 Depth=3
	v_or_b32_e32 v13, 0x10000, v23
	v_cmp_eq_u32_sdwa vcc, v23, v42 src0_sel:WORD_0 src1_sel:DWORD
	v_cndmask_b32_e32 v13, v13, v23, vcc
; %bb.1257:                             ;   in Loop: Header=BB8_1192 Depth=3
	s_or_b64 exec, exec, s[34:35]
	v_lshlrev_b32_e32 v23, 16, v5
	s_waitcnt vmcnt(0)
	v_lshlrev_b32_e32 v26, 16, v10
	v_max_f32_e32 v26, v26, v26
	v_max_f32_e32 v23, v23, v23
	v_min_f32_e32 v27, v23, v26
	v_max_f32_e32 v23, v23, v26
	v_cndmask_b32_e64 v26, v23, v27, s[30:31]
	v_and_b32_e32 v23, 0x7f800000, v26
	v_cmp_ne_u32_e32 vcc, s91, v23
                                        ; implicit-def: $vgpr23
	s_and_saveexec_b64 s[34:35], vcc
	s_xor_b64 vcc, exec, s[34:35]
; %bb.1258:                             ;   in Loop: Header=BB8_1192 Depth=3
	v_bfe_u32 v23, v26, 16, 1
	v_add3_u32 v23, v26, v23, s92
                                        ; implicit-def: $vgpr26
; %bb.1259:                             ;   in Loop: Header=BB8_1192 Depth=3
	s_andn2_saveexec_b64 s[34:35], vcc
; %bb.1260:                             ;   in Loop: Header=BB8_1192 Depth=3
	v_or_b32_e32 v23, 0x10000, v26
	v_cmp_eq_u32_sdwa vcc, v26, v42 src0_sel:WORD_0 src1_sel:DWORD
	v_cndmask_b32_e32 v23, v23, v26, vcc
; %bb.1261:                             ;   in Loop: Header=BB8_1192 Depth=3
	s_or_b64 exec, exec, s[34:35]
	v_and_b32_e32 v5, 0xffff0000, v5
	v_and_b32_e32 v10, 0xffff0000, v10
	v_max_f32_e32 v10, v10, v10
	v_max_f32_e32 v5, v5, v5
	v_min_f32_e32 v26, v5, v10
	v_max_f32_e32 v5, v5, v10
	v_cndmask_b32_e64 v10, v5, v26, s[30:31]
	v_and_b32_e32 v5, 0x7f800000, v10
	v_cmp_ne_u32_e32 vcc, s91, v5
                                        ; implicit-def: $vgpr5
	s_and_saveexec_b64 s[34:35], vcc
	s_xor_b64 vcc, exec, s[34:35]
; %bb.1262:                             ;   in Loop: Header=BB8_1192 Depth=3
	v_bfe_u32 v5, v10, 16, 1
	v_add3_u32 v5, v10, v5, s92
                                        ; implicit-def: $vgpr10
; %bb.1263:                             ;   in Loop: Header=BB8_1192 Depth=3
	s_andn2_saveexec_b64 s[34:35], vcc
; %bb.1264:                             ;   in Loop: Header=BB8_1192 Depth=3
	v_or_b32_e32 v5, 0x10000, v10
	v_cmp_eq_u32_sdwa vcc, v10, v42 src0_sel:WORD_0 src1_sel:DWORD
	v_cndmask_b32_e32 v5, v5, v10, vcc
; %bb.1265:                             ;   in Loop: Header=BB8_1192 Depth=3
	s_or_b64 exec, exec, s[34:35]
	v_lshrrev_b32_e32 v10, 16, v11
	v_lshrrev_b32_e32 v1, 16, v1
	v_and_or_b32 v11, v24, s93, v10
	v_and_or_b32 v10, v12, s93, v1
	v_lshrrev_b32_e32 v1, 16, v25
	v_and_or_b32 v12, v13, s93, v1
	v_lshrrev_b32_e32 v1, 16, v23
	v_and_or_b32 v13, v5, s93, v1
	s_mov_b64 s[72:73], 0
	s_mov_b64 s[70:71], -1
	buffer_store_dword v11, off, s[0:3], s33 offset:196
	buffer_store_dword v10, off, s[0:3], s33 offset:192
	;; [unrolled: 1-line block ×4, first 2 shown]
.LBB8_1266:                             ;   Parent Loop BB8_47 Depth=1
                                        ;     Parent Loop BB8_907 Depth=2
                                        ;       Parent Loop BB8_1192 Depth=3
                                        ; =>      This Inner Loop Header: Depth=4
	s_cmp_eq_u32 s72, 1
	s_cselect_b64 s[34:35], -1, 0
	v_cndmask_b32_e64 v24, v0, v2, s[34:35]
	v_cndmask_b32_e64 v25, v3, v9, s[34:35]
	v_add_co_u32_e32 v1, vcc, 0x400, v24
	s_cmp_eq_u32 s72, 0
	v_addc_co_u32_e32 v5, vcc, 0, v25, vcc
	s_cselect_b64 vcc, -1, 0
	s_and_b64 s[36:37], exec, s[70:71]
	s_mov_b64 s[72:73], 1
	v_cndmask_b32_e64 v2, v2, v1, s[34:35]
	s_mov_b64 s[70:71], 0
	v_cndmask_b32_e64 v9, v9, v5, s[34:35]
	v_cndmask_b32_e32 v3, v3, v5, vcc
	v_cndmask_b32_e32 v0, v0, v1, vcc
	s_mov_b64 vcc, s[36:37]
	global_store_dwordx4 v[24:25], v[10:13], off glc slc
	s_cbranch_vccnz .LBB8_1266
; %bb.1267:                             ;   in Loop: Header=BB8_1192 Depth=3
	v_accvgpr_read_b32 v10, a20
	v_sub_u32_e32 v21, v21, v10
	s_and_saveexec_b64 s[34:35], s[68:69]
	s_cbranch_execz .LBB8_1191
; %bb.1268:                             ;   in Loop: Header=BB8_1192 Depth=3
	v_accvgpr_read_b32 v10, a32
	v_accvgpr_read_b32 v11, a33
	v_add_co_u32_e32 v0, vcc, v0, v10
	v_addc_co_u32_e32 v3, vcc, v3, v11, vcc
	v_add_co_u32_e32 v2, vcc, v2, v10
	v_addc_co_u32_e32 v9, vcc, v9, v11, vcc
	;; [unrolled: 2-line block ×3, first 2 shown]
	v_add_co_u32_e32 v14, vcc, v14, v10
	v_accvgpr_read_b32 v1, a21
	v_accvgpr_read_b32 v10, a20
	v_addc_co_u32_e32 v17, vcc, v17, v11, vcc
	v_sub_u32_e32 v22, v22, v1
	v_sub_u32_e32 v21, v21, v10
	s_branch .LBB8_1191
.LBB8_1269:                             ;   in Loop: Header=BB8_907 Depth=2
	s_or_b64 exec, exec, s[64:65]
	s_and_b64 s[30:31], s[66:67], exec
.LBB8_1270:                             ;   in Loop: Header=BB8_907 Depth=2
	s_or_b64 exec, exec, s[62:63]
	s_and_saveexec_b64 s[36:37], s[30:31]
	s_cbranch_execz .LBB8_1305
; %bb.1271:                             ;   in Loop: Header=BB8_907 Depth=2
	buffer_load_dword v10, off, s[0:3], s33 offset:224
	buffer_load_dword v11, off, s[0:3], s33 offset:240
	;; [unrolled: 1-line block ×8, first 2 shown]
	s_waitcnt vmcnt(0)
	v_lshlrev_b32_e32 v1, 16, v10
	v_lshlrev_b32_e32 v17, 16, v11
	v_max_f32_e32 v17, v17, v17
	v_max_f32_e32 v1, v1, v1
	v_min_f32_e32 v22, v1, v17
	v_max_f32_e32 v1, v1, v17
	v_accvgpr_read_b32 v17, a59
	v_cmp_eq_u16_e32 vcc, 0, v17
	v_cndmask_b32_e32 v17, v1, v22, vcc
	v_and_b32_e32 v1, 0x7f800000, v17
	v_cmp_ne_u32_e64 s[30:31], s91, v1
                                        ; implicit-def: $vgpr1
	s_and_saveexec_b64 s[34:35], s[30:31]
	s_xor_b64 s[30:31], exec, s[34:35]
; %bb.1272:                             ;   in Loop: Header=BB8_907 Depth=2
	v_bfe_u32 v1, v17, 16, 1
	v_add3_u32 v1, v17, v1, s92
                                        ; implicit-def: $vgpr17
; %bb.1273:                             ;   in Loop: Header=BB8_907 Depth=2
	s_andn2_saveexec_b64 s[34:35], s[30:31]
; %bb.1274:                             ;   in Loop: Header=BB8_907 Depth=2
	v_or_b32_e32 v1, 0x10000, v17
	v_cmp_eq_u32_sdwa s[30:31], v17, v42 src0_sel:WORD_0 src1_sel:DWORD
	v_cndmask_b32_e64 v1, v1, v17, s[30:31]
; %bb.1275:                             ;   in Loop: Header=BB8_907 Depth=2
	s_or_b64 exec, exec, s[34:35]
	v_and_b32_e32 v10, 0xffff0000, v10
	v_and_b32_e32 v11, 0xffff0000, v11
	v_max_f32_e32 v11, v11, v11
	v_max_f32_e32 v10, v10, v10
	v_min_f32_e32 v17, v10, v11
	v_max_f32_e32 v10, v10, v11
	v_cndmask_b32_e32 v11, v10, v17, vcc
	v_and_b32_e32 v10, 0x7f800000, v11
	v_cmp_ne_u32_e64 s[30:31], s91, v10
                                        ; implicit-def: $vgpr10
	s_and_saveexec_b64 s[34:35], s[30:31]
	s_xor_b64 s[30:31], exec, s[34:35]
; %bb.1276:                             ;   in Loop: Header=BB8_907 Depth=2
	v_bfe_u32 v10, v11, 16, 1
	v_add3_u32 v10, v11, v10, s92
                                        ; implicit-def: $vgpr11
; %bb.1277:                             ;   in Loop: Header=BB8_907 Depth=2
	s_andn2_saveexec_b64 s[34:35], s[30:31]
; %bb.1278:                             ;   in Loop: Header=BB8_907 Depth=2
	v_or_b32_e32 v10, 0x10000, v11
	v_cmp_eq_u32_sdwa s[30:31], v11, v42 src0_sel:WORD_0 src1_sel:DWORD
	v_cndmask_b32_e64 v10, v10, v11, s[30:31]
; %bb.1279:                             ;   in Loop: Header=BB8_907 Depth=2
	s_or_b64 exec, exec, s[34:35]
	v_lshlrev_b32_e32 v11, 16, v14
	v_lshlrev_b32_e32 v17, 16, v15
	v_max_f32_e32 v17, v17, v17
	v_max_f32_e32 v11, v11, v11
	v_min_f32_e32 v22, v11, v17
	v_max_f32_e32 v11, v11, v17
	v_cndmask_b32_e32 v17, v11, v22, vcc
	v_and_b32_e32 v11, 0x7f800000, v17
	v_cmp_ne_u32_e64 s[30:31], s91, v11
                                        ; implicit-def: $vgpr11
	s_and_saveexec_b64 s[34:35], s[30:31]
	s_xor_b64 s[30:31], exec, s[34:35]
; %bb.1280:                             ;   in Loop: Header=BB8_907 Depth=2
	v_bfe_u32 v11, v17, 16, 1
	v_add3_u32 v11, v17, v11, s92
                                        ; implicit-def: $vgpr17
; %bb.1281:                             ;   in Loop: Header=BB8_907 Depth=2
	s_andn2_saveexec_b64 s[34:35], s[30:31]
; %bb.1282:                             ;   in Loop: Header=BB8_907 Depth=2
	v_or_b32_e32 v11, 0x10000, v17
	v_cmp_eq_u32_sdwa s[30:31], v17, v42 src0_sel:WORD_0 src1_sel:DWORD
	v_cndmask_b32_e64 v11, v11, v17, s[30:31]
; %bb.1283:                             ;   in Loop: Header=BB8_907 Depth=2
	s_or_b64 exec, exec, s[34:35]
	v_and_b32_e32 v14, 0xffff0000, v14
	v_and_b32_e32 v15, 0xffff0000, v15
	v_max_f32_e32 v15, v15, v15
	v_max_f32_e32 v14, v14, v14
	v_min_f32_e32 v17, v14, v15
	v_max_f32_e32 v14, v14, v15
	v_cndmask_b32_e32 v15, v14, v17, vcc
	v_and_b32_e32 v14, 0x7f800000, v15
	v_cmp_ne_u32_e64 s[30:31], s91, v14
                                        ; implicit-def: $vgpr14
	s_and_saveexec_b64 s[34:35], s[30:31]
	s_xor_b64 s[30:31], exec, s[34:35]
; %bb.1284:                             ;   in Loop: Header=BB8_907 Depth=2
	v_bfe_u32 v14, v15, 16, 1
	v_add3_u32 v14, v15, v14, s92
                                        ; implicit-def: $vgpr15
; %bb.1285:                             ;   in Loop: Header=BB8_907 Depth=2
	s_andn2_saveexec_b64 s[34:35], s[30:31]
; %bb.1286:                             ;   in Loop: Header=BB8_907 Depth=2
	v_or_b32_e32 v14, 0x10000, v15
	v_cmp_eq_u32_sdwa s[30:31], v15, v42 src0_sel:WORD_0 src1_sel:DWORD
	v_cndmask_b32_e64 v14, v14, v15, s[30:31]
; %bb.1287:                             ;   in Loop: Header=BB8_907 Depth=2
	s_or_b64 exec, exec, s[34:35]
	v_lshlrev_b32_e32 v15, 16, v12
	v_lshlrev_b32_e32 v17, 16, v13
	v_max_f32_e32 v17, v17, v17
	v_max_f32_e32 v15, v15, v15
	v_min_f32_e32 v22, v15, v17
	v_max_f32_e32 v15, v15, v17
	v_cndmask_b32_e32 v17, v15, v22, vcc
	v_and_b32_e32 v15, 0x7f800000, v17
	v_cmp_ne_u32_e64 s[30:31], s91, v15
                                        ; implicit-def: $vgpr15
	s_and_saveexec_b64 s[34:35], s[30:31]
	s_xor_b64 s[30:31], exec, s[34:35]
; %bb.1288:                             ;   in Loop: Header=BB8_907 Depth=2
	v_bfe_u32 v15, v17, 16, 1
	v_add3_u32 v15, v17, v15, s92
                                        ; implicit-def: $vgpr17
; %bb.1289:                             ;   in Loop: Header=BB8_907 Depth=2
	s_andn2_saveexec_b64 s[34:35], s[30:31]
; %bb.1290:                             ;   in Loop: Header=BB8_907 Depth=2
	v_or_b32_e32 v15, 0x10000, v17
	v_cmp_eq_u32_sdwa s[30:31], v17, v42 src0_sel:WORD_0 src1_sel:DWORD
	v_cndmask_b32_e64 v15, v15, v17, s[30:31]
; %bb.1291:                             ;   in Loop: Header=BB8_907 Depth=2
	s_or_b64 exec, exec, s[34:35]
	v_and_b32_e32 v12, 0xffff0000, v12
	v_and_b32_e32 v13, 0xffff0000, v13
	v_max_f32_e32 v13, v13, v13
	v_max_f32_e32 v12, v12, v12
	v_min_f32_e32 v17, v12, v13
	v_max_f32_e32 v12, v12, v13
	v_cndmask_b32_e32 v13, v12, v17, vcc
	v_and_b32_e32 v12, 0x7f800000, v13
	v_cmp_ne_u32_e64 s[30:31], s91, v12
                                        ; implicit-def: $vgpr12
	s_and_saveexec_b64 s[34:35], s[30:31]
	s_xor_b64 s[30:31], exec, s[34:35]
; %bb.1292:                             ;   in Loop: Header=BB8_907 Depth=2
	v_bfe_u32 v12, v13, 16, 1
	v_add3_u32 v12, v13, v12, s92
                                        ; implicit-def: $vgpr13
; %bb.1293:                             ;   in Loop: Header=BB8_907 Depth=2
	s_andn2_saveexec_b64 s[34:35], s[30:31]
; %bb.1294:                             ;   in Loop: Header=BB8_907 Depth=2
	v_or_b32_e32 v12, 0x10000, v13
	v_cmp_eq_u32_sdwa s[30:31], v13, v42 src0_sel:WORD_0 src1_sel:DWORD
	v_cndmask_b32_e64 v12, v12, v13, s[30:31]
; %bb.1295:                             ;   in Loop: Header=BB8_907 Depth=2
	s_or_b64 exec, exec, s[34:35]
	v_lshlrev_b32_e32 v13, 16, v5
	v_lshlrev_b32_e32 v17, 16, v8
	v_max_f32_e32 v17, v17, v17
	v_max_f32_e32 v13, v13, v13
	v_min_f32_e32 v22, v13, v17
	v_max_f32_e32 v13, v13, v17
	v_cndmask_b32_e32 v17, v13, v22, vcc
	v_and_b32_e32 v13, 0x7f800000, v17
	v_cmp_ne_u32_e64 s[30:31], s91, v13
                                        ; implicit-def: $vgpr13
	s_and_saveexec_b64 s[34:35], s[30:31]
	s_xor_b64 s[30:31], exec, s[34:35]
; %bb.1296:                             ;   in Loop: Header=BB8_907 Depth=2
	v_bfe_u32 v13, v17, 16, 1
	v_add3_u32 v13, v17, v13, s92
                                        ; implicit-def: $vgpr17
; %bb.1297:                             ;   in Loop: Header=BB8_907 Depth=2
	s_andn2_saveexec_b64 s[34:35], s[30:31]
; %bb.1298:                             ;   in Loop: Header=BB8_907 Depth=2
	v_or_b32_e32 v13, 0x10000, v17
	v_cmp_eq_u32_sdwa s[30:31], v17, v42 src0_sel:WORD_0 src1_sel:DWORD
	v_cndmask_b32_e64 v13, v13, v17, s[30:31]
; %bb.1299:                             ;   in Loop: Header=BB8_907 Depth=2
	s_or_b64 exec, exec, s[34:35]
	v_and_b32_e32 v5, 0xffff0000, v5
	v_and_b32_e32 v8, 0xffff0000, v8
	v_max_f32_e32 v8, v8, v8
	v_max_f32_e32 v5, v5, v5
	v_min_f32_e32 v17, v5, v8
	v_max_f32_e32 v5, v5, v8
	v_cndmask_b32_e32 v8, v5, v17, vcc
	v_and_b32_e32 v5, 0x7f800000, v8
	v_cmp_ne_u32_e32 vcc, s91, v5
                                        ; implicit-def: $vgpr5
	s_and_saveexec_b64 s[30:31], vcc
	s_xor_b64 vcc, exec, s[30:31]
; %bb.1300:                             ;   in Loop: Header=BB8_907 Depth=2
	v_bfe_u32 v5, v8, 16, 1
	v_add3_u32 v5, v8, v5, s92
                                        ; implicit-def: $vgpr8
; %bb.1301:                             ;   in Loop: Header=BB8_907 Depth=2
	s_andn2_saveexec_b64 s[30:31], vcc
; %bb.1302:                             ;   in Loop: Header=BB8_907 Depth=2
	v_or_b32_e32 v5, 0x10000, v8
	v_cmp_eq_u32_sdwa vcc, v8, v42 src0_sel:WORD_0 src1_sel:DWORD
	v_cndmask_b32_e32 v5, v5, v8, vcc
; %bb.1303:                             ;   in Loop: Header=BB8_907 Depth=2
	s_or_b64 exec, exec, s[30:31]
	v_lshrrev_b32_e32 v1, 16, v1
	v_and_or_b32 v10, v10, s93, v1
	v_lshrrev_b32_e32 v1, 16, v15
	v_lshrrev_b32_e32 v8, 16, v11
	v_and_or_b32 v12, v12, s93, v1
	v_lshrrev_b32_e32 v1, 16, v13
	v_and_or_b32 v11, v14, s93, v8
	v_and_or_b32 v13, v5, s93, v1
	s_mov_b64 s[64:65], 0
	s_mov_b64 s[62:63], -1
.LBB8_1304:                             ;   Parent Loop BB8_47 Depth=1
                                        ;     Parent Loop BB8_907 Depth=2
                                        ; =>    This Inner Loop Header: Depth=3
	s_cmp_eq_u32 s64, 1
	s_cselect_b64 s[30:31], -1, 0
	v_cndmask_b32_e64 v14, v0, v2, s[30:31]
	v_cndmask_b32_e64 v15, v3, v9, s[30:31]
	v_add_co_u32_e32 v1, vcc, 0x400, v14
	s_cmp_eq_u32 s64, 0
	v_addc_co_u32_e32 v5, vcc, 0, v15, vcc
	s_cselect_b64 vcc, -1, 0
	s_and_b64 s[34:35], exec, s[62:63]
	s_mov_b64 s[64:65], 1
	v_cndmask_b32_e64 v2, v2, v1, s[30:31]
	s_mov_b64 s[62:63], 0
	v_cndmask_b32_e64 v9, v9, v5, s[30:31]
	v_cndmask_b32_e32 v3, v3, v5, vcc
	v_cndmask_b32_e32 v0, v0, v1, vcc
	s_mov_b64 vcc, s[34:35]
	global_store_dwordx4 v[14:15], v[10:13], off glc slc
	s_cbranch_vccnz .LBB8_1304
.LBB8_1305:                             ;   in Loop: Header=BB8_907 Depth=2
	s_or_b64 exec, exec, s[36:37]
	v_and_b32_e32 v0, 14, v38
	v_cndmask_b32_e64 v17, v20, v0, s[28:29]
	v_cmp_ne_u32_e32 vcc, 0, v17
	s_mov_b64 s[30:31], s[58:59]
                                        ; implicit-def: $vgpr22
                                        ; implicit-def: $vgpr23
                                        ; implicit-def: $vgpr1
	s_and_saveexec_b64 s[34:35], vcc
	s_cbranch_execz .LBB8_1307
; %bb.1306:                             ;   in Loop: Header=BB8_907 Depth=2
	v_sub_u32_e32 v0, v20, v0
	v_cndmask_b32_e64 v0, 0, v0, s[28:29]
	v_add3_u32 v22, v19, v16, v0
	v_cmp_lt_i32_e32 vcc, 0, v21
	v_accvgpr_read_b32 v0, a20
	v_cndmask_b32_e32 v0, 0, v0, vcc
	v_sub_u32_e32 v0, v0, v21
	v_lshl_add_u32 v0, v0, 6, v18
	v_ashrrev_i32_e32 v1, 31, v0
	v_lshrrev_b32_e32 v1, 26, v1
	v_add_u32_e32 v2, v0, v1
	v_ashrrev_i32_e32 v1, 6, v2
	v_and_b32_e32 v2, 0xffffffc0, v2
	v_sub_u32_e32 v23, v0, v2
	s_or_b64 s[30:31], s[58:59], exec
.LBB8_1307:                             ;   in Loop: Header=BB8_907 Depth=2
	s_or_b64 exec, exec, s[34:35]
	s_andn2_b64 s[28:29], s[58:59], exec
	s_and_b64 vcc, s[30:31], exec
	s_or_b64 s[58:59], s[28:29], vcc
.LBB8_1308:                             ;   in Loop: Header=BB8_907 Depth=2
	s_or_b64 exec, exec, s[60:61]
	s_and_saveexec_b64 s[36:37], s[58:59]
	s_cbranch_execz .LBB8_1403
.LBB8_1309:                             ;   in Loop: Header=BB8_907 Depth=2
	v_lshlrev_b32_e32 v0, 9, v1
	v_lshlrev_b32_e32 v2, 1, v23
	v_add3_u32 v14, v22, v2, v0
	v_ashrrev_i32_e32 v0, 31, v17
	v_lshrrev_b32_e32 v0, 23, v0
	v_add_u32_e32 v0, v17, v0
	s_trap 2
	ds_read_b128 v[8:11], v0
	v_ashrrev_i32_e32 v15, 31, v14
	v_ashrrev_i32_e32 v18, 9, v0
	v_sub_u32_e32 v16, v18, v1
	s_mov_b64 s[28:29], 0
	s_waitcnt lgkmcnt(0)
	v_add_co_u32_e32 v2, vcc, v8, v14
	v_addc_co_u32_e32 v3, vcc, v9, v15, vcc
	v_add_co_u32_e32 v12, vcc, v10, v14
	v_addc_co_u32_e32 v13, vcc, v11, v15, vcc
	v_cmp_lt_i32_e32 vcc, 0, v16
	v_mov_b32_e32 v5, 0
	v_mov_b32_e32 v27, 0
	;; [unrolled: 1-line block ×8, first 2 shown]
	s_and_saveexec_b64 s[30:31], vcc
	s_cbranch_execz .LBB8_1351
; %bb.1310:                             ;   in Loop: Header=BB8_907 Depth=2
	s_trap 2
	ds_read_b128 v[24:27], v0
	v_accvgpr_read_b32 v5, a59
	v_cmp_eq_u16_sdwa s[28:29], v5, v42 src0_sel:BYTE_0 src1_sel:DWORD
	s_mov_b64 s[60:61], 0
	s_mov_b64 s[58:59], 0
	s_waitcnt lgkmcnt(0)
	v_add_co_u32_e32 v0, vcc, v24, v14
	v_addc_co_u32_e32 v1, vcc, v25, v15, vcc
	v_add_co_u32_e32 v14, vcc, v26, v14
	v_addc_co_u32_e32 v15, vcc, v27, v15, vcc
                                        ; implicit-def: $sgpr34_sgpr35
                                        ; implicit-def: $vgpr32
                                        ; implicit-def: $vgpr27
                                        ; implicit-def: $vgpr26
                                        ; implicit-def: $vgpr25
                                        ; implicit-def: $vgpr19
                                        ; implicit-def: $vgpr20
                                        ; implicit-def: $vgpr21
                                        ; implicit-def: $vgpr24
	s_branch .LBB8_1312
.LBB8_1311:                             ;   in Loop: Header=BB8_1312 Depth=3
	s_or_b64 exec, exec, s[62:63]
	v_cmp_gt_i32_e32 vcc, 1, v16
	s_or_b64 s[58:59], vcc, s[58:59]
	s_andn2_b64 vcc, s[34:35], exec
	s_and_b64 s[34:35], s[60:61], exec
	s_or_b64 s[34:35], vcc, s[34:35]
	s_andn2_b64 exec, exec, s[58:59]
	s_cbranch_execz .LBB8_1350
.LBB8_1312:                             ;   Parent Loop BB8_47 Depth=1
                                        ;     Parent Loop BB8_907 Depth=2
                                        ; =>    This Inner Loop Header: Depth=3
	flat_load_ushort v29, v[0:1] glc slc
	flat_load_ushort v34, v[0:1] offset:128 glc slc
	flat_load_ushort v5, v[0:1] offset:256 glc slc
	;; [unrolled: 1-line block ×3, first 2 shown]
	flat_load_ushort v36, v[14:15] glc slc
	flat_load_ushort v35, v[14:15] offset:128 glc slc
	flat_load_ushort v33, v[14:15] offset:256 glc slc
	;; [unrolled: 1-line block ×3, first 2 shown]
	s_and_saveexec_b64 s[62:63], s[60:61]
	s_cbranch_execz .LBB8_1330
; %bb.1313:                             ;   in Loop: Header=BB8_1312 Depth=3
	v_lshlrev_b32_e32 v28, 16, v32
	v_lshlrev_b32_e32 v32, 16, v19
	v_max_f32_e32 v32, v32, v32
	v_max_f32_e32 v28, v28, v28
	v_min_f32_e32 v37, v28, v32
	v_max_f32_e32 v28, v28, v32
	v_cndmask_b32_e64 v37, v28, v37, s[28:29]
	v_and_b32_e32 v28, 0x7f800000, v37
	v_cmp_ne_u32_e32 vcc, s91, v28
                                        ; implicit-def: $vgpr32
	s_and_saveexec_b64 s[60:61], vcc
	s_xor_b64 vcc, exec, s[60:61]
; %bb.1314:                             ;   in Loop: Header=BB8_1312 Depth=3
	v_bfe_u32 v28, v37, 16, 1
	v_add3_u32 v32, v37, v28, s92
                                        ; implicit-def: $vgpr37
; %bb.1315:                             ;   in Loop: Header=BB8_1312 Depth=3
	s_andn2_saveexec_b64 s[60:61], vcc
; %bb.1316:                             ;   in Loop: Header=BB8_1312 Depth=3
	v_or_b32_e32 v28, 0x10000, v37
	v_cmp_eq_u32_sdwa vcc, v37, v42 src0_sel:WORD_0 src1_sel:DWORD
	v_cndmask_b32_e32 v32, v28, v37, vcc
; %bb.1317:                             ;   in Loop: Header=BB8_1312 Depth=3
	s_or_b64 exec, exec, s[60:61]
	v_lshlrev_b32_e32 v27, 16, v27
	v_lshlrev_b32_e32 v28, 16, v20
	v_max_f32_e32 v28, v28, v28
	v_max_f32_e32 v27, v27, v27
	v_min_f32_e32 v37, v27, v28
	v_max_f32_e32 v27, v27, v28
	v_cndmask_b32_e64 v37, v27, v37, s[28:29]
	v_and_b32_e32 v27, 0x7f800000, v37
	v_cmp_ne_u32_e32 vcc, s91, v27
                                        ; implicit-def: $vgpr27
	s_and_saveexec_b64 s[60:61], vcc
	s_xor_b64 vcc, exec, s[60:61]
; %bb.1318:                             ;   in Loop: Header=BB8_1312 Depth=3
	v_bfe_u32 v27, v37, 16, 1
	v_add3_u32 v27, v37, v27, s92
                                        ; implicit-def: $vgpr37
; %bb.1319:                             ;   in Loop: Header=BB8_1312 Depth=3
	s_andn2_saveexec_b64 s[60:61], vcc
; %bb.1320:                             ;   in Loop: Header=BB8_1312 Depth=3
	v_or_b32_e32 v27, 0x10000, v37
	v_cmp_eq_u32_sdwa vcc, v37, v42 src0_sel:WORD_0 src1_sel:DWORD
	v_cndmask_b32_e32 v27, v27, v37, vcc
; %bb.1321:                             ;   in Loop: Header=BB8_1312 Depth=3
	s_or_b64 exec, exec, s[60:61]
	v_lshlrev_b32_e32 v26, 16, v26
	v_lshlrev_b32_e32 v28, 16, v21
	v_max_f32_e32 v28, v28, v28
	v_max_f32_e32 v26, v26, v26
	v_min_f32_e32 v37, v26, v28
	v_max_f32_e32 v26, v26, v28
	v_cndmask_b32_e64 v37, v26, v37, s[28:29]
	v_and_b32_e32 v26, 0x7f800000, v37
	v_cmp_ne_u32_e32 vcc, s91, v26
                                        ; implicit-def: $vgpr26
	s_and_saveexec_b64 s[60:61], vcc
	s_xor_b64 vcc, exec, s[60:61]
; %bb.1322:                             ;   in Loop: Header=BB8_1312 Depth=3
	v_bfe_u32 v26, v37, 16, 1
	v_add3_u32 v26, v37, v26, s92
                                        ; implicit-def: $vgpr37
; %bb.1323:                             ;   in Loop: Header=BB8_1312 Depth=3
	s_andn2_saveexec_b64 s[60:61], vcc
; %bb.1324:                             ;   in Loop: Header=BB8_1312 Depth=3
	v_or_b32_e32 v26, 0x10000, v37
	v_cmp_eq_u32_sdwa vcc, v37, v42 src0_sel:WORD_0 src1_sel:DWORD
	v_cndmask_b32_e32 v26, v26, v37, vcc
; %bb.1325:                             ;   in Loop: Header=BB8_1312 Depth=3
	s_or_b64 exec, exec, s[60:61]
	v_lshlrev_b32_e32 v25, 16, v25
	v_lshlrev_b32_e32 v28, 16, v24
	v_max_f32_e32 v28, v28, v28
	v_max_f32_e32 v25, v25, v25
	v_min_f32_e32 v37, v25, v28
	v_max_f32_e32 v25, v25, v28
	v_cndmask_b32_e64 v37, v25, v37, s[28:29]
	v_and_b32_e32 v25, 0x7f800000, v37
	v_cmp_ne_u32_e32 vcc, s91, v25
                                        ; implicit-def: $vgpr25
	s_and_saveexec_b64 s[60:61], vcc
	s_xor_b64 vcc, exec, s[60:61]
; %bb.1326:                             ;   in Loop: Header=BB8_1312 Depth=3
	v_bfe_u32 v25, v37, 16, 1
	v_add3_u32 v25, v37, v25, s92
                                        ; implicit-def: $vgpr37
; %bb.1327:                             ;   in Loop: Header=BB8_1312 Depth=3
	s_andn2_saveexec_b64 s[60:61], vcc
; %bb.1328:                             ;   in Loop: Header=BB8_1312 Depth=3
	v_or_b32_e32 v25, 0x10000, v37
	v_cmp_eq_u32_sdwa vcc, v37, v42 src0_sel:WORD_0 src1_sel:DWORD
	v_cndmask_b32_e32 v25, v25, v37, vcc
; %bb.1329:                             ;   in Loop: Header=BB8_1312 Depth=3
	s_or_b64 exec, exec, s[60:61]
	v_lshrrev_b32_e32 v32, 16, v32
	v_accvgpr_read_b32 v28, a46
	v_lshrrev_b32_e32 v26, 16, v26
	v_lshrrev_b32_e32 v27, 16, v27
	;; [unrolled: 1-line block ×3, first 2 shown]
	flat_store_short v[2:3], v32 glc slc
	flat_store_short v[2:3], v27 offset:128 glc slc
	flat_store_short v[2:3], v26 offset:256 glc slc
	;; [unrolled: 1-line block ×3, first 2 shown]
	flat_store_short v[12:13], v32 glc slc
	flat_store_short v[12:13], v27 offset:128 glc slc
	flat_store_short v[12:13], v26 offset:256 glc slc
	;; [unrolled: 1-line block ×3, first 2 shown]
	v_add_co_u32_e32 v2, vcc, v2, v28
	v_accvgpr_read_b32 v37, a47
	v_addc_co_u32_e32 v3, vcc, v3, v37, vcc
	v_add_co_u32_e32 v12, vcc, v12, v28
	v_addc_co_u32_e32 v13, vcc, v13, v37, vcc
.LBB8_1330:                             ;   in Loop: Header=BB8_1312 Depth=3
	s_or_b64 exec, exec, s[62:63]
	v_accvgpr_read_b32 v28, a46
	v_add_co_u32_e32 v0, vcc, v0, v28
	v_accvgpr_read_b32 v37, a47
	v_addc_co_u32_e32 v1, vcc, v1, v37, vcc
	v_add_co_u32_e32 v14, vcc, v14, v28
	v_accvgpr_read_b32 v28, a20
	v_sub_u32_e32 v16, v16, v28
	v_addc_co_u32_e32 v15, vcc, v15, v37, vcc
	v_cmp_lt_i32_e64 s[60:61], 0, v16
	s_and_saveexec_b64 s[62:63], s[60:61]
	s_cbranch_execz .LBB8_1332
; %bb.1331:                             ;   in Loop: Header=BB8_1312 Depth=3
	flat_load_ushort v32, v[0:1] glc slc
	flat_load_ushort v27, v[0:1] offset:128 glc slc
	flat_load_ushort v26, v[0:1] offset:256 glc slc
	;; [unrolled: 1-line block ×3, first 2 shown]
	flat_load_ushort v19, v[14:15] glc slc
	flat_load_ushort v20, v[14:15] offset:128 glc slc
	flat_load_ushort v21, v[14:15] offset:256 glc slc
	;; [unrolled: 1-line block ×3, first 2 shown]
	v_add_co_u32_e32 v0, vcc, 0x200, v0
	v_addc_co_u32_e32 v1, vcc, 0, v1, vcc
	v_add_co_u32_e32 v14, vcc, 0x200, v14
	v_addc_co_u32_e32 v15, vcc, 0, v15, vcc
.LBB8_1332:                             ;   in Loop: Header=BB8_1312 Depth=3
	s_or_b64 exec, exec, s[62:63]
	s_waitcnt vmcnt(0) lgkmcnt(0)
	v_lshlrev_b32_e32 v28, 16, v29
	v_lshlrev_b32_e32 v29, 16, v36
	v_max_f32_e32 v29, v29, v29
	v_max_f32_e32 v28, v28, v28
	v_min_f32_e32 v36, v28, v29
	v_max_f32_e32 v28, v28, v29
	v_cndmask_b32_e64 v36, v28, v36, s[28:29]
	v_and_b32_e32 v28, 0x7f800000, v36
	v_cmp_ne_u32_e32 vcc, s91, v28
                                        ; implicit-def: $vgpr29
	s_and_saveexec_b64 s[62:63], vcc
	s_xor_b64 vcc, exec, s[62:63]
; %bb.1333:                             ;   in Loop: Header=BB8_1312 Depth=3
	v_bfe_u32 v28, v36, 16, 1
	v_add3_u32 v29, v36, v28, s92
                                        ; implicit-def: $vgpr36
; %bb.1334:                             ;   in Loop: Header=BB8_1312 Depth=3
	s_andn2_saveexec_b64 s[62:63], vcc
; %bb.1335:                             ;   in Loop: Header=BB8_1312 Depth=3
	v_or_b32_e32 v28, 0x10000, v36
	v_cmp_eq_u32_sdwa vcc, v36, v42 src0_sel:WORD_0 src1_sel:DWORD
	v_cndmask_b32_e32 v29, v28, v36, vcc
; %bb.1336:                             ;   in Loop: Header=BB8_1312 Depth=3
	s_or_b64 exec, exec, s[62:63]
	v_lshlrev_b32_e32 v28, 16, v34
	v_lshlrev_b32_e32 v34, 16, v35
	v_max_f32_e32 v34, v34, v34
	v_max_f32_e32 v28, v28, v28
	v_min_f32_e32 v35, v28, v34
	v_max_f32_e32 v28, v28, v34
	v_cndmask_b32_e64 v35, v28, v35, s[28:29]
	v_and_b32_e32 v28, 0x7f800000, v35
	v_cmp_ne_u32_e32 vcc, s91, v28
                                        ; implicit-def: $vgpr34
	s_and_saveexec_b64 s[62:63], vcc
	s_xor_b64 vcc, exec, s[62:63]
; %bb.1337:                             ;   in Loop: Header=BB8_1312 Depth=3
	v_bfe_u32 v28, v35, 16, 1
	v_add3_u32 v34, v35, v28, s92
                                        ; implicit-def: $vgpr35
; %bb.1338:                             ;   in Loop: Header=BB8_1312 Depth=3
	s_andn2_saveexec_b64 s[62:63], vcc
; %bb.1339:                             ;   in Loop: Header=BB8_1312 Depth=3
	v_or_b32_e32 v28, 0x10000, v35
	v_cmp_eq_u32_sdwa vcc, v35, v42 src0_sel:WORD_0 src1_sel:DWORD
	v_cndmask_b32_e32 v34, v28, v35, vcc
; %bb.1340:                             ;   in Loop: Header=BB8_1312 Depth=3
	s_or_b64 exec, exec, s[62:63]
	v_lshlrev_b32_e32 v5, 16, v5
	v_lshlrev_b32_e32 v28, 16, v33
	v_max_f32_e32 v28, v28, v28
	v_max_f32_e32 v5, v5, v5
	v_min_f32_e32 v33, v5, v28
	v_max_f32_e32 v5, v5, v28
	v_cndmask_b32_e64 v33, v5, v33, s[28:29]
	v_and_b32_e32 v5, 0x7f800000, v33
	v_cmp_ne_u32_e32 vcc, s91, v5
                                        ; implicit-def: $vgpr5
	s_and_saveexec_b64 s[62:63], vcc
	s_xor_b64 vcc, exec, s[62:63]
; %bb.1341:                             ;   in Loop: Header=BB8_1312 Depth=3
	v_bfe_u32 v5, v33, 16, 1
	v_add3_u32 v5, v33, v5, s92
                                        ; implicit-def: $vgpr33
; %bb.1342:                             ;   in Loop: Header=BB8_1312 Depth=3
	s_andn2_saveexec_b64 s[62:63], vcc
; %bb.1343:                             ;   in Loop: Header=BB8_1312 Depth=3
	v_or_b32_e32 v5, 0x10000, v33
	v_cmp_eq_u32_sdwa vcc, v33, v42 src0_sel:WORD_0 src1_sel:DWORD
	v_cndmask_b32_e32 v5, v5, v33, vcc
; %bb.1344:                             ;   in Loop: Header=BB8_1312 Depth=3
	s_or_b64 exec, exec, s[62:63]
	v_lshlrev_b32_e32 v28, 16, v30
	v_lshlrev_b32_e32 v30, 16, v31
	v_max_f32_e32 v30, v30, v30
	v_max_f32_e32 v28, v28, v28
	v_min_f32_e32 v31, v28, v30
	v_max_f32_e32 v28, v28, v30
	v_cndmask_b32_e64 v31, v28, v31, s[28:29]
	v_and_b32_e32 v28, 0x7f800000, v31
	v_cmp_ne_u32_e32 vcc, s91, v28
                                        ; implicit-def: $vgpr30
	s_and_saveexec_b64 s[62:63], vcc
	s_xor_b64 vcc, exec, s[62:63]
; %bb.1345:                             ;   in Loop: Header=BB8_1312 Depth=3
	v_bfe_u32 v28, v31, 16, 1
	v_add3_u32 v30, v31, v28, s92
                                        ; implicit-def: $vgpr31
; %bb.1346:                             ;   in Loop: Header=BB8_1312 Depth=3
	s_andn2_saveexec_b64 s[62:63], vcc
; %bb.1347:                             ;   in Loop: Header=BB8_1312 Depth=3
	v_or_b32_e32 v28, 0x10000, v31
	v_cmp_eq_u32_sdwa vcc, v31, v42 src0_sel:WORD_0 src1_sel:DWORD
	v_cndmask_b32_e32 v30, v28, v31, vcc
; %bb.1348:                             ;   in Loop: Header=BB8_1312 Depth=3
	s_or_b64 exec, exec, s[62:63]
	v_lshrrev_b32_e32 v29, 16, v29
	v_lshrrev_b32_e32 v5, 16, v5
	;; [unrolled: 1-line block ×4, first 2 shown]
	flat_store_short v[2:3], v29 glc slc
	flat_store_short v[2:3], v28 offset:128 glc slc
	flat_store_short v[2:3], v5 offset:256 glc slc
	;; [unrolled: 1-line block ×3, first 2 shown]
	v_add_co_u32_e32 v2, vcc, 0x200, v2
	v_addc_co_u32_e32 v3, vcc, 0, v3, vcc
	flat_store_short v[12:13], v29 glc slc
	flat_store_short v[12:13], v28 offset:128 glc slc
	flat_store_short v[12:13], v5 offset:256 glc slc
	;; [unrolled: 1-line block ×3, first 2 shown]
	v_add_co_u32_e32 v12, vcc, 0x200, v12
	v_addc_co_u32_e32 v13, vcc, 0, v13, vcc
	s_and_saveexec_b64 s[62:63], s[60:61]
	s_cbranch_execz .LBB8_1311
; %bb.1349:                             ;   in Loop: Header=BB8_1312 Depth=3
	v_accvgpr_read_b32 v28, a44
	v_add_co_u32_e32 v2, vcc, v2, v28
	v_accvgpr_read_b32 v5, a45
	v_addc_co_u32_e32 v3, vcc, v3, v5, vcc
	v_add_co_u32_e32 v12, vcc, v12, v28
	v_addc_co_u32_e32 v13, vcc, v13, v5, vcc
	v_add_co_u32_e32 v0, vcc, v0, v28
	;; [unrolled: 2-line block ×3, first 2 shown]
	v_accvgpr_read_b32 v28, a20
	v_addc_co_u32_e32 v15, vcc, v15, v5, vcc
	v_sub_u32_e32 v16, v16, v28
	s_branch .LBB8_1311
.LBB8_1350:                             ;   in Loop: Header=BB8_907 Depth=2
	s_or_b64 exec, exec, s[58:59]
	v_lshlrev_b32_e32 v5, 16, v32
	v_lshlrev_b32_e32 v30, 16, v19
	;; [unrolled: 1-line block ×8, first 2 shown]
	s_and_b64 s[28:29], s[34:35], exec
.LBB8_1351:                             ;   in Loop: Header=BB8_907 Depth=2
	s_or_b64 exec, exec, s[30:31]
	s_and_saveexec_b64 s[30:31], s[28:29]
	s_cbranch_execz .LBB8_1369
; %bb.1352:                             ;   in Loop: Header=BB8_907 Depth=2
	v_max_f32_e32 v14, v30, v30
	v_max_f32_e32 v5, v5, v5
	v_min_f32_e32 v15, v5, v14
	v_max_f32_e32 v5, v5, v14
	v_accvgpr_read_b32 v14, a59
	v_cmp_eq_u16_sdwa vcc, v14, v42 src0_sel:BYTE_0 src1_sel:DWORD
	v_cndmask_b32_e32 v14, v5, v15, vcc
	v_and_b32_e32 v5, 0x7f800000, v14
	v_cmp_ne_u32_e64 s[28:29], s91, v5
                                        ; implicit-def: $vgpr5
	s_and_saveexec_b64 s[34:35], s[28:29]
	s_xor_b64 s[28:29], exec, s[34:35]
; %bb.1353:                             ;   in Loop: Header=BB8_907 Depth=2
	v_bfe_u32 v5, v14, 16, 1
	v_add3_u32 v5, v14, v5, s92
                                        ; implicit-def: $vgpr14
; %bb.1354:                             ;   in Loop: Header=BB8_907 Depth=2
	s_andn2_saveexec_b64 s[34:35], s[28:29]
; %bb.1355:                             ;   in Loop: Header=BB8_907 Depth=2
	v_or_b32_e32 v5, 0x10000, v14
	v_cmp_eq_u32_sdwa s[28:29], v14, v42 src0_sel:WORD_0 src1_sel:DWORD
	v_cndmask_b32_e64 v5, v5, v14, s[28:29]
; %bb.1356:                             ;   in Loop: Header=BB8_907 Depth=2
	s_or_b64 exec, exec, s[34:35]
	v_max_f32_e32 v14, v29, v29
	v_max_f32_e32 v15, v27, v27
	v_min_f32_e32 v21, v15, v14
	v_max_f32_e32 v14, v15, v14
	v_cndmask_b32_e32 v15, v14, v21, vcc
	v_and_b32_e32 v14, 0x7f800000, v15
	v_cmp_ne_u32_e64 s[28:29], s91, v14
                                        ; implicit-def: $vgpr14
	s_and_saveexec_b64 s[34:35], s[28:29]
	s_xor_b64 s[28:29], exec, s[34:35]
; %bb.1357:                             ;   in Loop: Header=BB8_907 Depth=2
	v_bfe_u32 v14, v15, 16, 1
	v_add3_u32 v14, v15, v14, s92
                                        ; implicit-def: $vgpr15
; %bb.1358:                             ;   in Loop: Header=BB8_907 Depth=2
	s_andn2_saveexec_b64 s[34:35], s[28:29]
; %bb.1359:                             ;   in Loop: Header=BB8_907 Depth=2
	v_or_b32_e32 v14, 0x10000, v15
	v_cmp_eq_u32_sdwa s[28:29], v15, v42 src0_sel:WORD_0 src1_sel:DWORD
	v_cndmask_b32_e64 v14, v14, v15, s[28:29]
; %bb.1360:                             ;   in Loop: Header=BB8_907 Depth=2
	s_or_b64 exec, exec, s[34:35]
	v_max_f32_e32 v15, v20, v20
	v_max_f32_e32 v19, v19, v19
	v_min_f32_e32 v20, v19, v15
	v_max_f32_e32 v15, v19, v15
	v_cndmask_b32_e32 v19, v15, v20, vcc
	v_and_b32_e32 v15, 0x7f800000, v19
	v_cmp_ne_u32_e64 s[28:29], s91, v15
                                        ; implicit-def: $vgpr15
	s_and_saveexec_b64 s[34:35], s[28:29]
	s_xor_b64 s[28:29], exec, s[34:35]
; %bb.1361:                             ;   in Loop: Header=BB8_907 Depth=2
	v_bfe_u32 v15, v19, 16, 1
	v_add3_u32 v15, v19, v15, s92
                                        ; implicit-def: $vgpr19
; %bb.1362:                             ;   in Loop: Header=BB8_907 Depth=2
	s_andn2_saveexec_b64 s[34:35], s[28:29]
; %bb.1363:                             ;   in Loop: Header=BB8_907 Depth=2
	v_or_b32_e32 v15, 0x10000, v19
	v_cmp_eq_u32_sdwa s[28:29], v19, v42 src0_sel:WORD_0 src1_sel:DWORD
	v_cndmask_b32_e64 v15, v15, v19, s[28:29]
; %bb.1364:                             ;   in Loop: Header=BB8_907 Depth=2
	s_or_b64 exec, exec, s[34:35]
	v_max_f32_e32 v1, v1, v1
	v_max_f32_e32 v0, v0, v0
	v_min_f32_e32 v19, v0, v1
	v_max_f32_e32 v0, v0, v1
	v_cndmask_b32_e32 v1, v0, v19, vcc
	v_and_b32_e32 v0, 0x7f800000, v1
	v_cmp_ne_u32_e32 vcc, s91, v0
                                        ; implicit-def: $vgpr0
	s_and_saveexec_b64 s[28:29], vcc
	s_xor_b64 s[28:29], exec, s[28:29]
; %bb.1365:                             ;   in Loop: Header=BB8_907 Depth=2
	v_bfe_u32 v0, v1, 16, 1
	v_add3_u32 v0, v1, v0, s92
                                        ; implicit-def: $vgpr1
; %bb.1366:                             ;   in Loop: Header=BB8_907 Depth=2
	s_andn2_saveexec_b64 s[28:29], s[28:29]
; %bb.1367:                             ;   in Loop: Header=BB8_907 Depth=2
	v_or_b32_e32 v0, 0x10000, v1
	v_cmp_eq_u32_sdwa vcc, v1, v42 src0_sel:WORD_0 src1_sel:DWORD
	v_cndmask_b32_e32 v0, v0, v1, vcc
; %bb.1368:                             ;   in Loop: Header=BB8_907 Depth=2
	s_or_b64 exec, exec, s[28:29]
	v_lshrrev_b32_e32 v5, 16, v5
	v_lshrrev_b32_e32 v1, 16, v15
	;; [unrolled: 1-line block ×4, first 2 shown]
	flat_store_short v[2:3], v5 glc slc
	flat_store_short v[2:3], v14 offset:128 glc slc
	flat_store_short v[2:3], v1 offset:256 glc slc
	;; [unrolled: 1-line block ×3, first 2 shown]
	flat_store_short v[12:13], v5 glc slc
	flat_store_short v[12:13], v14 offset:128 glc slc
	flat_store_short v[12:13], v1 offset:256 glc slc
	;; [unrolled: 1-line block ×3, first 2 shown]
.LBB8_1369:                             ;   in Loop: Header=BB8_907 Depth=2
	s_or_b64 exec, exec, s[30:31]
	v_lshlrev_b32_e32 v0, 9, v18
	v_cmp_ne_u32_e32 vcc, v17, v0
	s_and_saveexec_b64 s[58:59], vcc
	s_cbranch_execz .LBB8_1402
; %bb.1370:                             ;   in Loop: Header=BB8_907 Depth=2
	v_lshlrev_b32_e32 v1, 6, v16
	v_sub_u32_e32 v1, v23, v1
	v_ashrrev_i32_e32 v2, 31, v1
	v_lshrrev_b32_e32 v2, 26, v2
	v_add_u32_e32 v2, v1, v2
	v_and_b32_e32 v3, 0x7fffffc0, v2
	v_sub_u32_e32 v1, v1, v3
	v_lshlrev_b32_e32 v2, 1, v2
	v_and_b32_e32 v2, 0xffffff80, v2
	v_lshlrev_b32_e32 v1, 1, v1
	v_add3_u32 v0, v2, v1, v0
	v_add_u32_e32 v12, v0, v22
	v_sub_u32_e32 v14, v17, v0
	v_ashrrev_i32_e32 v13, 31, v12
	v_add_co_u32_e32 v0, vcc, v12, v8
	v_addc_co_u32_e32 v3, vcc, v13, v9, vcc
	v_add_co_u32_e32 v2, vcc, v12, v10
	v_addc_co_u32_e32 v9, vcc, v13, v11, vcc
	v_cmp_lt_i32_e32 vcc, 1, v14
	s_mov_b64 s[28:29], 0
	s_and_saveexec_b64 s[60:61], vcc
	s_cbranch_execz .LBB8_1395
; %bb.1371:                             ;   in Loop: Header=BB8_907 Depth=2
	s_trap 2
	ds_read_b128 v[16:19], v0
	v_accvgpr_read_b32 v5, a59
	v_cmp_eq_u16_sdwa s[28:29], v5, v42 src0_sel:BYTE_0 src1_sel:DWORD
	s_mov_b64 s[66:67], 0
	s_mov_b64 s[62:63], 0
	s_waitcnt lgkmcnt(0)
	v_add_co_u32_e32 v8, vcc, v16, v12
	v_addc_co_u32_e32 v1, vcc, v17, v13, vcc
	v_add_co_u32_e32 v10, vcc, v18, v12
	v_addc_co_u32_e32 v11, vcc, v19, v13, vcc
                                        ; implicit-def: $sgpr64_sgpr65
	s_branch .LBB8_1373
.LBB8_1372:                             ;   in Loop: Header=BB8_1373 Depth=3
	s_or_b64 exec, exec, s[30:31]
	v_cmp_gt_i32_e32 vcc, 2, v14
	s_or_b64 s[62:63], vcc, s[62:63]
	s_andn2_b64 vcc, s[64:65], exec
	s_and_b64 s[30:31], s[66:67], exec
	s_or_b64 s[64:65], vcc, s[30:31]
	s_andn2_b64 exec, exec, s[62:63]
	s_cbranch_execz .LBB8_1394
.LBB8_1373:                             ;   Parent Loop BB8_47 Depth=1
                                        ;     Parent Loop BB8_907 Depth=2
                                        ; =>    This Loop Header: Depth=3
                                        ;         Child Loop BB8_1374 Depth 4
                                        ;         Child Loop BB8_1381 Depth 4
	;; [unrolled: 1-line block ×4, first 2 shown]
	v_lshrrev_b32_e64 v5, 6, s33
	v_add_u32_e32 v5, 0xc0, v5
	s_mov_b64 s[68:69], -1
	s_mov_b64 s[70:71], 0
.LBB8_1374:                             ;   Parent Loop BB8_47 Depth=1
                                        ;     Parent Loop BB8_907 Depth=2
                                        ;       Parent Loop BB8_1373 Depth=3
                                        ; =>      This Inner Loop Header: Depth=4
	s_cmp_eq_u32 s70, 1
	s_cselect_b64 s[30:31], -1, 0
	v_cndmask_b32_e64 v13, v1, v11, s[30:31]
	v_cndmask_b32_e64 v12, v8, v10, s[30:31]
	flat_load_ushort v15, v[12:13] glc slc
	v_add_co_u32_e32 v12, vcc, 0x80, v12
	s_cmp_eq_u32 s70, 0
	v_addc_co_u32_e32 v13, vcc, 0, v13, vcc
	s_cselect_b64 vcc, -1, 0
	s_and_b64 s[34:35], exec, s[68:69]
	s_mov_b64 s[70:71], 1
	v_cndmask_b32_e64 v10, v10, v12, s[30:31]
	s_mov_b64 s[68:69], 0
	v_cndmask_b32_e32 v1, v1, v13, vcc
	v_cndmask_b32_e32 v8, v8, v12, vcc
	v_cndmask_b32_e64 v11, v11, v13, s[30:31]
	s_mov_b64 vcc, s[34:35]
	s_waitcnt vmcnt(0) lgkmcnt(0)
	buffer_store_short v15, v5, s[0:3], 0 offen
	v_lshrrev_b32_e64 v5, 6, s33
	v_add_u32_e32 v5, 0xe0, v5
	s_cbranch_vccnz .LBB8_1374
; %bb.1375:                             ;   in Loop: Header=BB8_1373 Depth=3
	s_and_saveexec_b64 s[68:69], s[66:67]
	s_cbranch_execz .LBB8_1383
; %bb.1376:                             ;   in Loop: Header=BB8_1373 Depth=3
	buffer_load_ushort v5, off, s[0:3], s33 offset:188
	buffer_load_ushort v12, off, s[0:3], s33 offset:190
	s_waitcnt vmcnt(1)
	v_lshlrev_b32_e32 v5, 16, v5
	s_waitcnt vmcnt(0)
	v_lshlrev_b32_e32 v12, 16, v12
	v_max_f32_e32 v12, v12, v12
	v_max_f32_e32 v5, v5, v5
	v_min_f32_e32 v13, v5, v12
	v_max_f32_e32 v5, v5, v12
	v_cndmask_b32_e64 v5, v5, v13, s[28:29]
	v_and_b32_e32 v12, 0x7f800000, v5
	v_cmp_ne_u32_e32 vcc, s91, v12
                                        ; implicit-def: $vgpr12
	s_and_saveexec_b64 s[30:31], vcc
	s_xor_b64 vcc, exec, s[30:31]
; %bb.1377:                             ;   in Loop: Header=BB8_1373 Depth=3
	v_bfe_u32 v12, v5, 16, 1
	v_add3_u32 v12, v5, v12, s92
                                        ; implicit-def: $vgpr5
; %bb.1378:                             ;   in Loop: Header=BB8_1373 Depth=3
	s_andn2_saveexec_b64 s[30:31], vcc
; %bb.1379:                             ;   in Loop: Header=BB8_1373 Depth=3
	v_or_b32_e32 v12, 0x10000, v5
	v_cmp_eq_u32_sdwa vcc, v5, v42 src0_sel:WORD_0 src1_sel:DWORD
	v_cndmask_b32_e32 v12, v12, v5, vcc
; %bb.1380:                             ;   in Loop: Header=BB8_1373 Depth=3
	s_or_b64 exec, exec, s[30:31]
	v_lshrrev_b32_e32 v5, 16, v12
	s_mov_b64 s[70:71], 0
	s_mov_b64 s[66:67], -1
	buffer_store_short v5, off, s[0:3], s33 offset:188
.LBB8_1381:                             ;   Parent Loop BB8_47 Depth=1
                                        ;     Parent Loop BB8_907 Depth=2
                                        ;       Parent Loop BB8_1373 Depth=3
                                        ; =>      This Inner Loop Header: Depth=4
	s_cmp_eq_u32 s70, 1
	s_cselect_b64 s[30:31], -1, 0
	v_cndmask_b32_e64 v13, v3, v9, s[30:31]
	v_cndmask_b32_e64 v12, v0, v2, s[30:31]
	flat_store_short v[12:13], v5 glc slc
	v_add_co_u32_e32 v12, vcc, 0x80, v12
	s_cmp_eq_u32 s70, 0
	v_addc_co_u32_e32 v13, vcc, 0, v13, vcc
	s_cselect_b64 vcc, -1, 0
	s_and_b64 s[34:35], exec, s[66:67]
	s_mov_b64 s[70:71], 1
	v_cndmask_b32_e64 v2, v2, v12, s[30:31]
	s_mov_b64 s[66:67], 0
	v_cndmask_b32_e64 v9, v9, v13, s[30:31]
	v_cndmask_b32_e32 v3, v3, v13, vcc
	v_cndmask_b32_e32 v0, v0, v12, vcc
	s_mov_b64 vcc, s[34:35]
	s_cbranch_vccnz .LBB8_1381
; %bb.1382:                             ;   in Loop: Header=BB8_1373 Depth=3
	v_accvgpr_read_b32 v12, a34
	v_accvgpr_read_b32 v13, a35
	v_add_co_u32_e32 v0, vcc, v0, v12
	v_addc_co_u32_e32 v3, vcc, v3, v13, vcc
	v_add_co_u32_e32 v2, vcc, v2, v12
	v_addc_co_u32_e32 v9, vcc, v9, v13, vcc
.LBB8_1383:                             ;   in Loop: Header=BB8_1373 Depth=3
	s_or_b64 exec, exec, s[68:69]
	v_accvgpr_read_b32 v12, a34
	v_accvgpr_read_b32 v13, a35
	v_add_co_u32_e32 v8, vcc, v8, v12
	v_addc_co_u32_e32 v1, vcc, v1, v13, vcc
	v_accvgpr_read_b32 v5, a31
	v_add_co_u32_e32 v10, vcc, v10, v12
	v_sub_u32_e32 v14, v14, v5
	v_addc_co_u32_e32 v11, vcc, v11, v13, vcc
	v_cmp_lt_i32_e64 s[66:67], 1, v14
	s_and_saveexec_b64 s[68:69], s[66:67]
	s_cbranch_execz .LBB8_1386
; %bb.1384:                             ;   in Loop: Header=BB8_1373 Depth=3
	v_lshrrev_b32_e64 v5, 6, s33
	v_add_u32_e32 v5, 0xbc, v5
	s_mov_b64 s[72:73], 0
	s_mov_b64 s[70:71], -1
.LBB8_1385:                             ;   Parent Loop BB8_47 Depth=1
                                        ;     Parent Loop BB8_907 Depth=2
                                        ;       Parent Loop BB8_1373 Depth=3
                                        ; =>      This Inner Loop Header: Depth=4
	s_cmp_eq_u32 s72, 1
	s_cselect_b64 s[30:31], -1, 0
	v_cndmask_b32_e64 v13, v1, v11, s[30:31]
	v_cndmask_b32_e64 v12, v8, v10, s[30:31]
	flat_load_ushort v15, v[12:13] glc slc
	v_add_co_u32_e32 v12, vcc, 0x80, v12
	s_cmp_eq_u32 s72, 0
	v_addc_co_u32_e32 v13, vcc, 0, v13, vcc
	s_cselect_b64 vcc, -1, 0
	s_and_b64 s[34:35], exec, s[70:71]
	s_mov_b64 s[72:73], 1
	v_cndmask_b32_e64 v10, v10, v12, s[30:31]
	s_mov_b64 s[70:71], 0
	v_cndmask_b32_e32 v1, v1, v13, vcc
	v_cndmask_b32_e32 v8, v8, v12, vcc
	v_cndmask_b32_e64 v11, v11, v13, s[30:31]
	s_mov_b64 vcc, s[34:35]
	s_waitcnt vmcnt(0) lgkmcnt(0)
	buffer_store_short v15, v5, s[0:3], 0 offen
	v_lshrrev_b32_e64 v5, 6, s33
	v_add_u32_e32 v5, 0xbe, v5
	s_cbranch_vccnz .LBB8_1385
.LBB8_1386:                             ;   in Loop: Header=BB8_1373 Depth=3
	s_or_b64 exec, exec, s[68:69]
	buffer_load_ushort v5, off, s[0:3], s33 offset:192
	buffer_load_ushort v12, off, s[0:3], s33 offset:224
	s_waitcnt vmcnt(0)
	v_lshlrev_b32_e32 v5, 16, v5
	v_lshlrev_b32_e32 v12, 16, v12
	v_max_f32_e32 v12, v12, v12
	v_max_f32_e32 v5, v5, v5
	v_min_f32_e32 v13, v5, v12
	v_max_f32_e32 v5, v5, v12
	v_cndmask_b32_e64 v5, v5, v13, s[28:29]
	v_and_b32_e32 v12, 0x7f800000, v5
	v_cmp_ne_u32_e32 vcc, s91, v12
                                        ; implicit-def: $vgpr12
	s_and_saveexec_b64 s[30:31], vcc
	s_xor_b64 vcc, exec, s[30:31]
; %bb.1387:                             ;   in Loop: Header=BB8_1373 Depth=3
	v_bfe_u32 v12, v5, 16, 1
	v_add3_u32 v12, v5, v12, s92
                                        ; implicit-def: $vgpr5
; %bb.1388:                             ;   in Loop: Header=BB8_1373 Depth=3
	s_andn2_saveexec_b64 s[30:31], vcc
; %bb.1389:                             ;   in Loop: Header=BB8_1373 Depth=3
	v_or_b32_e32 v12, 0x10000, v5
	v_cmp_eq_u32_sdwa vcc, v5, v42 src0_sel:WORD_0 src1_sel:DWORD
	v_cndmask_b32_e32 v12, v12, v5, vcc
; %bb.1390:                             ;   in Loop: Header=BB8_1373 Depth=3
	s_or_b64 exec, exec, s[30:31]
	v_lshrrev_b32_e32 v5, 16, v12
	s_mov_b64 s[70:71], 0
	s_mov_b64 s[68:69], -1
	buffer_store_short v5, off, s[0:3], s33 offset:192
.LBB8_1391:                             ;   Parent Loop BB8_47 Depth=1
                                        ;     Parent Loop BB8_907 Depth=2
                                        ;       Parent Loop BB8_1373 Depth=3
                                        ; =>      This Inner Loop Header: Depth=4
	s_cmp_eq_u32 s70, 1
	s_cselect_b64 s[30:31], -1, 0
	v_cndmask_b32_e64 v13, v3, v9, s[30:31]
	v_cndmask_b32_e64 v12, v0, v2, s[30:31]
	flat_store_short v[12:13], v5 glc slc
	v_add_co_u32_e32 v12, vcc, 0x80, v12
	s_cmp_eq_u32 s70, 0
	v_addc_co_u32_e32 v13, vcc, 0, v13, vcc
	s_cselect_b64 vcc, -1, 0
	s_and_b64 s[34:35], exec, s[68:69]
	s_mov_b64 s[70:71], 1
	v_cndmask_b32_e64 v2, v2, v12, s[30:31]
	s_mov_b64 s[68:69], 0
	v_cndmask_b32_e64 v9, v9, v13, s[30:31]
	v_cndmask_b32_e32 v3, v3, v13, vcc
	v_cndmask_b32_e32 v0, v0, v12, vcc
	s_mov_b64 vcc, s[34:35]
	s_cbranch_vccnz .LBB8_1391
; %bb.1392:                             ;   in Loop: Header=BB8_1373 Depth=3
	s_and_saveexec_b64 s[30:31], s[66:67]
	s_cbranch_execz .LBB8_1372
; %bb.1393:                             ;   in Loop: Header=BB8_1373 Depth=3
	v_accvgpr_read_b32 v12, a34
	v_accvgpr_read_b32 v13, a35
	v_add_co_u32_e32 v0, vcc, v0, v12
	v_addc_co_u32_e32 v3, vcc, v3, v13, vcc
	v_add_co_u32_e32 v2, vcc, v2, v12
	v_addc_co_u32_e32 v9, vcc, v9, v13, vcc
	;; [unrolled: 2-line block ×3, first 2 shown]
	v_add_co_u32_e32 v10, vcc, v10, v12
	v_accvgpr_read_b32 v5, a31
	v_addc_co_u32_e32 v11, vcc, v11, v13, vcc
	v_sub_u32_e32 v14, v14, v5
	s_branch .LBB8_1372
.LBB8_1394:                             ;   in Loop: Header=BB8_907 Depth=2
	s_or_b64 exec, exec, s[62:63]
	s_and_b64 s[28:29], s[64:65], exec
.LBB8_1395:                             ;   in Loop: Header=BB8_907 Depth=2
	s_or_b64 exec, exec, s[60:61]
	s_and_b64 exec, exec, s[28:29]
	s_cbranch_execz .LBB8_1402
; %bb.1396:                             ;   in Loop: Header=BB8_907 Depth=2
	buffer_load_ushort v1, off, s[0:3], s33 offset:188
	buffer_load_ushort v5, off, s[0:3], s33 offset:190
	s_waitcnt vmcnt(0)
	v_lshlrev_b32_e32 v1, 16, v1
	v_lshlrev_b32_e32 v5, 16, v5
	v_max_f32_e32 v5, v5, v5
	v_max_f32_e32 v1, v1, v1
	v_min_f32_e32 v8, v1, v5
	v_max_f32_e32 v1, v1, v5
	v_accvgpr_read_b32 v5, a59
	v_cmp_eq_u16_sdwa vcc, v5, v42 src0_sel:BYTE_0 src1_sel:DWORD
	v_cndmask_b32_e32 v1, v1, v8, vcc
	v_and_b32_e32 v5, 0x7f800000, v1
	v_cmp_ne_u32_e32 vcc, s91, v5
                                        ; implicit-def: $vgpr5
	s_and_saveexec_b64 s[28:29], vcc
	s_xor_b64 s[28:29], exec, s[28:29]
; %bb.1397:                             ;   in Loop: Header=BB8_907 Depth=2
	v_bfe_u32 v5, v1, 16, 1
	v_add3_u32 v5, v1, v5, s92
                                        ; implicit-def: $vgpr1
; %bb.1398:                             ;   in Loop: Header=BB8_907 Depth=2
	s_andn2_saveexec_b64 s[28:29], s[28:29]
; %bb.1399:                             ;   in Loop: Header=BB8_907 Depth=2
	v_or_b32_e32 v5, 0x10000, v1
	v_cmp_eq_u32_sdwa vcc, v1, v42 src0_sel:WORD_0 src1_sel:DWORD
	v_cndmask_b32_e32 v5, v5, v1, vcc
; %bb.1400:                             ;   in Loop: Header=BB8_907 Depth=2
	s_or_b64 exec, exec, s[28:29]
	v_lshrrev_b32_e32 v1, 16, v5
	s_mov_b64 s[60:61], 0
	s_mov_b64 s[34:35], -1
.LBB8_1401:                             ;   Parent Loop BB8_47 Depth=1
                                        ;     Parent Loop BB8_907 Depth=2
                                        ; =>    This Inner Loop Header: Depth=3
	s_cmp_eq_u32 s60, 1
	s_cselect_b64 s[28:29], -1, 0
	v_cndmask_b32_e64 v10, v0, v2, s[28:29]
	v_cndmask_b32_e64 v11, v3, v9, s[28:29]
	v_add_co_u32_e32 v5, vcc, 0x80, v10
	s_cmp_eq_u32 s60, 0
	v_addc_co_u32_e32 v8, vcc, 0, v11, vcc
	s_cselect_b64 vcc, -1, 0
	s_and_b64 s[30:31], exec, s[34:35]
	s_mov_b64 s[60:61], 1
	v_cndmask_b32_e64 v2, v2, v5, s[28:29]
	s_mov_b64 s[34:35], 0
	v_cndmask_b32_e64 v9, v9, v8, s[28:29]
	v_cndmask_b32_e32 v3, v3, v8, vcc
	v_cndmask_b32_e32 v0, v0, v5, vcc
	s_mov_b64 vcc, s[30:31]
	flat_store_short v[10:11], v1 glc slc
	s_cbranch_vccnz .LBB8_1401
.LBB8_1402:                             ;   in Loop: Header=BB8_907 Depth=2
	s_or_b64 exec, exec, s[58:59]
.LBB8_1403:                             ;   in Loop: Header=BB8_907 Depth=2
	s_or_b64 exec, exec, s[36:37]
	v_accvgpr_read_b32 v12, a56
	v_accvgpr_read_b32 v14, a58
	s_branch .LBB8_1816
.LBB8_1404:                             ;   in Loop: Header=BB8_907 Depth=2
	s_mov_b64 s[30:31], -1
	s_and_saveexec_b64 s[28:29], s[22:23]
	s_cbranch_execz .LBB8_1406
; %bb.1405:                             ;   in Loop: Header=BB8_907 Depth=2
	ds_read_b32 v0, v0 offset:720
	s_waitcnt lgkmcnt(0)
	v_and_b32_e32 v0, 15, v0
	v_cmp_eq_u32_e32 vcc, 0, v0
	s_orn2_b64 s[30:31], vcc, exec
.LBB8_1406:                             ;   in Loop: Header=BB8_907 Depth=2
	s_or_b64 exec, exec, s[28:29]
	s_and_saveexec_b64 s[28:29], s[18:19]
	s_cbranch_execz .LBB8_1408
; %bb.1407:                             ;   in Loop: Header=BB8_907 Depth=2
	ds_read_b32 v0, v0 offset:784
	s_waitcnt lgkmcnt(0)
	v_and_b32_e32 v0, 15, v0
	v_cmp_eq_u32_e32 vcc, 0, v0
	s_and_b64 vcc, s[30:31], vcc
	s_andn2_b64 s[30:31], s[30:31], exec
	s_and_b64 vcc, vcc, exec
	s_or_b64 s[30:31], s[30:31], vcc
.LBB8_1408:                             ;   in Loop: Header=BB8_907 Depth=2
	s_or_b64 exec, exec, s[28:29]
	s_xor_b64 vcc, s[30:31], -1
	v_cndmask_b32_e64 v0, 0, 1, vcc
	s_mov_b64 s[28:29], -1
	;;#ASMSTART
	;;#ASMEND
	v_cmp_ne_u32_e32 vcc, 0, v0
	v_and_b32_e32 v26, 1, v48
	v_accvgpr_write_b32 a58, v14
	v_accvgpr_write_b32 a56, v12
	s_cbranch_vccz .LBB8_1545
; %bb.1409:                             ;   in Loop: Header=BB8_907 Depth=2
	v_and_b32_e32 v12, 1, v48
	s_mov_b64 s[58:59], -1
	s_mov_b32 s30, 0
	s_cbranch_execnz .LBB8_1546
.LBB8_1410:                             ;   in Loop: Header=BB8_907 Depth=2
	v_ashrrev_i32_e32 v0, 31, v38
	v_lshrrev_b32_e32 v0, 21, v0
	s_trap 2
	ds_read_b64 v[24:25], v0
	v_add_u32_e32 v0, v38, v0
	v_ashrrev_i32_e32 v27, 11, v0
	v_accvgpr_read_b32 v0, a36
	v_sub_u32_e32 v43, v27, v0
	v_accvgpr_read_b32 v0, a40
	s_waitcnt lgkmcnt(0)
	v_add_co_u32_e32 v52, vcc, v24, v0
	v_accvgpr_read_b32 v1, a41
	v_addc_co_u32_e32 v53, vcc, v25, v1, vcc
	v_cmp_lt_i32_e32 vcc, 0, v43
	s_mov_b64 s[28:29], 0
                                        ; implicit-def: $vgpr20_vgpr21
                                        ; implicit-def: $vgpr12_vgpr13
                                        ; implicit-def: $vgpr16_vgpr17
                                        ; implicit-def: $vgpr8_vgpr9
	s_and_saveexec_b64 s[30:31], vcc
	s_cbranch_execz .LBB8_1548
; %bb.1411:                             ;   in Loop: Header=BB8_907 Depth=2
	s_trap 2
	ds_read_b128 v[0:3], v0
	v_accvgpr_read_b32 v8, a40
	v_accvgpr_read_b32 v5, a41
	v_accvgpr_write_b32 a6, v24
	v_accvgpr_write_b32 a8, v27
	s_waitcnt lgkmcnt(0)
	v_add_co_u32_e32 v30, vcc, v0, v8
	v_addc_co_u32_e32 v31, vcc, v1, v5, vcc
	v_add_co_u32_e32 v0, vcc, v2, v8
	v_accvgpr_write_b32 a7, v25
	v_accvgpr_write_b32 a57, v38
	v_addc_co_u32_e32 v1, vcc, v3, v5, vcc
	v_accvgpr_write_b32 a59, v26
	v_cmp_eq_u16_e64 s[28:29], 0, v26
	s_mov_b64 s[60:61], 0
	s_mov_b64 s[34:35], 0
                                        ; implicit-def: $sgpr36_sgpr37
                                        ; implicit-def: $vgpr20_vgpr21
                                        ; implicit-def: $vgpr12_vgpr13
                                        ; implicit-def: $vgpr16_vgpr17
                                        ; implicit-def: $vgpr8_vgpr9
	s_branch .LBB8_1413
.LBB8_1412:                             ;   in Loop: Header=BB8_1413 Depth=3
	s_or_b64 exec, exec, s[62:63]
	v_lshrrev_b32_e32 v2, 16, v2
	v_and_or_b32 v50, v3, s93, v2
	v_lshrrev_b32_e32 v2, 16, v5
	v_and_or_b32 v51, v38, s93, v2
	v_lshrrev_b32_e32 v2, 16, v32
	v_lshrrev_b32_e32 v28, 16, v48
	v_and_or_b32 v25, v25, s93, v2
	v_lshrrev_b32_e32 v2, 16, v29
	v_and_or_b32 v49, v37, s93, v28
	;; [unrolled: 2-line block ×4, first 2 shown]
	v_and_or_b32 v26, v26, s93, v2
	v_lshrrev_b32_e32 v2, 16, v34
	v_and_or_b32 v27, v27, s93, v2
	global_store_dwordx4 v[52:53], v[48:51], off glc slc
	global_store_dwordx4 v[52:53], v[24:27], off offset:1024 glc slc
	s_nop 0
	v_accvgpr_read_b32 v24, a24
	v_accvgpr_read_b32 v25, a25
	v_add_co_u32_e32 v2, vcc, v30, v24
	v_addc_co_u32_e32 v3, vcc, v31, v25, vcc
	v_add_co_u32_e32 v5, vcc, v0, v24
	v_mov_b32_e32 v26, 0x800
	v_addc_co_u32_e32 v24, vcc, v1, v25, vcc
	v_cndmask_b32_e64 v26, v26, v7, s[60:61]
	v_cndmask_b32_e64 v30, v30, v2, s[60:61]
	v_accvgpr_read_b32 v2, a20
	v_cndmask_b32_e64 v25, 0, v4, s[60:61]
	v_add_co_u32_e32 v52, vcc, v52, v26
	v_cndmask_b32_e64 v2, 0, v2, s[60:61]
	v_addc_co_u32_e32 v53, vcc, v53, v25, vcc
	v_sub_u32_e32 v43, v43, v2
	v_cmp_gt_i32_e32 vcc, 1, v43
	s_or_b64 s[34:35], vcc, s[34:35]
	s_andn2_b64 vcc, s[36:37], exec
	s_and_b64 s[36:37], s[60:61], exec
	v_cndmask_b32_e64 v31, v31, v3, s[60:61]
	v_cndmask_b32_e64 v1, v1, v24, s[60:61]
	;; [unrolled: 1-line block ×3, first 2 shown]
	s_or_b64 s[36:37], vcc, s[36:37]
	s_andn2_b64 exec, exec, s[34:35]
	s_cbranch_execz .LBB8_1547
.LBB8_1413:                             ;   Parent Loop BB8_47 Depth=1
                                        ;     Parent Loop BB8_907 Depth=2
                                        ; =>    This Inner Loop Header: Depth=3
	global_load_dwordx4 v[36:39], v[30:31], off glc slc
	global_load_dwordx4 v[24:27], v[30:31], off offset:1024 glc slc
	global_load_dwordx4 v[48:51], v[0:1], off glc slc
	global_load_dwordx4 v[32:35], v[0:1], off offset:1024 glc slc
	s_and_saveexec_b64 s[62:63], s[60:61]
	s_cbranch_execz .LBB8_1479
; %bb.1414:                             ;   in Loop: Header=BB8_1413 Depth=3
	v_lshlrev_b32_e32 v2, 16, v20
	v_lshlrev_b32_e32 v3, 16, v16
	v_max_f32_e32 v3, v3, v3
	v_max_f32_e32 v2, v2, v2
	v_min_f32_e32 v5, v2, v3
	v_max_f32_e32 v2, v2, v3
	v_cndmask_b32_e64 v2, v2, v5, s[28:29]
	v_and_b32_e32 v3, 0x7f800000, v2
	v_cmp_ne_u32_e32 vcc, s91, v3
                                        ; implicit-def: $agpr9
	s_and_saveexec_b64 s[60:61], vcc
	s_xor_b64 vcc, exec, s[60:61]
; %bb.1415:                             ;   in Loop: Header=BB8_1413 Depth=3
	v_bfe_u32 v3, v2, 16, 1
	v_add3_u32 v2, v2, v3, s92
	v_accvgpr_write_b32 a9, v2
                                        ; implicit-def: $vgpr2
; %bb.1416:                             ;   in Loop: Header=BB8_1413 Depth=3
	s_andn2_saveexec_b64 s[60:61], vcc
; %bb.1417:                             ;   in Loop: Header=BB8_1413 Depth=3
	v_or_b32_e32 v3, 0x10000, v2
	v_cmp_eq_u32_sdwa vcc, v2, v42 src0_sel:WORD_0 src1_sel:DWORD
	v_cndmask_b32_e32 v2, v3, v2, vcc
	v_accvgpr_write_b32 a9, v2
; %bb.1418:                             ;   in Loop: Header=BB8_1413 Depth=3
	s_or_b64 exec, exec, s[60:61]
	v_and_b32_e32 v2, 0xffff0000, v20
	v_and_b32_e32 v3, 0xffff0000, v16
	v_max_f32_e32 v3, v3, v3
	v_max_f32_e32 v2, v2, v2
	v_min_f32_e32 v5, v2, v3
	v_max_f32_e32 v2, v2, v3
	v_cndmask_b32_e64 v2, v2, v5, s[28:29]
	v_and_b32_e32 v3, 0x7f800000, v2
	v_cmp_ne_u32_e32 vcc, s91, v3
                                        ; implicit-def: $vgpr20
	s_and_saveexec_b64 s[60:61], vcc
	s_xor_b64 vcc, exec, s[60:61]
; %bb.1419:                             ;   in Loop: Header=BB8_1413 Depth=3
	v_bfe_u32 v3, v2, 16, 1
	v_add3_u32 v20, v2, v3, s92
                                        ; implicit-def: $vgpr2
; %bb.1420:                             ;   in Loop: Header=BB8_1413 Depth=3
	s_andn2_saveexec_b64 s[60:61], vcc
; %bb.1421:                             ;   in Loop: Header=BB8_1413 Depth=3
	v_or_b32_e32 v3, 0x10000, v2
	v_cmp_eq_u32_sdwa vcc, v2, v42 src0_sel:WORD_0 src1_sel:DWORD
	v_cndmask_b32_e32 v20, v3, v2, vcc
; %bb.1422:                             ;   in Loop: Header=BB8_1413 Depth=3
	s_or_b64 exec, exec, s[60:61]
	v_lshlrev_b32_e32 v2, 16, v21
	v_lshlrev_b32_e32 v3, 16, v17
	v_max_f32_e32 v3, v3, v3
	v_max_f32_e32 v2, v2, v2
	v_min_f32_e32 v5, v2, v3
	v_max_f32_e32 v2, v2, v3
	v_cndmask_b32_e64 v2, v2, v5, s[28:29]
	v_and_b32_e32 v3, 0x7f800000, v2
	v_cmp_ne_u32_e32 vcc, s91, v3
                                        ; implicit-def: $vgpr54
	s_and_saveexec_b64 s[60:61], vcc
	s_xor_b64 vcc, exec, s[60:61]
; %bb.1423:                             ;   in Loop: Header=BB8_1413 Depth=3
	v_bfe_u32 v3, v2, 16, 1
	v_add3_u32 v54, v2, v3, s92
                                        ; implicit-def: $vgpr2
; %bb.1424:                             ;   in Loop: Header=BB8_1413 Depth=3
	s_andn2_saveexec_b64 s[60:61], vcc
; %bb.1425:                             ;   in Loop: Header=BB8_1413 Depth=3
	v_or_b32_e32 v3, 0x10000, v2
	v_cmp_eq_u32_sdwa vcc, v2, v42 src0_sel:WORD_0 src1_sel:DWORD
	v_cndmask_b32_e32 v54, v3, v2, vcc
; %bb.1426:                             ;   in Loop: Header=BB8_1413 Depth=3
	s_or_b64 exec, exec, s[60:61]
	v_and_b32_e32 v2, 0xffff0000, v21
	v_and_b32_e32 v3, 0xffff0000, v17
	v_max_f32_e32 v3, v3, v3
	v_max_f32_e32 v2, v2, v2
	v_min_f32_e32 v5, v2, v3
	v_max_f32_e32 v2, v2, v3
	v_cndmask_b32_e64 v2, v2, v5, s[28:29]
	v_and_b32_e32 v3, 0x7f800000, v2
	v_cmp_ne_u32_e32 vcc, s91, v3
                                        ; implicit-def: $vgpr21
	s_and_saveexec_b64 s[60:61], vcc
	s_xor_b64 vcc, exec, s[60:61]
; %bb.1427:                             ;   in Loop: Header=BB8_1413 Depth=3
	v_bfe_u32 v3, v2, 16, 1
	v_add3_u32 v21, v2, v3, s92
                                        ; implicit-def: $vgpr2
; %bb.1428:                             ;   in Loop: Header=BB8_1413 Depth=3
	s_andn2_saveexec_b64 s[60:61], vcc
; %bb.1429:                             ;   in Loop: Header=BB8_1413 Depth=3
	v_or_b32_e32 v3, 0x10000, v2
	v_cmp_eq_u32_sdwa vcc, v2, v42 src0_sel:WORD_0 src1_sel:DWORD
	v_cndmask_b32_e32 v21, v3, v2, vcc
; %bb.1430:                             ;   in Loop: Header=BB8_1413 Depth=3
	s_or_b64 exec, exec, s[60:61]
	v_lshlrev_b32_e32 v2, 16, v22
	v_lshlrev_b32_e32 v3, 16, v18
	v_max_f32_e32 v3, v3, v3
	v_max_f32_e32 v2, v2, v2
	v_min_f32_e32 v5, v2, v3
	v_max_f32_e32 v2, v2, v3
	v_cndmask_b32_e64 v3, v2, v5, s[28:29]
	v_and_b32_e32 v2, 0x7f800000, v3
	v_cmp_ne_u32_e32 vcc, s91, v2
                                        ; implicit-def: $vgpr2
	s_and_saveexec_b64 s[60:61], vcc
	s_xor_b64 vcc, exec, s[60:61]
; %bb.1431:                             ;   in Loop: Header=BB8_1413 Depth=3
	v_bfe_u32 v2, v3, 16, 1
	v_add3_u32 v2, v3, v2, s92
                                        ; implicit-def: $vgpr3
; %bb.1432:                             ;   in Loop: Header=BB8_1413 Depth=3
	s_andn2_saveexec_b64 s[60:61], vcc
; %bb.1433:                             ;   in Loop: Header=BB8_1413 Depth=3
	v_or_b32_e32 v2, 0x10000, v3
	v_cmp_eq_u32_sdwa vcc, v3, v42 src0_sel:WORD_0 src1_sel:DWORD
	v_cndmask_b32_e32 v2, v2, v3, vcc
; %bb.1434:                             ;   in Loop: Header=BB8_1413 Depth=3
	s_or_b64 exec, exec, s[60:61]
	v_and_b32_e32 v3, 0xffff0000, v22
	v_and_b32_e32 v5, 0xffff0000, v18
	v_max_f32_e32 v5, v5, v5
	v_max_f32_e32 v3, v3, v3
	v_min_f32_e32 v22, v3, v5
	v_max_f32_e32 v3, v3, v5
	v_cndmask_b32_e64 v5, v3, v22, s[28:29]
	v_and_b32_e32 v3, 0x7f800000, v5
	v_cmp_ne_u32_e32 vcc, s91, v3
                                        ; implicit-def: $vgpr3
	s_and_saveexec_b64 s[60:61], vcc
	s_xor_b64 vcc, exec, s[60:61]
; %bb.1435:                             ;   in Loop: Header=BB8_1413 Depth=3
	v_bfe_u32 v3, v5, 16, 1
	v_add3_u32 v3, v5, v3, s92
                                        ; implicit-def: $vgpr5
; %bb.1436:                             ;   in Loop: Header=BB8_1413 Depth=3
	s_andn2_saveexec_b64 s[60:61], vcc
; %bb.1437:                             ;   in Loop: Header=BB8_1413 Depth=3
	v_or_b32_e32 v3, 0x10000, v5
	v_cmp_eq_u32_sdwa vcc, v5, v42 src0_sel:WORD_0 src1_sel:DWORD
	v_cndmask_b32_e32 v3, v3, v5, vcc
; %bb.1438:                             ;   in Loop: Header=BB8_1413 Depth=3
	s_or_b64 exec, exec, s[60:61]
	v_lshlrev_b32_e32 v5, 16, v23
	v_lshlrev_b32_e32 v22, 16, v19
	v_max_f32_e32 v22, v22, v22
	v_max_f32_e32 v5, v5, v5
	v_min_f32_e32 v28, v5, v22
	v_max_f32_e32 v5, v5, v22
	v_cndmask_b32_e64 v5, v5, v28, s[28:29]
	v_and_b32_e32 v22, 0x7f800000, v5
	v_cmp_ne_u32_e32 vcc, s91, v22
                                        ; implicit-def: $vgpr56
	s_and_saveexec_b64 s[60:61], vcc
	s_xor_b64 vcc, exec, s[60:61]
; %bb.1439:                             ;   in Loop: Header=BB8_1413 Depth=3
	v_bfe_u32 v22, v5, 16, 1
	v_add3_u32 v56, v5, v22, s92
                                        ; implicit-def: $vgpr5
; %bb.1440:                             ;   in Loop: Header=BB8_1413 Depth=3
	s_andn2_saveexec_b64 s[60:61], vcc
; %bb.1441:                             ;   in Loop: Header=BB8_1413 Depth=3
	v_or_b32_e32 v22, 0x10000, v5
	v_cmp_eq_u32_sdwa vcc, v5, v42 src0_sel:WORD_0 src1_sel:DWORD
	v_cndmask_b32_e32 v56, v22, v5, vcc
; %bb.1442:                             ;   in Loop: Header=BB8_1413 Depth=3
	s_or_b64 exec, exec, s[60:61]
	v_and_b32_e32 v5, 0xffff0000, v23
	v_and_b32_e32 v22, 0xffff0000, v19
	v_max_f32_e32 v22, v22, v22
	v_max_f32_e32 v5, v5, v5
	v_min_f32_e32 v23, v5, v22
	v_max_f32_e32 v5, v5, v22
	v_cndmask_b32_e64 v22, v5, v23, s[28:29]
	v_and_b32_e32 v5, 0x7f800000, v22
	v_cmp_ne_u32_e32 vcc, s91, v5
                                        ; implicit-def: $vgpr5
	s_and_saveexec_b64 s[60:61], vcc
	s_xor_b64 vcc, exec, s[60:61]
; %bb.1443:                             ;   in Loop: Header=BB8_1413 Depth=3
	v_bfe_u32 v5, v22, 16, 1
	v_add3_u32 v5, v22, v5, s92
                                        ; implicit-def: $vgpr22
; %bb.1444:                             ;   in Loop: Header=BB8_1413 Depth=3
	s_andn2_saveexec_b64 s[60:61], vcc
; %bb.1445:                             ;   in Loop: Header=BB8_1413 Depth=3
	v_or_b32_e32 v5, 0x10000, v22
	v_cmp_eq_u32_sdwa vcc, v22, v42 src0_sel:WORD_0 src1_sel:DWORD
	v_cndmask_b32_e32 v5, v5, v22, vcc
; %bb.1446:                             ;   in Loop: Header=BB8_1413 Depth=3
	s_or_b64 exec, exec, s[60:61]
	v_lshlrev_b32_e32 v22, 16, v12
	v_lshlrev_b32_e32 v23, 16, v8
	v_max_f32_e32 v23, v23, v23
	v_max_f32_e32 v22, v22, v22
	v_min_f32_e32 v28, v22, v23
	v_max_f32_e32 v22, v22, v23
	v_cndmask_b32_e64 v22, v22, v28, s[28:29]
	v_and_b32_e32 v23, 0x7f800000, v22
	v_cmp_ne_u32_e32 vcc, s91, v23
                                        ; implicit-def: $vgpr57
	s_and_saveexec_b64 s[60:61], vcc
	s_xor_b64 vcc, exec, s[60:61]
; %bb.1447:                             ;   in Loop: Header=BB8_1413 Depth=3
	v_bfe_u32 v23, v22, 16, 1
	v_add3_u32 v57, v22, v23, s92
                                        ; implicit-def: $vgpr22
; %bb.1448:                             ;   in Loop: Header=BB8_1413 Depth=3
	s_andn2_saveexec_b64 s[60:61], vcc
; %bb.1449:                             ;   in Loop: Header=BB8_1413 Depth=3
	v_or_b32_e32 v23, 0x10000, v22
	v_cmp_eq_u32_sdwa vcc, v22, v42 src0_sel:WORD_0 src1_sel:DWORD
	v_cndmask_b32_e32 v57, v23, v22, vcc
; %bb.1450:                             ;   in Loop: Header=BB8_1413 Depth=3
	s_or_b64 exec, exec, s[60:61]
	v_and_b32_e32 v12, 0xffff0000, v12
	v_and_b32_e32 v22, 0xffff0000, v8
	v_max_f32_e32 v22, v22, v22
	v_max_f32_e32 v12, v12, v12
	v_min_f32_e32 v23, v12, v22
	v_max_f32_e32 v12, v12, v22
	v_cndmask_b32_e64 v22, v12, v23, s[28:29]
	v_and_b32_e32 v12, 0x7f800000, v22
	v_cmp_ne_u32_e32 vcc, s91, v12
                                        ; implicit-def: $vgpr12
	s_and_saveexec_b64 s[60:61], vcc
	s_xor_b64 vcc, exec, s[60:61]
; %bb.1451:                             ;   in Loop: Header=BB8_1413 Depth=3
	v_bfe_u32 v12, v22, 16, 1
	v_add3_u32 v12, v22, v12, s92
                                        ; implicit-def: $vgpr22
; %bb.1452:                             ;   in Loop: Header=BB8_1413 Depth=3
	s_andn2_saveexec_b64 s[60:61], vcc
; %bb.1453:                             ;   in Loop: Header=BB8_1413 Depth=3
	v_or_b32_e32 v12, 0x10000, v22
	v_cmp_eq_u32_sdwa vcc, v22, v42 src0_sel:WORD_0 src1_sel:DWORD
	v_cndmask_b32_e32 v12, v12, v22, vcc
; %bb.1454:                             ;   in Loop: Header=BB8_1413 Depth=3
	s_or_b64 exec, exec, s[60:61]
	v_lshlrev_b32_e32 v22, 16, v13
	v_lshlrev_b32_e32 v23, 16, v9
	v_max_f32_e32 v23, v23, v23
	v_max_f32_e32 v22, v22, v22
	v_min_f32_e32 v28, v22, v23
	v_max_f32_e32 v22, v22, v23
	v_cndmask_b32_e64 v22, v22, v28, s[28:29]
	v_and_b32_e32 v23, 0x7f800000, v22
	v_cmp_ne_u32_e32 vcc, s91, v23
                                        ; implicit-def: $vgpr29
	s_and_saveexec_b64 s[60:61], vcc
	s_xor_b64 vcc, exec, s[60:61]
; %bb.1455:                             ;   in Loop: Header=BB8_1413 Depth=3
	v_bfe_u32 v23, v22, 16, 1
	v_add3_u32 v29, v22, v23, s92
                                        ; implicit-def: $vgpr22
; %bb.1456:                             ;   in Loop: Header=BB8_1413 Depth=3
	s_andn2_saveexec_b64 s[60:61], vcc
; %bb.1457:                             ;   in Loop: Header=BB8_1413 Depth=3
	v_or_b32_e32 v23, 0x10000, v22
	v_cmp_eq_u32_sdwa vcc, v22, v42 src0_sel:WORD_0 src1_sel:DWORD
	v_cndmask_b32_e32 v29, v23, v22, vcc
; %bb.1458:                             ;   in Loop: Header=BB8_1413 Depth=3
	s_or_b64 exec, exec, s[60:61]
	v_and_b32_e32 v13, 0xffff0000, v13
	v_and_b32_e32 v22, 0xffff0000, v9
	v_max_f32_e32 v22, v22, v22
	v_max_f32_e32 v13, v13, v13
	v_min_f32_e32 v23, v13, v22
	v_max_f32_e32 v13, v13, v22
	v_cndmask_b32_e64 v22, v13, v23, s[28:29]
	v_and_b32_e32 v13, 0x7f800000, v22
	v_cmp_ne_u32_e32 vcc, s91, v13
                                        ; implicit-def: $vgpr13
	s_and_saveexec_b64 s[60:61], vcc
	s_xor_b64 vcc, exec, s[60:61]
; %bb.1459:                             ;   in Loop: Header=BB8_1413 Depth=3
	v_bfe_u32 v13, v22, 16, 1
	v_add3_u32 v13, v22, v13, s92
                                        ; implicit-def: $vgpr22
; %bb.1460:                             ;   in Loop: Header=BB8_1413 Depth=3
	s_andn2_saveexec_b64 s[60:61], vcc
; %bb.1461:                             ;   in Loop: Header=BB8_1413 Depth=3
	v_or_b32_e32 v13, 0x10000, v22
	v_cmp_eq_u32_sdwa vcc, v22, v42 src0_sel:WORD_0 src1_sel:DWORD
	v_cndmask_b32_e32 v13, v13, v22, vcc
; %bb.1462:                             ;   in Loop: Header=BB8_1413 Depth=3
	s_or_b64 exec, exec, s[60:61]
	v_lshlrev_b32_e32 v22, 16, v14
	v_lshlrev_b32_e32 v23, 16, v10
	v_max_f32_e32 v23, v23, v23
	v_max_f32_e32 v22, v22, v22
	v_min_f32_e32 v28, v22, v23
	v_max_f32_e32 v22, v22, v23
	v_cndmask_b32_e64 v22, v22, v28, s[28:29]
	v_and_b32_e32 v23, 0x7f800000, v22
	v_cmp_ne_u32_e32 vcc, s91, v23
                                        ; implicit-def: $vgpr55
	s_and_saveexec_b64 s[60:61], vcc
	s_xor_b64 vcc, exec, s[60:61]
; %bb.1463:                             ;   in Loop: Header=BB8_1413 Depth=3
	v_bfe_u32 v23, v22, 16, 1
	v_add3_u32 v55, v22, v23, s92
                                        ; implicit-def: $vgpr22
; %bb.1464:                             ;   in Loop: Header=BB8_1413 Depth=3
	s_andn2_saveexec_b64 s[60:61], vcc
; %bb.1465:                             ;   in Loop: Header=BB8_1413 Depth=3
	v_or_b32_e32 v23, 0x10000, v22
	v_cmp_eq_u32_sdwa vcc, v22, v42 src0_sel:WORD_0 src1_sel:DWORD
	v_cndmask_b32_e32 v55, v23, v22, vcc
; %bb.1466:                             ;   in Loop: Header=BB8_1413 Depth=3
	s_or_b64 exec, exec, s[60:61]
	v_and_b32_e32 v14, 0xffff0000, v14
	v_and_b32_e32 v22, 0xffff0000, v10
	v_max_f32_e32 v22, v22, v22
	v_max_f32_e32 v14, v14, v14
	v_min_f32_e32 v23, v14, v22
	v_max_f32_e32 v14, v14, v22
	v_cndmask_b32_e64 v22, v14, v23, s[28:29]
	v_and_b32_e32 v14, 0x7f800000, v22
	v_cmp_ne_u32_e32 vcc, s91, v14
                                        ; implicit-def: $vgpr14
	s_and_saveexec_b64 s[60:61], vcc
	s_xor_b64 vcc, exec, s[60:61]
; %bb.1467:                             ;   in Loop: Header=BB8_1413 Depth=3
	v_bfe_u32 v14, v22, 16, 1
	v_add3_u32 v14, v22, v14, s92
                                        ; implicit-def: $vgpr22
; %bb.1468:                             ;   in Loop: Header=BB8_1413 Depth=3
	s_andn2_saveexec_b64 s[60:61], vcc
; %bb.1469:                             ;   in Loop: Header=BB8_1413 Depth=3
	v_or_b32_e32 v14, 0x10000, v22
	v_cmp_eq_u32_sdwa vcc, v22, v42 src0_sel:WORD_0 src1_sel:DWORD
	v_cndmask_b32_e32 v14, v14, v22, vcc
; %bb.1470:                             ;   in Loop: Header=BB8_1413 Depth=3
	s_or_b64 exec, exec, s[60:61]
	v_lshlrev_b32_e32 v22, 16, v15
	v_lshlrev_b32_e32 v23, 16, v11
	v_max_f32_e32 v23, v23, v23
	v_max_f32_e32 v22, v22, v22
	v_min_f32_e32 v28, v22, v23
	v_max_f32_e32 v22, v22, v23
	v_cndmask_b32_e64 v22, v22, v28, s[28:29]
	v_and_b32_e32 v23, 0x7f800000, v22
	v_cmp_ne_u32_e32 vcc, s91, v23
                                        ; implicit-def: $vgpr58
	s_and_saveexec_b64 s[60:61], vcc
	s_xor_b64 vcc, exec, s[60:61]
; %bb.1471:                             ;   in Loop: Header=BB8_1413 Depth=3
	v_bfe_u32 v23, v22, 16, 1
	v_add3_u32 v58, v22, v23, s92
                                        ; implicit-def: $vgpr22
; %bb.1472:                             ;   in Loop: Header=BB8_1413 Depth=3
	s_andn2_saveexec_b64 s[60:61], vcc
; %bb.1473:                             ;   in Loop: Header=BB8_1413 Depth=3
	v_or_b32_e32 v23, 0x10000, v22
	v_cmp_eq_u32_sdwa vcc, v22, v42 src0_sel:WORD_0 src1_sel:DWORD
	v_cndmask_b32_e32 v58, v23, v22, vcc
; %bb.1474:                             ;   in Loop: Header=BB8_1413 Depth=3
	s_or_b64 exec, exec, s[60:61]
	v_and_b32_e32 v15, 0xffff0000, v15
	v_and_b32_e32 v22, 0xffff0000, v11
	v_max_f32_e32 v22, v22, v22
	v_max_f32_e32 v15, v15, v15
	v_min_f32_e32 v23, v15, v22
	v_max_f32_e32 v15, v15, v22
	v_cndmask_b32_e64 v22, v15, v23, s[28:29]
	v_and_b32_e32 v15, 0x7f800000, v22
	v_cmp_ne_u32_e32 vcc, s91, v15
                                        ; implicit-def: $vgpr15
	s_and_saveexec_b64 s[60:61], vcc
	s_xor_b64 vcc, exec, s[60:61]
; %bb.1475:                             ;   in Loop: Header=BB8_1413 Depth=3
	v_bfe_u32 v15, v22, 16, 1
	v_add3_u32 v15, v22, v15, s92
                                        ; implicit-def: $vgpr22
; %bb.1476:                             ;   in Loop: Header=BB8_1413 Depth=3
	s_andn2_saveexec_b64 s[60:61], vcc
; %bb.1477:                             ;   in Loop: Header=BB8_1413 Depth=3
	v_or_b32_e32 v15, 0x10000, v22
	v_cmp_eq_u32_sdwa vcc, v22, v42 src0_sel:WORD_0 src1_sel:DWORD
	v_cndmask_b32_e32 v15, v15, v22, vcc
; %bb.1478:                             ;   in Loop: Header=BB8_1413 Depth=3
	s_or_b64 exec, exec, s[60:61]
	v_lshrrev_b32_e32 v22, 16, v54
	v_and_or_b32 v21, v21, s93, v22
	v_accvgpr_read_b32 v22, a9
	v_lshrrev_b32_e32 v22, 16, v22
	v_lshrrev_b32_e32 v2, 16, v2
	v_and_or_b32 v20, v20, s93, v22
	v_and_or_b32 v22, v3, s93, v2
	v_lshrrev_b32_e32 v2, 16, v56
	v_and_or_b32 v23, v5, s93, v2
	v_lshrrev_b32_e32 v2, 16, v29
	;; [unrolled: 2-line block ×5, first 2 shown]
	v_and_or_b32 v15, v15, s93, v2
	global_store_dwordx4 v[52:53], v[20:23], off glc slc
	global_store_dwordx4 v[52:53], v[12:15], off offset:1024 glc slc
	v_add_co_u32_e32 v52, vcc, v52, v7
	v_addc_co_u32_e32 v53, vcc, v53, v4, vcc
.LBB8_1479:                             ;   in Loop: Header=BB8_1413 Depth=3
	s_or_b64 exec, exec, s[62:63]
	v_add_co_u32_e32 v30, vcc, v30, v7
	v_addc_co_u32_e32 v31, vcc, v31, v4, vcc
	v_accvgpr_read_b32 v2, a20
	v_add_co_u32_e32 v0, vcc, v0, v7
	v_sub_u32_e32 v43, v43, v2
	v_addc_co_u32_e32 v1, vcc, v1, v4, vcc
	v_cmp_lt_i32_e64 s[60:61], 0, v43
	s_and_saveexec_b64 s[62:63], s[60:61]
	s_cbranch_execz .LBB8_1481
; %bb.1480:                             ;   in Loop: Header=BB8_1413 Depth=3
	global_load_dwordx4 v[20:23], v[30:31], off glc slc
	global_load_dwordx4 v[12:15], v[30:31], off offset:1024 glc slc
	global_load_dwordx4 v[16:19], v[0:1], off glc slc
	global_load_dwordx4 v[8:11], v[0:1], off offset:1024 glc slc
	v_add_co_u32_e32 v30, vcc, s78, v30
	v_addc_co_u32_e32 v31, vcc, 0, v31, vcc
	v_add_co_u32_e32 v0, vcc, 0x800, v0
	v_addc_co_u32_e32 v1, vcc, 0, v1, vcc
.LBB8_1481:                             ;   in Loop: Header=BB8_1413 Depth=3
	s_or_b64 exec, exec, s[62:63]
	s_waitcnt vmcnt(0)
	v_lshlrev_b32_e32 v2, 16, v36
	v_lshlrev_b32_e32 v3, 16, v48
	v_max_f32_e32 v3, v3, v3
	v_max_f32_e32 v2, v2, v2
	v_min_f32_e32 v5, v2, v3
	v_max_f32_e32 v2, v2, v3
	v_cndmask_b32_e64 v2, v2, v5, s[28:29]
	v_and_b32_e32 v3, 0x7f800000, v2
	v_cmp_ne_u32_e32 vcc, s91, v3
                                        ; implicit-def: $vgpr55
	s_and_saveexec_b64 s[62:63], vcc
	s_xor_b64 vcc, exec, s[62:63]
; %bb.1482:                             ;   in Loop: Header=BB8_1413 Depth=3
	v_bfe_u32 v3, v2, 16, 1
	v_add3_u32 v55, v2, v3, s92
                                        ; implicit-def: $vgpr2
; %bb.1483:                             ;   in Loop: Header=BB8_1413 Depth=3
	s_andn2_saveexec_b64 s[62:63], vcc
; %bb.1484:                             ;   in Loop: Header=BB8_1413 Depth=3
	v_or_b32_e32 v3, 0x10000, v2
	v_cmp_eq_u32_sdwa vcc, v2, v42 src0_sel:WORD_0 src1_sel:DWORD
	v_cndmask_b32_e32 v55, v3, v2, vcc
; %bb.1485:                             ;   in Loop: Header=BB8_1413 Depth=3
	s_or_b64 exec, exec, s[62:63]
	v_and_b32_e32 v2, 0xffff0000, v36
	v_and_b32_e32 v3, 0xffff0000, v48
	v_max_f32_e32 v3, v3, v3
	v_max_f32_e32 v2, v2, v2
	v_min_f32_e32 v5, v2, v3
	v_max_f32_e32 v2, v2, v3
	v_cndmask_b32_e64 v2, v2, v5, s[28:29]
	v_and_b32_e32 v3, 0x7f800000, v2
	v_cmp_ne_u32_e32 vcc, s91, v3
                                        ; implicit-def: $vgpr36
	s_and_saveexec_b64 s[62:63], vcc
	s_xor_b64 vcc, exec, s[62:63]
; %bb.1486:                             ;   in Loop: Header=BB8_1413 Depth=3
	v_bfe_u32 v3, v2, 16, 1
	v_add3_u32 v36, v2, v3, s92
                                        ; implicit-def: $vgpr2
; %bb.1487:                             ;   in Loop: Header=BB8_1413 Depth=3
	s_andn2_saveexec_b64 s[62:63], vcc
; %bb.1488:                             ;   in Loop: Header=BB8_1413 Depth=3
	v_or_b32_e32 v3, 0x10000, v2
	v_cmp_eq_u32_sdwa vcc, v2, v42 src0_sel:WORD_0 src1_sel:DWORD
	v_cndmask_b32_e32 v36, v3, v2, vcc
; %bb.1489:                             ;   in Loop: Header=BB8_1413 Depth=3
	s_or_b64 exec, exec, s[62:63]
	v_lshlrev_b32_e32 v2, 16, v37
	v_lshlrev_b32_e32 v3, 16, v49
	v_max_f32_e32 v3, v3, v3
	v_max_f32_e32 v2, v2, v2
	v_min_f32_e32 v5, v2, v3
	v_max_f32_e32 v2, v2, v3
	v_cndmask_b32_e64 v2, v2, v5, s[28:29]
	v_and_b32_e32 v3, 0x7f800000, v2
	v_cmp_ne_u32_e32 vcc, s91, v3
                                        ; implicit-def: $vgpr48
	s_and_saveexec_b64 s[62:63], vcc
	s_xor_b64 vcc, exec, s[62:63]
; %bb.1490:                             ;   in Loop: Header=BB8_1413 Depth=3
	v_bfe_u32 v3, v2, 16, 1
	v_add3_u32 v48, v2, v3, s92
                                        ; implicit-def: $vgpr2
; %bb.1491:                             ;   in Loop: Header=BB8_1413 Depth=3
	s_andn2_saveexec_b64 s[62:63], vcc
; %bb.1492:                             ;   in Loop: Header=BB8_1413 Depth=3
	v_or_b32_e32 v3, 0x10000, v2
	v_cmp_eq_u32_sdwa vcc, v2, v42 src0_sel:WORD_0 src1_sel:DWORD
	v_cndmask_b32_e32 v48, v3, v2, vcc
; %bb.1493:                             ;   in Loop: Header=BB8_1413 Depth=3
	s_or_b64 exec, exec, s[62:63]
	v_and_b32_e32 v2, 0xffff0000, v37
	v_and_b32_e32 v3, 0xffff0000, v49
	v_max_f32_e32 v3, v3, v3
	v_max_f32_e32 v2, v2, v2
	v_min_f32_e32 v5, v2, v3
	v_max_f32_e32 v2, v2, v3
	v_cndmask_b32_e64 v2, v2, v5, s[28:29]
	v_and_b32_e32 v3, 0x7f800000, v2
	v_cmp_ne_u32_e32 vcc, s91, v3
                                        ; implicit-def: $vgpr37
	s_and_saveexec_b64 s[62:63], vcc
	s_xor_b64 vcc, exec, s[62:63]
; %bb.1494:                             ;   in Loop: Header=BB8_1413 Depth=3
	v_bfe_u32 v3, v2, 16, 1
	v_add3_u32 v37, v2, v3, s92
                                        ; implicit-def: $vgpr2
; %bb.1495:                             ;   in Loop: Header=BB8_1413 Depth=3
	s_andn2_saveexec_b64 s[62:63], vcc
; %bb.1496:                             ;   in Loop: Header=BB8_1413 Depth=3
	v_or_b32_e32 v3, 0x10000, v2
	v_cmp_eq_u32_sdwa vcc, v2, v42 src0_sel:WORD_0 src1_sel:DWORD
	v_cndmask_b32_e32 v37, v3, v2, vcc
; %bb.1497:                             ;   in Loop: Header=BB8_1413 Depth=3
	s_or_b64 exec, exec, s[62:63]
	v_lshlrev_b32_e32 v2, 16, v38
	v_lshlrev_b32_e32 v3, 16, v50
	v_max_f32_e32 v3, v3, v3
	v_max_f32_e32 v2, v2, v2
	v_min_f32_e32 v5, v2, v3
	v_max_f32_e32 v2, v2, v3
	v_cndmask_b32_e64 v3, v2, v5, s[28:29]
	v_and_b32_e32 v2, 0x7f800000, v3
	v_cmp_ne_u32_e32 vcc, s91, v2
                                        ; implicit-def: $vgpr2
	s_and_saveexec_b64 s[62:63], vcc
	s_xor_b64 vcc, exec, s[62:63]
; %bb.1498:                             ;   in Loop: Header=BB8_1413 Depth=3
	v_bfe_u32 v2, v3, 16, 1
	v_add3_u32 v2, v3, v2, s92
                                        ; implicit-def: $vgpr3
; %bb.1499:                             ;   in Loop: Header=BB8_1413 Depth=3
	s_andn2_saveexec_b64 s[62:63], vcc
; %bb.1500:                             ;   in Loop: Header=BB8_1413 Depth=3
	v_or_b32_e32 v2, 0x10000, v3
	v_cmp_eq_u32_sdwa vcc, v3, v42 src0_sel:WORD_0 src1_sel:DWORD
	v_cndmask_b32_e32 v2, v2, v3, vcc
; %bb.1501:                             ;   in Loop: Header=BB8_1413 Depth=3
	s_or_b64 exec, exec, s[62:63]
	v_and_b32_e32 v3, 0xffff0000, v38
	v_and_b32_e32 v5, 0xffff0000, v50
	v_max_f32_e32 v5, v5, v5
	v_max_f32_e32 v3, v3, v3
	v_min_f32_e32 v28, v3, v5
	v_max_f32_e32 v3, v3, v5
	v_cndmask_b32_e64 v5, v3, v28, s[28:29]
	v_and_b32_e32 v3, 0x7f800000, v5
	v_cmp_ne_u32_e32 vcc, s91, v3
                                        ; implicit-def: $vgpr3
	s_and_saveexec_b64 s[62:63], vcc
	s_xor_b64 vcc, exec, s[62:63]
; %bb.1502:                             ;   in Loop: Header=BB8_1413 Depth=3
	v_bfe_u32 v3, v5, 16, 1
	v_add3_u32 v3, v5, v3, s92
                                        ; implicit-def: $vgpr5
; %bb.1503:                             ;   in Loop: Header=BB8_1413 Depth=3
	s_andn2_saveexec_b64 s[62:63], vcc
; %bb.1504:                             ;   in Loop: Header=BB8_1413 Depth=3
	v_or_b32_e32 v3, 0x10000, v5
	v_cmp_eq_u32_sdwa vcc, v5, v42 src0_sel:WORD_0 src1_sel:DWORD
	v_cndmask_b32_e32 v3, v3, v5, vcc
; %bb.1505:                             ;   in Loop: Header=BB8_1413 Depth=3
	s_or_b64 exec, exec, s[62:63]
	v_lshlrev_b32_e32 v5, 16, v39
	v_lshlrev_b32_e32 v28, 16, v51
	v_max_f32_e32 v28, v28, v28
	v_max_f32_e32 v5, v5, v5
	v_min_f32_e32 v29, v5, v28
	v_max_f32_e32 v5, v5, v28
	v_cndmask_b32_e64 v29, v5, v29, s[28:29]
	v_and_b32_e32 v5, 0x7f800000, v29
	v_cmp_ne_u32_e32 vcc, s91, v5
                                        ; implicit-def: $vgpr5
	s_and_saveexec_b64 s[62:63], vcc
	s_xor_b64 vcc, exec, s[62:63]
; %bb.1506:                             ;   in Loop: Header=BB8_1413 Depth=3
	v_bfe_u32 v5, v29, 16, 1
	v_add3_u32 v5, v29, v5, s92
                                        ; implicit-def: $vgpr29
; %bb.1507:                             ;   in Loop: Header=BB8_1413 Depth=3
	s_andn2_saveexec_b64 s[62:63], vcc
; %bb.1508:                             ;   in Loop: Header=BB8_1413 Depth=3
	v_or_b32_e32 v5, 0x10000, v29
	v_cmp_eq_u32_sdwa vcc, v29, v42 src0_sel:WORD_0 src1_sel:DWORD
	v_cndmask_b32_e32 v5, v5, v29, vcc
; %bb.1509:                             ;   in Loop: Header=BB8_1413 Depth=3
	s_or_b64 exec, exec, s[62:63]
	v_and_b32_e32 v28, 0xffff0000, v39
	v_and_b32_e32 v29, 0xffff0000, v51
	v_max_f32_e32 v29, v29, v29
	v_max_f32_e32 v28, v28, v28
	v_min_f32_e32 v38, v28, v29
	v_max_f32_e32 v28, v28, v29
	v_cndmask_b32_e64 v29, v28, v38, s[28:29]
	v_and_b32_e32 v28, 0x7f800000, v29
	v_cmp_ne_u32_e32 vcc, s91, v28
                                        ; implicit-def: $vgpr38
	s_and_saveexec_b64 s[62:63], vcc
	s_xor_b64 vcc, exec, s[62:63]
; %bb.1510:                             ;   in Loop: Header=BB8_1413 Depth=3
	v_bfe_u32 v28, v29, 16, 1
	v_add3_u32 v38, v29, v28, s92
                                        ; implicit-def: $vgpr29
; %bb.1511:                             ;   in Loop: Header=BB8_1413 Depth=3
	s_andn2_saveexec_b64 s[62:63], vcc
; %bb.1512:                             ;   in Loop: Header=BB8_1413 Depth=3
	v_or_b32_e32 v28, 0x10000, v29
	v_cmp_eq_u32_sdwa vcc, v29, v42 src0_sel:WORD_0 src1_sel:DWORD
	v_cndmask_b32_e32 v38, v28, v29, vcc
; %bb.1513:                             ;   in Loop: Header=BB8_1413 Depth=3
	s_or_b64 exec, exec, s[62:63]
	v_lshlrev_b32_e32 v28, 16, v24
	v_lshlrev_b32_e32 v29, 16, v32
	v_max_f32_e32 v29, v29, v29
	v_max_f32_e32 v28, v28, v28
	v_min_f32_e32 v39, v28, v29
	v_max_f32_e32 v28, v28, v29
	v_cndmask_b32_e64 v39, v28, v39, s[28:29]
	v_and_b32_e32 v28, 0x7f800000, v39
	v_cmp_ne_u32_e32 vcc, s91, v28
                                        ; implicit-def: $vgpr29
	s_and_saveexec_b64 s[62:63], vcc
	s_xor_b64 vcc, exec, s[62:63]
; %bb.1514:                             ;   in Loop: Header=BB8_1413 Depth=3
	v_bfe_u32 v28, v39, 16, 1
	v_add3_u32 v29, v39, v28, s92
                                        ; implicit-def: $vgpr39
; %bb.1515:                             ;   in Loop: Header=BB8_1413 Depth=3
	s_andn2_saveexec_b64 s[62:63], vcc
; %bb.1516:                             ;   in Loop: Header=BB8_1413 Depth=3
	v_or_b32_e32 v28, 0x10000, v39
	v_cmp_eq_u32_sdwa vcc, v39, v42 src0_sel:WORD_0 src1_sel:DWORD
	v_cndmask_b32_e32 v29, v28, v39, vcc
; %bb.1517:                             ;   in Loop: Header=BB8_1413 Depth=3
	s_or_b64 exec, exec, s[62:63]
	v_and_b32_e32 v24, 0xffff0000, v24
	v_and_b32_e32 v28, 0xffff0000, v32
	v_max_f32_e32 v28, v28, v28
	v_max_f32_e32 v24, v24, v24
	v_min_f32_e32 v32, v24, v28
	v_max_f32_e32 v24, v24, v28
	v_cndmask_b32_e64 v32, v24, v32, s[28:29]
	v_and_b32_e32 v24, 0x7f800000, v32
	v_cmp_ne_u32_e32 vcc, s91, v24
                                        ; implicit-def: $vgpr24
	s_and_saveexec_b64 s[62:63], vcc
	s_xor_b64 vcc, exec, s[62:63]
; %bb.1518:                             ;   in Loop: Header=BB8_1413 Depth=3
	v_bfe_u32 v24, v32, 16, 1
	v_add3_u32 v24, v32, v24, s92
                                        ; implicit-def: $vgpr32
; %bb.1519:                             ;   in Loop: Header=BB8_1413 Depth=3
	s_andn2_saveexec_b64 s[62:63], vcc
; %bb.1520:                             ;   in Loop: Header=BB8_1413 Depth=3
	v_or_b32_e32 v24, 0x10000, v32
	v_cmp_eq_u32_sdwa vcc, v32, v42 src0_sel:WORD_0 src1_sel:DWORD
	v_cndmask_b32_e32 v24, v24, v32, vcc
; %bb.1521:                             ;   in Loop: Header=BB8_1413 Depth=3
	s_or_b64 exec, exec, s[62:63]
	v_lshlrev_b32_e32 v28, 16, v25
	v_lshlrev_b32_e32 v32, 16, v33
	v_max_f32_e32 v32, v32, v32
	v_max_f32_e32 v28, v28, v28
	v_min_f32_e32 v39, v28, v32
	v_max_f32_e32 v28, v28, v32
	v_cndmask_b32_e64 v39, v28, v39, s[28:29]
	v_and_b32_e32 v28, 0x7f800000, v39
	v_cmp_ne_u32_e32 vcc, s91, v28
                                        ; implicit-def: $vgpr32
	s_and_saveexec_b64 s[62:63], vcc
	s_xor_b64 vcc, exec, s[62:63]
; %bb.1522:                             ;   in Loop: Header=BB8_1413 Depth=3
	v_bfe_u32 v28, v39, 16, 1
	v_add3_u32 v32, v39, v28, s92
                                        ; implicit-def: $vgpr39
; %bb.1523:                             ;   in Loop: Header=BB8_1413 Depth=3
	s_andn2_saveexec_b64 s[62:63], vcc
; %bb.1524:                             ;   in Loop: Header=BB8_1413 Depth=3
	v_or_b32_e32 v28, 0x10000, v39
	v_cmp_eq_u32_sdwa vcc, v39, v42 src0_sel:WORD_0 src1_sel:DWORD
	v_cndmask_b32_e32 v32, v28, v39, vcc
; %bb.1525:                             ;   in Loop: Header=BB8_1413 Depth=3
	s_or_b64 exec, exec, s[62:63]
	v_and_b32_e32 v25, 0xffff0000, v25
	v_and_b32_e32 v28, 0xffff0000, v33
	v_max_f32_e32 v28, v28, v28
	v_max_f32_e32 v25, v25, v25
	v_min_f32_e32 v33, v25, v28
	v_max_f32_e32 v25, v25, v28
	v_cndmask_b32_e64 v33, v25, v33, s[28:29]
	v_and_b32_e32 v25, 0x7f800000, v33
	v_cmp_ne_u32_e32 vcc, s91, v25
                                        ; implicit-def: $vgpr25
	s_and_saveexec_b64 s[62:63], vcc
	s_xor_b64 vcc, exec, s[62:63]
; %bb.1526:                             ;   in Loop: Header=BB8_1413 Depth=3
	v_bfe_u32 v25, v33, 16, 1
	v_add3_u32 v25, v33, v25, s92
                                        ; implicit-def: $vgpr33
; %bb.1527:                             ;   in Loop: Header=BB8_1413 Depth=3
	s_andn2_saveexec_b64 s[62:63], vcc
; %bb.1528:                             ;   in Loop: Header=BB8_1413 Depth=3
	v_or_b32_e32 v25, 0x10000, v33
	v_cmp_eq_u32_sdwa vcc, v33, v42 src0_sel:WORD_0 src1_sel:DWORD
	v_cndmask_b32_e32 v25, v25, v33, vcc
; %bb.1529:                             ;   in Loop: Header=BB8_1413 Depth=3
	s_or_b64 exec, exec, s[62:63]
	v_lshlrev_b32_e32 v28, 16, v26
	v_lshlrev_b32_e32 v33, 16, v34
	v_max_f32_e32 v33, v33, v33
	v_max_f32_e32 v28, v28, v28
	v_min_f32_e32 v39, v28, v33
	v_max_f32_e32 v28, v28, v33
	v_cndmask_b32_e64 v39, v28, v39, s[28:29]
	v_and_b32_e32 v28, 0x7f800000, v39
	v_cmp_ne_u32_e32 vcc, s91, v28
                                        ; implicit-def: $vgpr33
	s_and_saveexec_b64 s[62:63], vcc
	s_xor_b64 vcc, exec, s[62:63]
; %bb.1530:                             ;   in Loop: Header=BB8_1413 Depth=3
	v_bfe_u32 v28, v39, 16, 1
	v_add3_u32 v33, v39, v28, s92
                                        ; implicit-def: $vgpr39
; %bb.1531:                             ;   in Loop: Header=BB8_1413 Depth=3
	s_andn2_saveexec_b64 s[62:63], vcc
; %bb.1532:                             ;   in Loop: Header=BB8_1413 Depth=3
	v_or_b32_e32 v28, 0x10000, v39
	v_cmp_eq_u32_sdwa vcc, v39, v42 src0_sel:WORD_0 src1_sel:DWORD
	v_cndmask_b32_e32 v33, v28, v39, vcc
; %bb.1533:                             ;   in Loop: Header=BB8_1413 Depth=3
	s_or_b64 exec, exec, s[62:63]
	v_and_b32_e32 v26, 0xffff0000, v26
	v_and_b32_e32 v28, 0xffff0000, v34
	v_max_f32_e32 v28, v28, v28
	v_max_f32_e32 v26, v26, v26
	v_min_f32_e32 v34, v26, v28
	v_max_f32_e32 v26, v26, v28
	v_cndmask_b32_e64 v34, v26, v34, s[28:29]
	v_and_b32_e32 v26, 0x7f800000, v34
	v_cmp_ne_u32_e32 vcc, s91, v26
                                        ; implicit-def: $vgpr26
	s_and_saveexec_b64 s[62:63], vcc
	s_xor_b64 vcc, exec, s[62:63]
; %bb.1534:                             ;   in Loop: Header=BB8_1413 Depth=3
	v_bfe_u32 v26, v34, 16, 1
	v_add3_u32 v26, v34, v26, s92
                                        ; implicit-def: $vgpr34
; %bb.1535:                             ;   in Loop: Header=BB8_1413 Depth=3
	s_andn2_saveexec_b64 s[62:63], vcc
; %bb.1536:                             ;   in Loop: Header=BB8_1413 Depth=3
	v_or_b32_e32 v26, 0x10000, v34
	v_cmp_eq_u32_sdwa vcc, v34, v42 src0_sel:WORD_0 src1_sel:DWORD
	v_cndmask_b32_e32 v26, v26, v34, vcc
; %bb.1537:                             ;   in Loop: Header=BB8_1413 Depth=3
	s_or_b64 exec, exec, s[62:63]
	v_lshlrev_b32_e32 v28, 16, v27
	v_lshlrev_b32_e32 v34, 16, v35
	v_max_f32_e32 v34, v34, v34
	v_max_f32_e32 v28, v28, v28
	v_min_f32_e32 v39, v28, v34
	v_max_f32_e32 v28, v28, v34
	v_cndmask_b32_e64 v39, v28, v39, s[28:29]
	v_and_b32_e32 v28, 0x7f800000, v39
	v_cmp_ne_u32_e32 vcc, s91, v28
                                        ; implicit-def: $vgpr34
	s_and_saveexec_b64 s[62:63], vcc
	s_xor_b64 vcc, exec, s[62:63]
; %bb.1538:                             ;   in Loop: Header=BB8_1413 Depth=3
	v_bfe_u32 v28, v39, 16, 1
	v_add3_u32 v34, v39, v28, s92
                                        ; implicit-def: $vgpr39
; %bb.1539:                             ;   in Loop: Header=BB8_1413 Depth=3
	s_andn2_saveexec_b64 s[62:63], vcc
; %bb.1540:                             ;   in Loop: Header=BB8_1413 Depth=3
	v_or_b32_e32 v28, 0x10000, v39
	v_cmp_eq_u32_sdwa vcc, v39, v42 src0_sel:WORD_0 src1_sel:DWORD
	v_cndmask_b32_e32 v34, v28, v39, vcc
; %bb.1541:                             ;   in Loop: Header=BB8_1413 Depth=3
	s_or_b64 exec, exec, s[62:63]
	v_and_b32_e32 v27, 0xffff0000, v27
	v_and_b32_e32 v28, 0xffff0000, v35
	v_max_f32_e32 v28, v28, v28
	v_max_f32_e32 v27, v27, v27
	v_min_f32_e32 v35, v27, v28
	v_max_f32_e32 v27, v27, v28
	v_cndmask_b32_e64 v35, v27, v35, s[28:29]
	v_and_b32_e32 v27, 0x7f800000, v35
	v_cmp_ne_u32_e32 vcc, s91, v27
                                        ; implicit-def: $vgpr27
	s_and_saveexec_b64 s[62:63], vcc
	s_xor_b64 vcc, exec, s[62:63]
; %bb.1542:                             ;   in Loop: Header=BB8_1413 Depth=3
	v_bfe_u32 v27, v35, 16, 1
	v_add3_u32 v27, v35, v27, s92
                                        ; implicit-def: $vgpr35
; %bb.1543:                             ;   in Loop: Header=BB8_1413 Depth=3
	s_andn2_saveexec_b64 s[62:63], vcc
	s_cbranch_execz .LBB8_1412
; %bb.1544:                             ;   in Loop: Header=BB8_1413 Depth=3
	v_or_b32_e32 v27, 0x10000, v35
	v_cmp_eq_u32_sdwa vcc, v35, v42 src0_sel:WORD_0 src1_sel:DWORD
	v_cndmask_b32_e32 v27, v27, v35, vcc
	s_branch .LBB8_1412
.LBB8_1545:                             ;   in Loop: Header=BB8_907 Depth=2
	s_mov_b64 s[58:59], 0
                                        ; implicit-def: $sgpr30
                                        ; implicit-def: $vgpr12
	s_andn2_b64 vcc, exec, s[28:29]
	s_cbranch_vccz .LBB8_1410
.LBB8_1546:                             ;   in Loop: Header=BB8_907 Depth=2
	v_mov_b32_e32 v16, s30
	v_accvgpr_read_b32 v17, a37
	v_accvgpr_read_b32 v0, a36
	s_and_saveexec_b64 s[36:37], s[58:59]
	s_cbranch_execnz .LBB8_1730
	s_branch .LBB8_1815
.LBB8_1547:                             ;   in Loop: Header=BB8_907 Depth=2
	s_or_b64 exec, exec, s[34:35]
	v_accvgpr_read_b32 v25, a7
	s_and_b64 s[28:29], s[36:37], exec
	v_accvgpr_read_b32 v38, a57
	v_accvgpr_read_b32 v26, a59
	;; [unrolled: 1-line block ×4, first 2 shown]
.LBB8_1548:                             ;   in Loop: Header=BB8_907 Depth=2
	s_or_b64 exec, exec, s[30:31]
	s_and_saveexec_b64 s[30:31], s[28:29]
	s_cbranch_execz .LBB8_1614
; %bb.1549:                             ;   in Loop: Header=BB8_907 Depth=2
	v_lshlrev_b32_e32 v0, 16, v20
	v_lshlrev_b32_e32 v1, 16, v16
	v_max_f32_e32 v1, v1, v1
	v_max_f32_e32 v0, v0, v0
	v_min_f32_e32 v2, v0, v1
	v_max_f32_e32 v0, v0, v1
	v_cmp_eq_u16_e32 vcc, 0, v26
	v_cndmask_b32_e32 v1, v0, v2, vcc
	v_and_b32_e32 v0, 0x7f800000, v1
	v_cmp_ne_u32_e64 s[28:29], s91, v0
                                        ; implicit-def: $vgpr0
	s_and_saveexec_b64 s[34:35], s[28:29]
	s_xor_b64 s[28:29], exec, s[34:35]
; %bb.1550:                             ;   in Loop: Header=BB8_907 Depth=2
	v_bfe_u32 v0, v1, 16, 1
	v_add3_u32 v0, v1, v0, s92
                                        ; implicit-def: $vgpr1
; %bb.1551:                             ;   in Loop: Header=BB8_907 Depth=2
	s_andn2_saveexec_b64 s[34:35], s[28:29]
; %bb.1552:                             ;   in Loop: Header=BB8_907 Depth=2
	v_or_b32_e32 v0, 0x10000, v1
	v_cmp_eq_u32_sdwa s[28:29], v1, v42 src0_sel:WORD_0 src1_sel:DWORD
	v_cndmask_b32_e64 v0, v0, v1, s[28:29]
; %bb.1553:                             ;   in Loop: Header=BB8_907 Depth=2
	s_or_b64 exec, exec, s[34:35]
	v_and_b32_e32 v1, 0xffff0000, v20
	v_and_b32_e32 v2, 0xffff0000, v16
	v_max_f32_e32 v2, v2, v2
	v_max_f32_e32 v1, v1, v1
	v_min_f32_e32 v3, v1, v2
	v_max_f32_e32 v1, v1, v2
	v_cndmask_b32_e32 v2, v1, v3, vcc
	v_and_b32_e32 v1, 0x7f800000, v2
	v_cmp_ne_u32_e64 s[28:29], s91, v1
                                        ; implicit-def: $vgpr1
	s_and_saveexec_b64 s[34:35], s[28:29]
	s_xor_b64 s[28:29], exec, s[34:35]
; %bb.1554:                             ;   in Loop: Header=BB8_907 Depth=2
	v_bfe_u32 v1, v2, 16, 1
	v_add3_u32 v1, v2, v1, s92
                                        ; implicit-def: $vgpr2
; %bb.1555:                             ;   in Loop: Header=BB8_907 Depth=2
	s_andn2_saveexec_b64 s[34:35], s[28:29]
; %bb.1556:                             ;   in Loop: Header=BB8_907 Depth=2
	v_or_b32_e32 v1, 0x10000, v2
	v_cmp_eq_u32_sdwa s[28:29], v2, v42 src0_sel:WORD_0 src1_sel:DWORD
	v_cndmask_b32_e64 v1, v1, v2, s[28:29]
; %bb.1557:                             ;   in Loop: Header=BB8_907 Depth=2
	s_or_b64 exec, exec, s[34:35]
	v_lshlrev_b32_e32 v2, 16, v21
	v_lshlrev_b32_e32 v3, 16, v17
	v_max_f32_e32 v3, v3, v3
	v_max_f32_e32 v2, v2, v2
	v_min_f32_e32 v5, v2, v3
	v_max_f32_e32 v2, v2, v3
	v_cndmask_b32_e32 v2, v2, v5, vcc
	v_and_b32_e32 v3, 0x7f800000, v2
	v_cmp_ne_u32_e64 s[28:29], s91, v3
                                        ; implicit-def: $vgpr16
	s_and_saveexec_b64 s[34:35], s[28:29]
	s_xor_b64 s[28:29], exec, s[34:35]
; %bb.1558:                             ;   in Loop: Header=BB8_907 Depth=2
	v_bfe_u32 v3, v2, 16, 1
	v_add3_u32 v16, v2, v3, s92
                                        ; implicit-def: $vgpr2
; %bb.1559:                             ;   in Loop: Header=BB8_907 Depth=2
	s_andn2_saveexec_b64 s[34:35], s[28:29]
; %bb.1560:                             ;   in Loop: Header=BB8_907 Depth=2
	v_or_b32_e32 v3, 0x10000, v2
	v_cmp_eq_u32_sdwa s[28:29], v2, v42 src0_sel:WORD_0 src1_sel:DWORD
	v_cndmask_b32_e64 v16, v3, v2, s[28:29]
; %bb.1561:                             ;   in Loop: Header=BB8_907 Depth=2
	s_or_b64 exec, exec, s[34:35]
	v_and_b32_e32 v2, 0xffff0000, v21
	v_and_b32_e32 v3, 0xffff0000, v17
	v_max_f32_e32 v3, v3, v3
	v_max_f32_e32 v2, v2, v2
	v_min_f32_e32 v5, v2, v3
	v_max_f32_e32 v2, v2, v3
	v_cndmask_b32_e32 v2, v2, v5, vcc
	v_and_b32_e32 v3, 0x7f800000, v2
	v_cmp_ne_u32_e64 s[28:29], s91, v3
                                        ; implicit-def: $vgpr17
	s_and_saveexec_b64 s[34:35], s[28:29]
	s_xor_b64 s[28:29], exec, s[34:35]
; %bb.1562:                             ;   in Loop: Header=BB8_907 Depth=2
	v_bfe_u32 v3, v2, 16, 1
	v_add3_u32 v17, v2, v3, s92
                                        ; implicit-def: $vgpr2
; %bb.1563:                             ;   in Loop: Header=BB8_907 Depth=2
	s_andn2_saveexec_b64 s[34:35], s[28:29]
; %bb.1564:                             ;   in Loop: Header=BB8_907 Depth=2
	v_or_b32_e32 v3, 0x10000, v2
	v_cmp_eq_u32_sdwa s[28:29], v2, v42 src0_sel:WORD_0 src1_sel:DWORD
	v_cndmask_b32_e64 v17, v3, v2, s[28:29]
; %bb.1565:                             ;   in Loop: Header=BB8_907 Depth=2
	s_or_b64 exec, exec, s[34:35]
	v_lshlrev_b32_e32 v2, 16, v22
	v_lshlrev_b32_e32 v3, 16, v18
	v_max_f32_e32 v3, v3, v3
	v_max_f32_e32 v2, v2, v2
	v_min_f32_e32 v5, v2, v3
	v_max_f32_e32 v2, v2, v3
	v_cndmask_b32_e32 v3, v2, v5, vcc
	v_and_b32_e32 v2, 0x7f800000, v3
	v_cmp_ne_u32_e64 s[28:29], s91, v2
                                        ; implicit-def: $vgpr2
	s_and_saveexec_b64 s[34:35], s[28:29]
	s_xor_b64 s[28:29], exec, s[34:35]
; %bb.1566:                             ;   in Loop: Header=BB8_907 Depth=2
	v_bfe_u32 v2, v3, 16, 1
	v_add3_u32 v2, v3, v2, s92
                                        ; implicit-def: $vgpr3
; %bb.1567:                             ;   in Loop: Header=BB8_907 Depth=2
	s_andn2_saveexec_b64 s[34:35], s[28:29]
; %bb.1568:                             ;   in Loop: Header=BB8_907 Depth=2
	v_or_b32_e32 v2, 0x10000, v3
	v_cmp_eq_u32_sdwa s[28:29], v3, v42 src0_sel:WORD_0 src1_sel:DWORD
	v_cndmask_b32_e64 v2, v2, v3, s[28:29]
; %bb.1569:                             ;   in Loop: Header=BB8_907 Depth=2
	s_or_b64 exec, exec, s[34:35]
	v_and_b32_e32 v3, 0xffff0000, v22
	v_and_b32_e32 v5, 0xffff0000, v18
	v_max_f32_e32 v5, v5, v5
	v_max_f32_e32 v3, v3, v3
	v_min_f32_e32 v18, v3, v5
	v_max_f32_e32 v3, v3, v5
	v_cndmask_b32_e32 v5, v3, v18, vcc
	v_and_b32_e32 v3, 0x7f800000, v5
	v_cmp_ne_u32_e64 s[28:29], s91, v3
                                        ; implicit-def: $vgpr3
	s_and_saveexec_b64 s[34:35], s[28:29]
	s_xor_b64 s[28:29], exec, s[34:35]
; %bb.1570:                             ;   in Loop: Header=BB8_907 Depth=2
	v_bfe_u32 v3, v5, 16, 1
	v_add3_u32 v3, v5, v3, s92
                                        ; implicit-def: $vgpr5
; %bb.1571:                             ;   in Loop: Header=BB8_907 Depth=2
	s_andn2_saveexec_b64 s[34:35], s[28:29]
; %bb.1572:                             ;   in Loop: Header=BB8_907 Depth=2
	v_or_b32_e32 v3, 0x10000, v5
	v_cmp_eq_u32_sdwa s[28:29], v5, v42 src0_sel:WORD_0 src1_sel:DWORD
	v_cndmask_b32_e64 v3, v3, v5, s[28:29]
; %bb.1573:                             ;   in Loop: Header=BB8_907 Depth=2
	s_or_b64 exec, exec, s[34:35]
	v_lshlrev_b32_e32 v5, 16, v23
	v_lshlrev_b32_e32 v18, 16, v19
	v_max_f32_e32 v18, v18, v18
	v_max_f32_e32 v5, v5, v5
	v_min_f32_e32 v20, v5, v18
	v_max_f32_e32 v5, v5, v18
	v_cndmask_b32_e32 v18, v5, v20, vcc
	v_and_b32_e32 v5, 0x7f800000, v18
	v_cmp_ne_u32_e64 s[28:29], s91, v5
                                        ; implicit-def: $vgpr5
	s_and_saveexec_b64 s[34:35], s[28:29]
	s_xor_b64 s[28:29], exec, s[34:35]
; %bb.1574:                             ;   in Loop: Header=BB8_907 Depth=2
	v_bfe_u32 v5, v18, 16, 1
	v_add3_u32 v5, v18, v5, s92
                                        ; implicit-def: $vgpr18
; %bb.1575:                             ;   in Loop: Header=BB8_907 Depth=2
	s_andn2_saveexec_b64 s[34:35], s[28:29]
; %bb.1576:                             ;   in Loop: Header=BB8_907 Depth=2
	v_or_b32_e32 v5, 0x10000, v18
	v_cmp_eq_u32_sdwa s[28:29], v18, v42 src0_sel:WORD_0 src1_sel:DWORD
	v_cndmask_b32_e64 v5, v5, v18, s[28:29]
; %bb.1577:                             ;   in Loop: Header=BB8_907 Depth=2
	s_or_b64 exec, exec, s[34:35]
	v_and_b32_e32 v18, 0xffff0000, v23
	v_and_b32_e32 v19, 0xffff0000, v19
	v_max_f32_e32 v19, v19, v19
	v_max_f32_e32 v18, v18, v18
	v_min_f32_e32 v20, v18, v19
	v_max_f32_e32 v18, v18, v19
	v_cndmask_b32_e32 v19, v18, v20, vcc
	v_and_b32_e32 v18, 0x7f800000, v19
	v_cmp_ne_u32_e64 s[28:29], s91, v18
                                        ; implicit-def: $vgpr18
	s_and_saveexec_b64 s[34:35], s[28:29]
	s_xor_b64 s[28:29], exec, s[34:35]
; %bb.1578:                             ;   in Loop: Header=BB8_907 Depth=2
	v_bfe_u32 v18, v19, 16, 1
	v_add3_u32 v18, v19, v18, s92
                                        ; implicit-def: $vgpr19
; %bb.1579:                             ;   in Loop: Header=BB8_907 Depth=2
	s_andn2_saveexec_b64 s[34:35], s[28:29]
; %bb.1580:                             ;   in Loop: Header=BB8_907 Depth=2
	v_or_b32_e32 v18, 0x10000, v19
	v_cmp_eq_u32_sdwa s[28:29], v19, v42 src0_sel:WORD_0 src1_sel:DWORD
	v_cndmask_b32_e64 v18, v18, v19, s[28:29]
; %bb.1581:                             ;   in Loop: Header=BB8_907 Depth=2
	s_or_b64 exec, exec, s[34:35]
	v_lshlrev_b32_e32 v19, 16, v12
	v_lshlrev_b32_e32 v20, 16, v8
	v_max_f32_e32 v20, v20, v20
	v_max_f32_e32 v19, v19, v19
	v_min_f32_e32 v21, v19, v20
	v_max_f32_e32 v19, v19, v20
	v_cndmask_b32_e32 v20, v19, v21, vcc
	v_and_b32_e32 v19, 0x7f800000, v20
	v_cmp_ne_u32_e64 s[28:29], s91, v19
                                        ; implicit-def: $vgpr19
	s_and_saveexec_b64 s[34:35], s[28:29]
	s_xor_b64 s[28:29], exec, s[34:35]
; %bb.1582:                             ;   in Loop: Header=BB8_907 Depth=2
	v_bfe_u32 v19, v20, 16, 1
	v_add3_u32 v19, v20, v19, s92
                                        ; implicit-def: $vgpr20
; %bb.1583:                             ;   in Loop: Header=BB8_907 Depth=2
	s_andn2_saveexec_b64 s[34:35], s[28:29]
; %bb.1584:                             ;   in Loop: Header=BB8_907 Depth=2
	v_or_b32_e32 v19, 0x10000, v20
	v_cmp_eq_u32_sdwa s[28:29], v20, v42 src0_sel:WORD_0 src1_sel:DWORD
	v_cndmask_b32_e64 v19, v19, v20, s[28:29]
; %bb.1585:                             ;   in Loop: Header=BB8_907 Depth=2
	s_or_b64 exec, exec, s[34:35]
	v_and_b32_e32 v12, 0xffff0000, v12
	v_and_b32_e32 v8, 0xffff0000, v8
	v_max_f32_e32 v8, v8, v8
	v_max_f32_e32 v12, v12, v12
	v_min_f32_e32 v20, v12, v8
	v_max_f32_e32 v8, v12, v8
	v_cndmask_b32_e32 v12, v8, v20, vcc
	v_and_b32_e32 v8, 0x7f800000, v12
	v_cmp_ne_u32_e64 s[28:29], s91, v8
                                        ; implicit-def: $vgpr8
	s_and_saveexec_b64 s[34:35], s[28:29]
	s_xor_b64 s[28:29], exec, s[34:35]
; %bb.1586:                             ;   in Loop: Header=BB8_907 Depth=2
	v_bfe_u32 v8, v12, 16, 1
	v_add3_u32 v8, v12, v8, s92
                                        ; implicit-def: $vgpr12
; %bb.1587:                             ;   in Loop: Header=BB8_907 Depth=2
	s_andn2_saveexec_b64 s[34:35], s[28:29]
; %bb.1588:                             ;   in Loop: Header=BB8_907 Depth=2
	v_or_b32_e32 v8, 0x10000, v12
	v_cmp_eq_u32_sdwa s[28:29], v12, v42 src0_sel:WORD_0 src1_sel:DWORD
	v_cndmask_b32_e64 v8, v8, v12, s[28:29]
; %bb.1589:                             ;   in Loop: Header=BB8_907 Depth=2
	s_or_b64 exec, exec, s[34:35]
	v_lshlrev_b32_e32 v12, 16, v13
	v_lshlrev_b32_e32 v20, 16, v9
	v_max_f32_e32 v20, v20, v20
	v_max_f32_e32 v12, v12, v12
	v_min_f32_e32 v21, v12, v20
	v_max_f32_e32 v12, v12, v20
	v_cndmask_b32_e32 v20, v12, v21, vcc
	v_and_b32_e32 v12, 0x7f800000, v20
	v_cmp_ne_u32_e64 s[28:29], s91, v12
                                        ; implicit-def: $vgpr12
	s_and_saveexec_b64 s[34:35], s[28:29]
	s_xor_b64 s[28:29], exec, s[34:35]
; %bb.1590:                             ;   in Loop: Header=BB8_907 Depth=2
	v_bfe_u32 v12, v20, 16, 1
	v_add3_u32 v12, v20, v12, s92
                                        ; implicit-def: $vgpr20
; %bb.1591:                             ;   in Loop: Header=BB8_907 Depth=2
	s_andn2_saveexec_b64 s[34:35], s[28:29]
; %bb.1592:                             ;   in Loop: Header=BB8_907 Depth=2
	v_or_b32_e32 v12, 0x10000, v20
	v_cmp_eq_u32_sdwa s[28:29], v20, v42 src0_sel:WORD_0 src1_sel:DWORD
	v_cndmask_b32_e64 v12, v12, v20, s[28:29]
; %bb.1593:                             ;   in Loop: Header=BB8_907 Depth=2
	s_or_b64 exec, exec, s[34:35]
	v_and_b32_e32 v13, 0xffff0000, v13
	v_and_b32_e32 v9, 0xffff0000, v9
	v_max_f32_e32 v9, v9, v9
	v_max_f32_e32 v13, v13, v13
	v_min_f32_e32 v20, v13, v9
	v_max_f32_e32 v9, v13, v9
	v_cndmask_b32_e32 v13, v9, v20, vcc
	v_and_b32_e32 v9, 0x7f800000, v13
	v_cmp_ne_u32_e64 s[28:29], s91, v9
                                        ; implicit-def: $vgpr9
	s_and_saveexec_b64 s[34:35], s[28:29]
	s_xor_b64 s[28:29], exec, s[34:35]
; %bb.1594:                             ;   in Loop: Header=BB8_907 Depth=2
	v_bfe_u32 v9, v13, 16, 1
	v_add3_u32 v9, v13, v9, s92
                                        ; implicit-def: $vgpr13
; %bb.1595:                             ;   in Loop: Header=BB8_907 Depth=2
	s_andn2_saveexec_b64 s[34:35], s[28:29]
; %bb.1596:                             ;   in Loop: Header=BB8_907 Depth=2
	v_or_b32_e32 v9, 0x10000, v13
	v_cmp_eq_u32_sdwa s[28:29], v13, v42 src0_sel:WORD_0 src1_sel:DWORD
	v_cndmask_b32_e64 v9, v9, v13, s[28:29]
; %bb.1597:                             ;   in Loop: Header=BB8_907 Depth=2
	s_or_b64 exec, exec, s[34:35]
	v_lshlrev_b32_e32 v13, 16, v14
	v_lshlrev_b32_e32 v20, 16, v10
	v_max_f32_e32 v20, v20, v20
	v_max_f32_e32 v13, v13, v13
	v_min_f32_e32 v21, v13, v20
	v_max_f32_e32 v13, v13, v20
	v_cndmask_b32_e32 v20, v13, v21, vcc
	v_and_b32_e32 v13, 0x7f800000, v20
	v_cmp_ne_u32_e64 s[28:29], s91, v13
                                        ; implicit-def: $vgpr13
	s_and_saveexec_b64 s[34:35], s[28:29]
	s_xor_b64 s[28:29], exec, s[34:35]
; %bb.1598:                             ;   in Loop: Header=BB8_907 Depth=2
	v_bfe_u32 v13, v20, 16, 1
	v_add3_u32 v13, v20, v13, s92
                                        ; implicit-def: $vgpr20
; %bb.1599:                             ;   in Loop: Header=BB8_907 Depth=2
	s_andn2_saveexec_b64 s[34:35], s[28:29]
; %bb.1600:                             ;   in Loop: Header=BB8_907 Depth=2
	v_or_b32_e32 v13, 0x10000, v20
	v_cmp_eq_u32_sdwa s[28:29], v20, v42 src0_sel:WORD_0 src1_sel:DWORD
	v_cndmask_b32_e64 v13, v13, v20, s[28:29]
; %bb.1601:                             ;   in Loop: Header=BB8_907 Depth=2
	s_or_b64 exec, exec, s[34:35]
	v_and_b32_e32 v14, 0xffff0000, v14
	v_and_b32_e32 v10, 0xffff0000, v10
	v_max_f32_e32 v10, v10, v10
	v_max_f32_e32 v14, v14, v14
	v_min_f32_e32 v20, v14, v10
	v_max_f32_e32 v10, v14, v10
	v_cndmask_b32_e32 v14, v10, v20, vcc
	v_and_b32_e32 v10, 0x7f800000, v14
	v_cmp_ne_u32_e64 s[28:29], s91, v10
                                        ; implicit-def: $vgpr10
	s_and_saveexec_b64 s[34:35], s[28:29]
	s_xor_b64 s[28:29], exec, s[34:35]
; %bb.1602:                             ;   in Loop: Header=BB8_907 Depth=2
	v_bfe_u32 v10, v14, 16, 1
	v_add3_u32 v10, v14, v10, s92
                                        ; implicit-def: $vgpr14
; %bb.1603:                             ;   in Loop: Header=BB8_907 Depth=2
	s_andn2_saveexec_b64 s[34:35], s[28:29]
; %bb.1604:                             ;   in Loop: Header=BB8_907 Depth=2
	v_or_b32_e32 v10, 0x10000, v14
	v_cmp_eq_u32_sdwa s[28:29], v14, v42 src0_sel:WORD_0 src1_sel:DWORD
	v_cndmask_b32_e64 v10, v10, v14, s[28:29]
; %bb.1605:                             ;   in Loop: Header=BB8_907 Depth=2
	s_or_b64 exec, exec, s[34:35]
	v_lshlrev_b32_e32 v14, 16, v15
	v_lshlrev_b32_e32 v20, 16, v11
	v_max_f32_e32 v20, v20, v20
	v_max_f32_e32 v14, v14, v14
	v_min_f32_e32 v21, v14, v20
	v_max_f32_e32 v14, v14, v20
	v_cndmask_b32_e32 v20, v14, v21, vcc
	v_and_b32_e32 v14, 0x7f800000, v20
	v_cmp_ne_u32_e64 s[28:29], s91, v14
                                        ; implicit-def: $vgpr14
	s_and_saveexec_b64 s[34:35], s[28:29]
	s_xor_b64 s[28:29], exec, s[34:35]
; %bb.1606:                             ;   in Loop: Header=BB8_907 Depth=2
	v_bfe_u32 v14, v20, 16, 1
	v_add3_u32 v14, v20, v14, s92
                                        ; implicit-def: $vgpr20
; %bb.1607:                             ;   in Loop: Header=BB8_907 Depth=2
	s_andn2_saveexec_b64 s[34:35], s[28:29]
; %bb.1608:                             ;   in Loop: Header=BB8_907 Depth=2
	v_or_b32_e32 v14, 0x10000, v20
	v_cmp_eq_u32_sdwa s[28:29], v20, v42 src0_sel:WORD_0 src1_sel:DWORD
	v_cndmask_b32_e64 v14, v14, v20, s[28:29]
; %bb.1609:                             ;   in Loop: Header=BB8_907 Depth=2
	s_or_b64 exec, exec, s[34:35]
	v_and_b32_e32 v15, 0xffff0000, v15
	v_and_b32_e32 v11, 0xffff0000, v11
	v_max_f32_e32 v11, v11, v11
	v_max_f32_e32 v15, v15, v15
	v_min_f32_e32 v20, v15, v11
	v_max_f32_e32 v11, v15, v11
	v_cndmask_b32_e32 v15, v11, v20, vcc
	v_and_b32_e32 v11, 0x7f800000, v15
	v_cmp_ne_u32_e32 vcc, s91, v11
                                        ; implicit-def: $vgpr11
	s_and_saveexec_b64 s[28:29], vcc
	s_xor_b64 s[28:29], exec, s[28:29]
; %bb.1610:                             ;   in Loop: Header=BB8_907 Depth=2
	v_bfe_u32 v11, v15, 16, 1
	v_add3_u32 v11, v15, v11, s92
                                        ; implicit-def: $vgpr15
; %bb.1611:                             ;   in Loop: Header=BB8_907 Depth=2
	s_andn2_saveexec_b64 s[28:29], s[28:29]
; %bb.1612:                             ;   in Loop: Header=BB8_907 Depth=2
	v_or_b32_e32 v11, 0x10000, v15
	v_cmp_eq_u32_sdwa vcc, v15, v42 src0_sel:WORD_0 src1_sel:DWORD
	v_cndmask_b32_e32 v11, v11, v15, vcc
; %bb.1613:                             ;   in Loop: Header=BB8_907 Depth=2
	s_or_b64 exec, exec, s[28:29]
	v_lshrrev_b32_e32 v0, 16, v0
	v_and_or_b32 v20, v1, s93, v0
	v_lshrrev_b32_e32 v0, 16, v2
	v_and_or_b32 v22, v3, s93, v0
	v_lshrrev_b32_e32 v0, 16, v5
	v_lshrrev_b32_e32 v15, 16, v16
	v_and_or_b32 v23, v18, s93, v0
	v_lshrrev_b32_e32 v0, 16, v12
	v_and_or_b32 v21, v17, s93, v15
	v_and_or_b32 v1, v9, s93, v0
	v_lshrrev_b32_e32 v0, 16, v19
	v_lshrrev_b32_e32 v2, 16, v13
	;; [unrolled: 1-line block ×3, first 2 shown]
	v_and_or_b32 v0, v8, s93, v0
	v_and_or_b32 v2, v10, s93, v2
	;; [unrolled: 1-line block ×3, first 2 shown]
	global_store_dwordx4 v[52:53], v[20:23], off glc slc
	global_store_dwordx4 v[52:53], v[0:3], off offset:1024 glc slc
.LBB8_1614:                             ;   in Loop: Header=BB8_907 Depth=2
	s_or_b64 exec, exec, s[30:31]
	v_lshlrev_b32_e32 v10, 11, v27
	v_cmp_ne_u32_e32 vcc, v38, v10
                                        ; implicit-def: $vgpr16
                                        ; implicit-def: $vgpr17
                                        ; implicit-def: $vgpr12
                                        ; implicit-def: $vgpr0
	s_and_saveexec_b64 s[60:61], vcc
	s_cbranch_execz .LBB8_1729
; %bb.1615:                             ;   in Loop: Header=BB8_907 Depth=2
	v_lshlrev_b32_e32 v1, 6, v43
	v_accvgpr_read_b32 v2, a37
	v_sub_u32_e32 v1, v2, v1
	v_ashrrev_i32_e32 v2, 31, v1
	v_lshrrev_b32_e32 v2, 26, v2
	v_add_u32_e32 v2, v1, v2
	v_ashrrev_i32_e32 v3, 6, v2
	v_and_b32_e32 v2, 0xffffffc0, v2
	v_sub_u32_e32 v12, v1, v2
	v_lshlrev_b32_e32 v1, 4, v12
	v_sub_u32_e32 v0, v38, v10
	v_lshl_add_u32 v1, v3, 10, v1
	v_add_u32_e32 v8, v1, v10
	v_sub_u32_e32 v16, v0, v1
	v_ashrrev_i32_e32 v1, 31, v0
	v_lshrrev_b32_e32 v1, 22, v1
	v_add_u32_e32 v1, v0, v1
	v_and_b32_e32 v13, 0xfffffc00, v1
	v_sub_u32_e32 v14, v0, v13
	v_ashrrev_i32_e32 v2, 10, v1
	v_cmp_lt_i32_e64 s[28:29], 15, v14
	v_addc_co_u32_e64 v0, vcc, 0, v2, s[28:29]
	v_ashrrev_i32_e32 v1, 31, v8
	v_add_co_u32_e32 v2, vcc, v8, v24
	v_sub_u32_e32 v15, v0, v3
	v_addc_co_u32_e32 v3, vcc, v1, v25, vcc
	v_cmp_lt_i32_e32 vcc, 15, v16
	s_mov_b64 s[30:31], 0
	s_and_saveexec_b64 s[62:63], vcc
	s_cbranch_execz .LBB8_1692
; %bb.1616:                             ;   in Loop: Header=BB8_907 Depth=2
	s_trap 2
	ds_read_b128 v[18:21], v0
	v_cmp_eq_u16_e64 s[30:31], 0, v26
	s_mov_b64 s[68:69], 0
	s_mov_b64 s[64:65], 0
                                        ; implicit-def: $sgpr66_sgpr67
	s_waitcnt lgkmcnt(0)
	v_add_co_u32_e32 v0, vcc, v18, v8
	v_addc_co_u32_e32 v9, vcc, v19, v1, vcc
	v_add_co_u32_e32 v8, vcc, v20, v8
	v_addc_co_u32_e32 v11, vcc, v21, v1, vcc
	s_branch .LBB8_1618
.LBB8_1617:                             ;   in Loop: Header=BB8_1618 Depth=3
	s_or_b64 exec, exec, s[34:35]
	v_cmp_gt_i32_e32 vcc, 16, v16
	s_or_b64 s[64:65], vcc, s[64:65]
	s_andn2_b64 vcc, s[66:67], exec
	s_and_b64 s[34:35], s[68:69], exec
	s_or_b64 s[66:67], vcc, s[34:35]
	s_andn2_b64 exec, exec, s[64:65]
	s_cbranch_execz .LBB8_1691
.LBB8_1618:                             ;   Parent Loop BB8_47 Depth=1
                                        ;     Parent Loop BB8_907 Depth=2
                                        ; =>    This Loop Header: Depth=3
                                        ;         Child Loop BB8_1619 Depth 4
                                        ;         Child Loop BB8_1656 Depth 4
	v_lshrrev_b32_e64 v1, 6, s33
	v_add_u32_e32 v1, 0xc0, v1
	s_mov_b64 s[70:71], -1
	s_mov_b64 s[72:73], 0
	v_accvgpr_read_b32 v24, a30
.LBB8_1619:                             ;   Parent Loop BB8_47 Depth=1
                                        ;     Parent Loop BB8_907 Depth=2
                                        ;       Parent Loop BB8_1618 Depth=3
                                        ; =>      This Inner Loop Header: Depth=4
	s_cmp_eq_u32 s72, 1
	s_cselect_b64 s[34:35], -1, 0
	v_cndmask_b32_e64 v23, v9, v11, s[34:35]
	v_cndmask_b32_e64 v22, v0, v8, s[34:35]
	global_load_dwordx4 v[18:21], v[22:23], off glc slc
	v_add_co_u32_e32 v5, vcc, s79, v22
	s_cmp_eq_u32 s72, 0
	v_addc_co_u32_e32 v17, vcc, 0, v23, vcc
	s_cselect_b64 vcc, -1, 0
	s_and_b64 s[36:37], exec, s[70:71]
	s_mov_b64 s[72:73], 1
	v_cndmask_b32_e64 v8, v8, v5, s[34:35]
	s_mov_b64 s[70:71], 0
	v_cndmask_b32_e32 v9, v9, v17, vcc
	v_cndmask_b32_e32 v0, v0, v5, vcc
	v_cndmask_b32_e64 v11, v11, v17, s[34:35]
	s_mov_b64 vcc, s[36:37]
	s_waitcnt vmcnt(0)
	buffer_store_dword v19, v1, s[0:3], 0 offen offset:4
	buffer_store_dword v18, v1, s[0:3], 0 offen
	buffer_store_dword v21, v1, s[0:3], 0 offen offset:12
	buffer_store_dword v20, v1, s[0:3], 0 offen offset:8
	v_mov_b32_e32 v1, v24
	s_cbranch_vccnz .LBB8_1619
; %bb.1620:                             ;   in Loop: Header=BB8_1618 Depth=3
	s_and_saveexec_b64 s[34:35], s[68:69]
	s_cbranch_execz .LBB8_1654
; %bb.1621:                             ;   in Loop: Header=BB8_1618 Depth=3
	buffer_load_dword v18, off, s[0:3], s33 offset:224
	buffer_load_dword v19, off, s[0:3], s33 offset:240
	;; [unrolled: 1-line block ×8, first 2 shown]
	s_waitcnt vmcnt(7)
	v_lshlrev_b32_e32 v1, 16, v18
	s_waitcnt vmcnt(6)
	v_lshlrev_b32_e32 v24, 16, v19
	v_max_f32_e32 v24, v24, v24
	v_max_f32_e32 v1, v1, v1
	v_min_f32_e32 v25, v1, v24
	v_max_f32_e32 v1, v1, v24
	v_cndmask_b32_e64 v24, v1, v25, s[30:31]
	v_and_b32_e32 v1, 0x7f800000, v24
	v_cmp_ne_u32_e32 vcc, s91, v1
                                        ; implicit-def: $vgpr1
	s_and_saveexec_b64 s[36:37], vcc
	s_xor_b64 vcc, exec, s[36:37]
; %bb.1622:                             ;   in Loop: Header=BB8_1618 Depth=3
	v_bfe_u32 v1, v24, 16, 1
	v_add3_u32 v1, v24, v1, s92
                                        ; implicit-def: $vgpr24
; %bb.1623:                             ;   in Loop: Header=BB8_1618 Depth=3
	s_andn2_saveexec_b64 s[36:37], vcc
; %bb.1624:                             ;   in Loop: Header=BB8_1618 Depth=3
	v_or_b32_e32 v1, 0x10000, v24
	v_cmp_eq_u32_sdwa vcc, v24, v42 src0_sel:WORD_0 src1_sel:DWORD
	v_cndmask_b32_e32 v1, v1, v24, vcc
; %bb.1625:                             ;   in Loop: Header=BB8_1618 Depth=3
	s_or_b64 exec, exec, s[36:37]
	v_and_b32_e32 v18, 0xffff0000, v18
	v_and_b32_e32 v19, 0xffff0000, v19
	v_max_f32_e32 v19, v19, v19
	v_max_f32_e32 v18, v18, v18
	v_min_f32_e32 v24, v18, v19
	v_max_f32_e32 v18, v18, v19
	v_cndmask_b32_e64 v19, v18, v24, s[30:31]
	v_and_b32_e32 v18, 0x7f800000, v19
	v_cmp_ne_u32_e32 vcc, s91, v18
                                        ; implicit-def: $vgpr18
	s_and_saveexec_b64 s[36:37], vcc
	s_xor_b64 vcc, exec, s[36:37]
; %bb.1626:                             ;   in Loop: Header=BB8_1618 Depth=3
	v_bfe_u32 v18, v19, 16, 1
	v_add3_u32 v18, v19, v18, s92
                                        ; implicit-def: $vgpr19
; %bb.1627:                             ;   in Loop: Header=BB8_1618 Depth=3
	s_andn2_saveexec_b64 s[36:37], vcc
; %bb.1628:                             ;   in Loop: Header=BB8_1618 Depth=3
	v_or_b32_e32 v18, 0x10000, v19
	v_cmp_eq_u32_sdwa vcc, v19, v42 src0_sel:WORD_0 src1_sel:DWORD
	v_cndmask_b32_e32 v18, v18, v19, vcc
; %bb.1629:                             ;   in Loop: Header=BB8_1618 Depth=3
	s_or_b64 exec, exec, s[36:37]
	s_waitcnt vmcnt(5)
	v_lshlrev_b32_e32 v19, 16, v22
	s_waitcnt vmcnt(2)
	v_lshlrev_b32_e32 v24, 16, v23
	v_max_f32_e32 v24, v24, v24
	v_max_f32_e32 v19, v19, v19
	v_min_f32_e32 v25, v19, v24
	v_max_f32_e32 v19, v19, v24
	v_cndmask_b32_e64 v24, v19, v25, s[30:31]
	v_and_b32_e32 v19, 0x7f800000, v24
	v_cmp_ne_u32_e32 vcc, s91, v19
                                        ; implicit-def: $vgpr19
	s_and_saveexec_b64 s[36:37], vcc
	s_xor_b64 vcc, exec, s[36:37]
; %bb.1630:                             ;   in Loop: Header=BB8_1618 Depth=3
	v_bfe_u32 v19, v24, 16, 1
	v_add3_u32 v19, v24, v19, s92
                                        ; implicit-def: $vgpr24
; %bb.1631:                             ;   in Loop: Header=BB8_1618 Depth=3
	s_andn2_saveexec_b64 s[36:37], vcc
; %bb.1632:                             ;   in Loop: Header=BB8_1618 Depth=3
	v_or_b32_e32 v19, 0x10000, v24
	v_cmp_eq_u32_sdwa vcc, v24, v42 src0_sel:WORD_0 src1_sel:DWORD
	v_cndmask_b32_e32 v19, v19, v24, vcc
; %bb.1633:                             ;   in Loop: Header=BB8_1618 Depth=3
	s_or_b64 exec, exec, s[36:37]
	v_and_b32_e32 v22, 0xffff0000, v22
	v_and_b32_e32 v23, 0xffff0000, v23
	v_max_f32_e32 v23, v23, v23
	v_max_f32_e32 v22, v22, v22
	v_min_f32_e32 v24, v22, v23
	v_max_f32_e32 v22, v22, v23
	v_cndmask_b32_e64 v23, v22, v24, s[30:31]
	v_and_b32_e32 v22, 0x7f800000, v23
	v_cmp_ne_u32_e32 vcc, s91, v22
                                        ; implicit-def: $vgpr22
	s_and_saveexec_b64 s[36:37], vcc
	s_xor_b64 vcc, exec, s[36:37]
; %bb.1634:                             ;   in Loop: Header=BB8_1618 Depth=3
	v_bfe_u32 v22, v23, 16, 1
	v_add3_u32 v22, v23, v22, s92
                                        ; implicit-def: $vgpr23
; %bb.1635:                             ;   in Loop: Header=BB8_1618 Depth=3
	s_andn2_saveexec_b64 s[36:37], vcc
; %bb.1636:                             ;   in Loop: Header=BB8_1618 Depth=3
	v_or_b32_e32 v22, 0x10000, v23
	v_cmp_eq_u32_sdwa vcc, v23, v42 src0_sel:WORD_0 src1_sel:DWORD
	v_cndmask_b32_e32 v22, v22, v23, vcc
; %bb.1637:                             ;   in Loop: Header=BB8_1618 Depth=3
	s_or_b64 exec, exec, s[36:37]
	v_lshlrev_b32_e32 v23, 16, v20
	s_waitcnt vmcnt(1)
	v_lshlrev_b32_e32 v24, 16, v21
	v_max_f32_e32 v24, v24, v24
	v_max_f32_e32 v23, v23, v23
	v_min_f32_e32 v25, v23, v24
	v_max_f32_e32 v23, v23, v24
	v_cndmask_b32_e64 v24, v23, v25, s[30:31]
	v_and_b32_e32 v23, 0x7f800000, v24
	v_cmp_ne_u32_e32 vcc, s91, v23
                                        ; implicit-def: $vgpr23
	s_and_saveexec_b64 s[36:37], vcc
	s_xor_b64 vcc, exec, s[36:37]
; %bb.1638:                             ;   in Loop: Header=BB8_1618 Depth=3
	v_bfe_u32 v23, v24, 16, 1
	v_add3_u32 v23, v24, v23, s92
                                        ; implicit-def: $vgpr24
; %bb.1639:                             ;   in Loop: Header=BB8_1618 Depth=3
	s_andn2_saveexec_b64 s[36:37], vcc
; %bb.1640:                             ;   in Loop: Header=BB8_1618 Depth=3
	v_or_b32_e32 v23, 0x10000, v24
	v_cmp_eq_u32_sdwa vcc, v24, v42 src0_sel:WORD_0 src1_sel:DWORD
	v_cndmask_b32_e32 v23, v23, v24, vcc
; %bb.1641:                             ;   in Loop: Header=BB8_1618 Depth=3
	s_or_b64 exec, exec, s[36:37]
	v_and_b32_e32 v20, 0xffff0000, v20
	v_and_b32_e32 v21, 0xffff0000, v21
	v_max_f32_e32 v21, v21, v21
	v_max_f32_e32 v20, v20, v20
	v_min_f32_e32 v24, v20, v21
	v_max_f32_e32 v20, v20, v21
	v_cndmask_b32_e64 v21, v20, v24, s[30:31]
	v_and_b32_e32 v20, 0x7f800000, v21
	v_cmp_ne_u32_e32 vcc, s91, v20
                                        ; implicit-def: $vgpr20
	s_and_saveexec_b64 s[36:37], vcc
	s_xor_b64 vcc, exec, s[36:37]
; %bb.1642:                             ;   in Loop: Header=BB8_1618 Depth=3
	v_bfe_u32 v20, v21, 16, 1
	v_add3_u32 v20, v21, v20, s92
                                        ; implicit-def: $vgpr21
; %bb.1643:                             ;   in Loop: Header=BB8_1618 Depth=3
	s_andn2_saveexec_b64 s[36:37], vcc
; %bb.1644:                             ;   in Loop: Header=BB8_1618 Depth=3
	v_or_b32_e32 v20, 0x10000, v21
	v_cmp_eq_u32_sdwa vcc, v21, v42 src0_sel:WORD_0 src1_sel:DWORD
	v_cndmask_b32_e32 v20, v20, v21, vcc
; %bb.1645:                             ;   in Loop: Header=BB8_1618 Depth=3
	s_or_b64 exec, exec, s[36:37]
	v_lshlrev_b32_e32 v21, 16, v5
	s_waitcnt vmcnt(0)
	v_lshlrev_b32_e32 v24, 16, v17
	v_max_f32_e32 v24, v24, v24
	v_max_f32_e32 v21, v21, v21
	v_min_f32_e32 v25, v21, v24
	v_max_f32_e32 v21, v21, v24
	v_cndmask_b32_e64 v24, v21, v25, s[30:31]
	v_and_b32_e32 v21, 0x7f800000, v24
	v_cmp_ne_u32_e32 vcc, s91, v21
                                        ; implicit-def: $vgpr21
	s_and_saveexec_b64 s[36:37], vcc
	s_xor_b64 vcc, exec, s[36:37]
; %bb.1646:                             ;   in Loop: Header=BB8_1618 Depth=3
	v_bfe_u32 v21, v24, 16, 1
	v_add3_u32 v21, v24, v21, s92
                                        ; implicit-def: $vgpr24
; %bb.1647:                             ;   in Loop: Header=BB8_1618 Depth=3
	s_andn2_saveexec_b64 s[36:37], vcc
; %bb.1648:                             ;   in Loop: Header=BB8_1618 Depth=3
	v_or_b32_e32 v21, 0x10000, v24
	v_cmp_eq_u32_sdwa vcc, v24, v42 src0_sel:WORD_0 src1_sel:DWORD
	v_cndmask_b32_e32 v21, v21, v24, vcc
; %bb.1649:                             ;   in Loop: Header=BB8_1618 Depth=3
	s_or_b64 exec, exec, s[36:37]
	v_and_b32_e32 v5, 0xffff0000, v5
	v_and_b32_e32 v17, 0xffff0000, v17
	v_max_f32_e32 v17, v17, v17
	v_max_f32_e32 v5, v5, v5
	v_min_f32_e32 v24, v5, v17
	v_max_f32_e32 v5, v5, v17
	v_cndmask_b32_e64 v17, v5, v24, s[30:31]
	v_and_b32_e32 v5, 0x7f800000, v17
	v_cmp_ne_u32_e32 vcc, s91, v5
                                        ; implicit-def: $vgpr5
	s_and_saveexec_b64 s[36:37], vcc
	s_xor_b64 vcc, exec, s[36:37]
; %bb.1650:                             ;   in Loop: Header=BB8_1618 Depth=3
	v_bfe_u32 v5, v17, 16, 1
	v_add3_u32 v5, v17, v5, s92
                                        ; implicit-def: $vgpr17
; %bb.1651:                             ;   in Loop: Header=BB8_1618 Depth=3
	s_andn2_saveexec_b64 s[36:37], vcc
; %bb.1652:                             ;   in Loop: Header=BB8_1618 Depth=3
	v_or_b32_e32 v5, 0x10000, v17
	v_cmp_eq_u32_sdwa vcc, v17, v42 src0_sel:WORD_0 src1_sel:DWORD
	v_cndmask_b32_e32 v5, v5, v17, vcc
; %bb.1653:                             ;   in Loop: Header=BB8_1618 Depth=3
	s_or_b64 exec, exec, s[36:37]
	v_lshrrev_b32_e32 v1, 16, v1
	v_and_or_b32 v18, v18, s93, v1
	v_lshrrev_b32_e32 v1, 16, v23
	v_lshrrev_b32_e32 v17, 16, v19
	v_and_or_b32 v20, v20, s93, v1
	v_lshrrev_b32_e32 v1, 16, v21
	v_and_or_b32 v19, v22, s93, v17
	v_and_or_b32 v21, v5, s93, v1
	v_accvgpr_read_b32 v1, a38
	buffer_store_dword v19, off, s[0:3], s33 offset:228
	buffer_store_dword v18, off, s[0:3], s33 offset:224
	;; [unrolled: 1-line block ×4, first 2 shown]
	global_store_dwordx4 v[2:3], v[18:21], off glc slc
	v_add_co_u32_e32 v2, vcc, v1, v2
	v_accvgpr_read_b32 v1, a39
	v_addc_co_u32_e32 v3, vcc, v1, v3, vcc
.LBB8_1654:                             ;   in Loop: Header=BB8_1618 Depth=3
	s_or_b64 exec, exec, s[34:35]
	v_accvgpr_read_b32 v18, a32
	v_accvgpr_read_b32 v19, a33
	v_add_co_u32_e32 v0, vcc, v0, v18
	v_addc_co_u32_e32 v9, vcc, v9, v19, vcc
	v_accvgpr_read_b32 v1, a21
	v_add_co_u32_e32 v8, vcc, v8, v18
	v_sub_u32_e32 v16, v16, v1
	v_addc_co_u32_e32 v11, vcc, v11, v19, vcc
	v_cmp_lt_i32_e64 s[68:69], 15, v16
	s_and_saveexec_b64 s[70:71], s[68:69]
	s_cbranch_execz .LBB8_1657
; %bb.1655:                             ;   in Loop: Header=BB8_1618 Depth=3
	v_lshrrev_b32_e64 v1, 6, s33
	v_add_u32_e32 v1, 0xe0, v1
	s_mov_b64 s[74:75], 0
	s_mov_b64 s[72:73], -1
	v_accvgpr_read_b32 v24, a29
.LBB8_1656:                             ;   Parent Loop BB8_47 Depth=1
                                        ;     Parent Loop BB8_907 Depth=2
                                        ;       Parent Loop BB8_1618 Depth=3
                                        ; =>      This Inner Loop Header: Depth=4
	s_cmp_eq_u32 s74, 1
	s_cselect_b64 s[34:35], -1, 0
	v_cndmask_b32_e64 v23, v9, v11, s[34:35]
	v_cndmask_b32_e64 v22, v0, v8, s[34:35]
	global_load_dwordx4 v[18:21], v[22:23], off glc slc
	v_add_co_u32_e32 v5, vcc, s79, v22
	s_cmp_eq_u32 s74, 0
	v_addc_co_u32_e32 v17, vcc, 0, v23, vcc
	s_cselect_b64 vcc, -1, 0
	s_and_b64 s[36:37], exec, s[72:73]
	s_mov_b64 s[74:75], 1
	v_cndmask_b32_e64 v8, v8, v5, s[34:35]
	s_mov_b64 s[72:73], 0
	v_cndmask_b32_e32 v9, v9, v17, vcc
	v_cndmask_b32_e32 v0, v0, v5, vcc
	v_cndmask_b32_e64 v11, v11, v17, s[34:35]
	s_mov_b64 vcc, s[36:37]
	s_waitcnt vmcnt(0)
	buffer_store_dword v19, v1, s[0:3], 0 offen offset:4
	buffer_store_dword v18, v1, s[0:3], 0 offen
	buffer_store_dword v21, v1, s[0:3], 0 offen offset:12
	buffer_store_dword v20, v1, s[0:3], 0 offen offset:8
	v_mov_b32_e32 v1, v24
	s_cbranch_vccnz .LBB8_1656
.LBB8_1657:                             ;   in Loop: Header=BB8_1618 Depth=3
	s_or_b64 exec, exec, s[70:71]
	buffer_load_dword v18, off, s[0:3], s33 offset:192
	buffer_load_dword v19, off, s[0:3], s33 offset:208
	;; [unrolled: 1-line block ×8, first 2 shown]
	s_waitcnt vmcnt(7)
	v_lshlrev_b32_e32 v1, 16, v18
	s_waitcnt vmcnt(6)
	v_lshlrev_b32_e32 v24, 16, v19
	v_max_f32_e32 v24, v24, v24
	v_max_f32_e32 v1, v1, v1
	v_min_f32_e32 v25, v1, v24
	v_max_f32_e32 v1, v1, v24
	v_cndmask_b32_e64 v24, v1, v25, s[30:31]
	v_and_b32_e32 v1, 0x7f800000, v24
	v_cmp_ne_u32_e32 vcc, s91, v1
                                        ; implicit-def: $vgpr1
	s_and_saveexec_b64 s[34:35], vcc
	s_xor_b64 vcc, exec, s[34:35]
; %bb.1658:                             ;   in Loop: Header=BB8_1618 Depth=3
	v_bfe_u32 v1, v24, 16, 1
	v_add3_u32 v1, v24, v1, s92
                                        ; implicit-def: $vgpr24
; %bb.1659:                             ;   in Loop: Header=BB8_1618 Depth=3
	s_andn2_saveexec_b64 s[34:35], vcc
; %bb.1660:                             ;   in Loop: Header=BB8_1618 Depth=3
	v_or_b32_e32 v1, 0x10000, v24
	v_cmp_eq_u32_sdwa vcc, v24, v42 src0_sel:WORD_0 src1_sel:DWORD
	v_cndmask_b32_e32 v1, v1, v24, vcc
; %bb.1661:                             ;   in Loop: Header=BB8_1618 Depth=3
	s_or_b64 exec, exec, s[34:35]
	v_and_b32_e32 v18, 0xffff0000, v18
	v_and_b32_e32 v19, 0xffff0000, v19
	v_max_f32_e32 v19, v19, v19
	v_max_f32_e32 v18, v18, v18
	v_min_f32_e32 v24, v18, v19
	v_max_f32_e32 v18, v18, v19
	v_cndmask_b32_e64 v19, v18, v24, s[30:31]
	v_and_b32_e32 v18, 0x7f800000, v19
	v_cmp_ne_u32_e32 vcc, s91, v18
                                        ; implicit-def: $vgpr18
	s_and_saveexec_b64 s[34:35], vcc
	s_xor_b64 vcc, exec, s[34:35]
; %bb.1662:                             ;   in Loop: Header=BB8_1618 Depth=3
	v_bfe_u32 v18, v19, 16, 1
	v_add3_u32 v18, v19, v18, s92
                                        ; implicit-def: $vgpr19
; %bb.1663:                             ;   in Loop: Header=BB8_1618 Depth=3
	s_andn2_saveexec_b64 s[34:35], vcc
; %bb.1664:                             ;   in Loop: Header=BB8_1618 Depth=3
	v_or_b32_e32 v18, 0x10000, v19
	v_cmp_eq_u32_sdwa vcc, v19, v42 src0_sel:WORD_0 src1_sel:DWORD
	v_cndmask_b32_e32 v18, v18, v19, vcc
; %bb.1665:                             ;   in Loop: Header=BB8_1618 Depth=3
	s_or_b64 exec, exec, s[34:35]
	s_waitcnt vmcnt(5)
	v_lshlrev_b32_e32 v19, 16, v22
	s_waitcnt vmcnt(2)
	v_lshlrev_b32_e32 v24, 16, v23
	v_max_f32_e32 v24, v24, v24
	v_max_f32_e32 v19, v19, v19
	v_min_f32_e32 v25, v19, v24
	v_max_f32_e32 v19, v19, v24
	v_cndmask_b32_e64 v24, v19, v25, s[30:31]
	v_and_b32_e32 v19, 0x7f800000, v24
	v_cmp_ne_u32_e32 vcc, s91, v19
                                        ; implicit-def: $vgpr19
	s_and_saveexec_b64 s[34:35], vcc
	s_xor_b64 vcc, exec, s[34:35]
; %bb.1666:                             ;   in Loop: Header=BB8_1618 Depth=3
	v_bfe_u32 v19, v24, 16, 1
	v_add3_u32 v19, v24, v19, s92
                                        ; implicit-def: $vgpr24
; %bb.1667:                             ;   in Loop: Header=BB8_1618 Depth=3
	s_andn2_saveexec_b64 s[34:35], vcc
; %bb.1668:                             ;   in Loop: Header=BB8_1618 Depth=3
	v_or_b32_e32 v19, 0x10000, v24
	v_cmp_eq_u32_sdwa vcc, v24, v42 src0_sel:WORD_0 src1_sel:DWORD
	v_cndmask_b32_e32 v19, v19, v24, vcc
; %bb.1669:                             ;   in Loop: Header=BB8_1618 Depth=3
	s_or_b64 exec, exec, s[34:35]
	v_and_b32_e32 v22, 0xffff0000, v22
	v_and_b32_e32 v23, 0xffff0000, v23
	v_max_f32_e32 v23, v23, v23
	v_max_f32_e32 v22, v22, v22
	v_min_f32_e32 v24, v22, v23
	v_max_f32_e32 v22, v22, v23
	v_cndmask_b32_e64 v23, v22, v24, s[30:31]
	v_and_b32_e32 v22, 0x7f800000, v23
	v_cmp_ne_u32_e32 vcc, s91, v22
                                        ; implicit-def: $vgpr22
	s_and_saveexec_b64 s[34:35], vcc
	s_xor_b64 vcc, exec, s[34:35]
; %bb.1670:                             ;   in Loop: Header=BB8_1618 Depth=3
	v_bfe_u32 v22, v23, 16, 1
	v_add3_u32 v22, v23, v22, s92
                                        ; implicit-def: $vgpr23
; %bb.1671:                             ;   in Loop: Header=BB8_1618 Depth=3
	s_andn2_saveexec_b64 s[34:35], vcc
; %bb.1672:                             ;   in Loop: Header=BB8_1618 Depth=3
	v_or_b32_e32 v22, 0x10000, v23
	v_cmp_eq_u32_sdwa vcc, v23, v42 src0_sel:WORD_0 src1_sel:DWORD
	v_cndmask_b32_e32 v22, v22, v23, vcc
; %bb.1673:                             ;   in Loop: Header=BB8_1618 Depth=3
	s_or_b64 exec, exec, s[34:35]
	v_lshlrev_b32_e32 v23, 16, v20
	s_waitcnt vmcnt(1)
	v_lshlrev_b32_e32 v24, 16, v21
	v_max_f32_e32 v24, v24, v24
	v_max_f32_e32 v23, v23, v23
	v_min_f32_e32 v25, v23, v24
	v_max_f32_e32 v23, v23, v24
	v_cndmask_b32_e64 v24, v23, v25, s[30:31]
	v_and_b32_e32 v23, 0x7f800000, v24
	v_cmp_ne_u32_e32 vcc, s91, v23
                                        ; implicit-def: $vgpr23
	s_and_saveexec_b64 s[34:35], vcc
	s_xor_b64 vcc, exec, s[34:35]
; %bb.1674:                             ;   in Loop: Header=BB8_1618 Depth=3
	v_bfe_u32 v23, v24, 16, 1
	v_add3_u32 v23, v24, v23, s92
                                        ; implicit-def: $vgpr24
; %bb.1675:                             ;   in Loop: Header=BB8_1618 Depth=3
	s_andn2_saveexec_b64 s[34:35], vcc
; %bb.1676:                             ;   in Loop: Header=BB8_1618 Depth=3
	v_or_b32_e32 v23, 0x10000, v24
	v_cmp_eq_u32_sdwa vcc, v24, v42 src0_sel:WORD_0 src1_sel:DWORD
	v_cndmask_b32_e32 v23, v23, v24, vcc
; %bb.1677:                             ;   in Loop: Header=BB8_1618 Depth=3
	s_or_b64 exec, exec, s[34:35]
	v_and_b32_e32 v20, 0xffff0000, v20
	v_and_b32_e32 v21, 0xffff0000, v21
	v_max_f32_e32 v21, v21, v21
	v_max_f32_e32 v20, v20, v20
	v_min_f32_e32 v24, v20, v21
	v_max_f32_e32 v20, v20, v21
	v_cndmask_b32_e64 v21, v20, v24, s[30:31]
	v_and_b32_e32 v20, 0x7f800000, v21
	v_cmp_ne_u32_e32 vcc, s91, v20
                                        ; implicit-def: $vgpr20
	s_and_saveexec_b64 s[34:35], vcc
	s_xor_b64 vcc, exec, s[34:35]
; %bb.1678:                             ;   in Loop: Header=BB8_1618 Depth=3
	v_bfe_u32 v20, v21, 16, 1
	v_add3_u32 v20, v21, v20, s92
                                        ; implicit-def: $vgpr21
; %bb.1679:                             ;   in Loop: Header=BB8_1618 Depth=3
	s_andn2_saveexec_b64 s[34:35], vcc
; %bb.1680:                             ;   in Loop: Header=BB8_1618 Depth=3
	v_or_b32_e32 v20, 0x10000, v21
	v_cmp_eq_u32_sdwa vcc, v21, v42 src0_sel:WORD_0 src1_sel:DWORD
	v_cndmask_b32_e32 v20, v20, v21, vcc
; %bb.1681:                             ;   in Loop: Header=BB8_1618 Depth=3
	s_or_b64 exec, exec, s[34:35]
	v_lshlrev_b32_e32 v21, 16, v5
	s_waitcnt vmcnt(0)
	v_lshlrev_b32_e32 v24, 16, v17
	v_max_f32_e32 v24, v24, v24
	v_max_f32_e32 v21, v21, v21
	v_min_f32_e32 v25, v21, v24
	v_max_f32_e32 v21, v21, v24
	v_cndmask_b32_e64 v24, v21, v25, s[30:31]
	v_and_b32_e32 v21, 0x7f800000, v24
	v_cmp_ne_u32_e32 vcc, s91, v21
                                        ; implicit-def: $vgpr21
	s_and_saveexec_b64 s[34:35], vcc
	s_xor_b64 vcc, exec, s[34:35]
; %bb.1682:                             ;   in Loop: Header=BB8_1618 Depth=3
	v_bfe_u32 v21, v24, 16, 1
	v_add3_u32 v21, v24, v21, s92
                                        ; implicit-def: $vgpr24
; %bb.1683:                             ;   in Loop: Header=BB8_1618 Depth=3
	s_andn2_saveexec_b64 s[34:35], vcc
; %bb.1684:                             ;   in Loop: Header=BB8_1618 Depth=3
	v_or_b32_e32 v21, 0x10000, v24
	v_cmp_eq_u32_sdwa vcc, v24, v42 src0_sel:WORD_0 src1_sel:DWORD
	v_cndmask_b32_e32 v21, v21, v24, vcc
; %bb.1685:                             ;   in Loop: Header=BB8_1618 Depth=3
	s_or_b64 exec, exec, s[34:35]
	v_and_b32_e32 v5, 0xffff0000, v5
	v_and_b32_e32 v17, 0xffff0000, v17
	v_max_f32_e32 v17, v17, v17
	v_max_f32_e32 v5, v5, v5
	v_min_f32_e32 v24, v5, v17
	v_max_f32_e32 v5, v5, v17
	v_cndmask_b32_e64 v17, v5, v24, s[30:31]
	v_and_b32_e32 v5, 0x7f800000, v17
	v_cmp_ne_u32_e32 vcc, s91, v5
                                        ; implicit-def: $vgpr5
	s_and_saveexec_b64 s[34:35], vcc
	s_xor_b64 vcc, exec, s[34:35]
; %bb.1686:                             ;   in Loop: Header=BB8_1618 Depth=3
	v_bfe_u32 v5, v17, 16, 1
	v_add3_u32 v5, v17, v5, s92
                                        ; implicit-def: $vgpr17
; %bb.1687:                             ;   in Loop: Header=BB8_1618 Depth=3
	s_andn2_saveexec_b64 s[34:35], vcc
; %bb.1688:                             ;   in Loop: Header=BB8_1618 Depth=3
	v_or_b32_e32 v5, 0x10000, v17
	v_cmp_eq_u32_sdwa vcc, v17, v42 src0_sel:WORD_0 src1_sel:DWORD
	v_cndmask_b32_e32 v5, v5, v17, vcc
; %bb.1689:                             ;   in Loop: Header=BB8_1618 Depth=3
	s_or_b64 exec, exec, s[34:35]
	v_lshrrev_b32_e32 v1, 16, v1
	v_and_or_b32 v18, v18, s93, v1
	v_lshrrev_b32_e32 v1, 16, v23
	v_lshrrev_b32_e32 v17, 16, v19
	v_and_or_b32 v20, v20, s93, v1
	v_lshrrev_b32_e32 v1, 16, v21
	v_and_or_b32 v19, v22, s93, v17
	v_and_or_b32 v21, v5, s93, v1
	v_accvgpr_read_b32 v24, a20
	buffer_store_dword v19, off, s[0:3], s33 offset:196
	buffer_store_dword v18, off, s[0:3], s33 offset:192
	;; [unrolled: 1-line block ×4, first 2 shown]
	global_store_dwordx4 v[2:3], v[18:21], off glc slc
	v_add_co_u32_e32 v2, vcc, 0x400, v2
	v_sub_u32_e32 v15, v15, v24
	v_addc_co_u32_e32 v3, vcc, 0, v3, vcc
	s_and_saveexec_b64 s[34:35], s[68:69]
	s_cbranch_execz .LBB8_1617
; %bb.1690:                             ;   in Loop: Header=BB8_1618 Depth=3
	v_accvgpr_read_b32 v18, a32
	v_accvgpr_read_b32 v19, a33
	v_add_co_u32_e32 v0, vcc, v0, v18
	v_addc_co_u32_e32 v9, vcc, v9, v19, vcc
	v_add_co_u32_e32 v8, vcc, v8, v18
	v_addc_co_u32_e32 v11, vcc, v11, v19, vcc
	v_add_co_u32_e32 v2, vcc, v2, v18
	v_accvgpr_read_b32 v1, a21
	v_accvgpr_read_b32 v18, a20
	v_addc_co_u32_e32 v3, vcc, v3, v19, vcc
	v_sub_u32_e32 v16, v16, v1
	v_sub_u32_e32 v15, v15, v18
	s_branch .LBB8_1617
.LBB8_1691:                             ;   in Loop: Header=BB8_907 Depth=2
	s_or_b64 exec, exec, s[64:65]
	s_and_b64 s[30:31], s[66:67], exec
.LBB8_1692:                             ;   in Loop: Header=BB8_907 Depth=2
	s_or_b64 exec, exec, s[62:63]
	s_and_saveexec_b64 s[34:35], s[30:31]
	s_cbranch_execz .LBB8_1726
; %bb.1693:                             ;   in Loop: Header=BB8_907 Depth=2
	buffer_load_dword v8, off, s[0:3], s33 offset:224
	buffer_load_dword v9, off, s[0:3], s33 offset:240
	;; [unrolled: 1-line block ×8, first 2 shown]
	v_cmp_eq_u16_e32 vcc, 0, v26
	s_waitcnt vmcnt(0)
	v_lshlrev_b32_e32 v0, 16, v8
	v_lshlrev_b32_e32 v19, 16, v9
	v_max_f32_e32 v19, v19, v19
	v_max_f32_e32 v0, v0, v0
	v_min_f32_e32 v20, v0, v19
	v_max_f32_e32 v0, v0, v19
	v_cndmask_b32_e32 v19, v0, v20, vcc
	v_and_b32_e32 v0, 0x7f800000, v19
	v_cmp_ne_u32_e64 s[30:31], s91, v0
                                        ; implicit-def: $vgpr0
	s_and_saveexec_b64 s[36:37], s[30:31]
	s_xor_b64 s[30:31], exec, s[36:37]
; %bb.1694:                             ;   in Loop: Header=BB8_907 Depth=2
	v_bfe_u32 v0, v19, 16, 1
	v_add3_u32 v0, v19, v0, s92
                                        ; implicit-def: $vgpr19
; %bb.1695:                             ;   in Loop: Header=BB8_907 Depth=2
	s_andn2_saveexec_b64 s[36:37], s[30:31]
; %bb.1696:                             ;   in Loop: Header=BB8_907 Depth=2
	v_or_b32_e32 v0, 0x10000, v19
	v_cmp_eq_u32_sdwa s[30:31], v19, v42 src0_sel:WORD_0 src1_sel:DWORD
	v_cndmask_b32_e64 v0, v0, v19, s[30:31]
; %bb.1697:                             ;   in Loop: Header=BB8_907 Depth=2
	s_or_b64 exec, exec, s[36:37]
	v_and_b32_e32 v8, 0xffff0000, v8
	v_and_b32_e32 v9, 0xffff0000, v9
	v_max_f32_e32 v9, v9, v9
	v_max_f32_e32 v8, v8, v8
	v_min_f32_e32 v19, v8, v9
	v_max_f32_e32 v8, v8, v9
	v_cndmask_b32_e32 v9, v8, v19, vcc
	v_and_b32_e32 v8, 0x7f800000, v9
	v_cmp_ne_u32_e64 s[30:31], s91, v8
                                        ; implicit-def: $vgpr8
	s_and_saveexec_b64 s[36:37], s[30:31]
	s_xor_b64 s[30:31], exec, s[36:37]
; %bb.1698:                             ;   in Loop: Header=BB8_907 Depth=2
	v_bfe_u32 v8, v9, 16, 1
	v_add3_u32 v8, v9, v8, s92
                                        ; implicit-def: $vgpr9
; %bb.1699:                             ;   in Loop: Header=BB8_907 Depth=2
	s_andn2_saveexec_b64 s[36:37], s[30:31]
; %bb.1700:                             ;   in Loop: Header=BB8_907 Depth=2
	v_or_b32_e32 v8, 0x10000, v9
	v_cmp_eq_u32_sdwa s[30:31], v9, v42 src0_sel:WORD_0 src1_sel:DWORD
	v_cndmask_b32_e64 v8, v8, v9, s[30:31]
; %bb.1701:                             ;   in Loop: Header=BB8_907 Depth=2
	s_or_b64 exec, exec, s[36:37]
	v_lshlrev_b32_e32 v9, 16, v17
	v_lshlrev_b32_e32 v19, 16, v18
	v_max_f32_e32 v19, v19, v19
	v_max_f32_e32 v9, v9, v9
	v_min_f32_e32 v20, v9, v19
	v_max_f32_e32 v9, v9, v19
	v_cndmask_b32_e32 v19, v9, v20, vcc
	v_and_b32_e32 v9, 0x7f800000, v19
	v_cmp_ne_u32_e64 s[30:31], s91, v9
                                        ; implicit-def: $vgpr9
	s_and_saveexec_b64 s[36:37], s[30:31]
	s_xor_b64 s[30:31], exec, s[36:37]
; %bb.1702:                             ;   in Loop: Header=BB8_907 Depth=2
	v_bfe_u32 v9, v19, 16, 1
	v_add3_u32 v9, v19, v9, s92
                                        ; implicit-def: $vgpr19
; %bb.1703:                             ;   in Loop: Header=BB8_907 Depth=2
	s_andn2_saveexec_b64 s[36:37], s[30:31]
; %bb.1704:                             ;   in Loop: Header=BB8_907 Depth=2
	v_or_b32_e32 v9, 0x10000, v19
	v_cmp_eq_u32_sdwa s[30:31], v19, v42 src0_sel:WORD_0 src1_sel:DWORD
	v_cndmask_b32_e64 v9, v9, v19, s[30:31]
; %bb.1705:                             ;   in Loop: Header=BB8_907 Depth=2
	s_or_b64 exec, exec, s[36:37]
	v_and_b32_e32 v17, 0xffff0000, v17
	v_and_b32_e32 v18, 0xffff0000, v18
	v_max_f32_e32 v18, v18, v18
	v_max_f32_e32 v17, v17, v17
	v_min_f32_e32 v19, v17, v18
	v_max_f32_e32 v17, v17, v18
	v_cndmask_b32_e32 v18, v17, v19, vcc
	v_and_b32_e32 v17, 0x7f800000, v18
	v_cmp_ne_u32_e64 s[30:31], s91, v17
                                        ; implicit-def: $vgpr17
	s_and_saveexec_b64 s[36:37], s[30:31]
	s_xor_b64 s[30:31], exec, s[36:37]
; %bb.1706:                             ;   in Loop: Header=BB8_907 Depth=2
	v_bfe_u32 v17, v18, 16, 1
	v_add3_u32 v17, v18, v17, s92
                                        ; implicit-def: $vgpr18
; %bb.1707:                             ;   in Loop: Header=BB8_907 Depth=2
	s_andn2_saveexec_b64 s[36:37], s[30:31]
; %bb.1708:                             ;   in Loop: Header=BB8_907 Depth=2
	v_or_b32_e32 v17, 0x10000, v18
	v_cmp_eq_u32_sdwa s[30:31], v18, v42 src0_sel:WORD_0 src1_sel:DWORD
	v_cndmask_b32_e64 v17, v17, v18, s[30:31]
; %bb.1709:                             ;   in Loop: Header=BB8_907 Depth=2
	s_or_b64 exec, exec, s[36:37]
	v_lshlrev_b32_e32 v18, 16, v11
	v_lshlrev_b32_e32 v19, 16, v16
	v_max_f32_e32 v19, v19, v19
	v_max_f32_e32 v18, v18, v18
	v_min_f32_e32 v20, v18, v19
	v_max_f32_e32 v18, v18, v19
	v_cndmask_b32_e32 v19, v18, v20, vcc
	v_and_b32_e32 v18, 0x7f800000, v19
	v_cmp_ne_u32_e64 s[30:31], s91, v18
                                        ; implicit-def: $vgpr18
	s_and_saveexec_b64 s[36:37], s[30:31]
	s_xor_b64 s[30:31], exec, s[36:37]
; %bb.1710:                             ;   in Loop: Header=BB8_907 Depth=2
	v_bfe_u32 v18, v19, 16, 1
	v_add3_u32 v18, v19, v18, s92
                                        ; implicit-def: $vgpr19
; %bb.1711:                             ;   in Loop: Header=BB8_907 Depth=2
	s_andn2_saveexec_b64 s[36:37], s[30:31]
; %bb.1712:                             ;   in Loop: Header=BB8_907 Depth=2
	v_or_b32_e32 v18, 0x10000, v19
	v_cmp_eq_u32_sdwa s[30:31], v19, v42 src0_sel:WORD_0 src1_sel:DWORD
	v_cndmask_b32_e64 v18, v18, v19, s[30:31]
; %bb.1713:                             ;   in Loop: Header=BB8_907 Depth=2
	s_or_b64 exec, exec, s[36:37]
	v_and_b32_e32 v11, 0xffff0000, v11
	v_and_b32_e32 v16, 0xffff0000, v16
	v_max_f32_e32 v16, v16, v16
	v_max_f32_e32 v11, v11, v11
	v_min_f32_e32 v19, v11, v16
	v_max_f32_e32 v11, v11, v16
	v_cndmask_b32_e32 v16, v11, v19, vcc
	v_and_b32_e32 v11, 0x7f800000, v16
	v_cmp_ne_u32_e64 s[30:31], s91, v11
                                        ; implicit-def: $vgpr11
	s_and_saveexec_b64 s[36:37], s[30:31]
	s_xor_b64 s[30:31], exec, s[36:37]
; %bb.1714:                             ;   in Loop: Header=BB8_907 Depth=2
	v_bfe_u32 v11, v16, 16, 1
	v_add3_u32 v11, v16, v11, s92
                                        ; implicit-def: $vgpr16
; %bb.1715:                             ;   in Loop: Header=BB8_907 Depth=2
	s_andn2_saveexec_b64 s[36:37], s[30:31]
; %bb.1716:                             ;   in Loop: Header=BB8_907 Depth=2
	v_or_b32_e32 v11, 0x10000, v16
	v_cmp_eq_u32_sdwa s[30:31], v16, v42 src0_sel:WORD_0 src1_sel:DWORD
	v_cndmask_b32_e64 v11, v11, v16, s[30:31]
; %bb.1717:                             ;   in Loop: Header=BB8_907 Depth=2
	s_or_b64 exec, exec, s[36:37]
	v_lshlrev_b32_e32 v16, 16, v1
	v_lshlrev_b32_e32 v19, 16, v5
	v_max_f32_e32 v19, v19, v19
	v_max_f32_e32 v16, v16, v16
	v_min_f32_e32 v20, v16, v19
	v_max_f32_e32 v16, v16, v19
	v_cndmask_b32_e32 v19, v16, v20, vcc
	v_and_b32_e32 v16, 0x7f800000, v19
	v_cmp_ne_u32_e64 s[30:31], s91, v16
                                        ; implicit-def: $vgpr16
	s_and_saveexec_b64 s[36:37], s[30:31]
	s_xor_b64 s[30:31], exec, s[36:37]
; %bb.1718:                             ;   in Loop: Header=BB8_907 Depth=2
	v_bfe_u32 v16, v19, 16, 1
	v_add3_u32 v16, v19, v16, s92
                                        ; implicit-def: $vgpr19
; %bb.1719:                             ;   in Loop: Header=BB8_907 Depth=2
	s_andn2_saveexec_b64 s[36:37], s[30:31]
; %bb.1720:                             ;   in Loop: Header=BB8_907 Depth=2
	v_or_b32_e32 v16, 0x10000, v19
	v_cmp_eq_u32_sdwa s[30:31], v19, v42 src0_sel:WORD_0 src1_sel:DWORD
	v_cndmask_b32_e64 v16, v16, v19, s[30:31]
; %bb.1721:                             ;   in Loop: Header=BB8_907 Depth=2
	s_or_b64 exec, exec, s[36:37]
	v_and_b32_e32 v1, 0xffff0000, v1
	v_and_b32_e32 v5, 0xffff0000, v5
	v_max_f32_e32 v5, v5, v5
	v_max_f32_e32 v1, v1, v1
	v_min_f32_e32 v19, v1, v5
	v_max_f32_e32 v1, v1, v5
	v_cndmask_b32_e32 v5, v1, v19, vcc
	v_and_b32_e32 v1, 0x7f800000, v5
	v_cmp_ne_u32_e32 vcc, s91, v1
                                        ; implicit-def: $vgpr1
	s_and_saveexec_b64 s[30:31], vcc
	s_xor_b64 vcc, exec, s[30:31]
; %bb.1722:                             ;   in Loop: Header=BB8_907 Depth=2
	v_bfe_u32 v1, v5, 16, 1
	v_add3_u32 v1, v5, v1, s92
                                        ; implicit-def: $vgpr5
; %bb.1723:                             ;   in Loop: Header=BB8_907 Depth=2
	s_andn2_saveexec_b64 s[30:31], vcc
; %bb.1724:                             ;   in Loop: Header=BB8_907 Depth=2
	v_or_b32_e32 v1, 0x10000, v5
	v_cmp_eq_u32_sdwa vcc, v5, v42 src0_sel:WORD_0 src1_sel:DWORD
	v_cndmask_b32_e32 v1, v1, v5, vcc
; %bb.1725:                             ;   in Loop: Header=BB8_907 Depth=2
	s_or_b64 exec, exec, s[30:31]
	v_lshrrev_b32_e32 v0, 16, v0
	v_and_or_b32 v20, v8, s93, v0
	v_lshrrev_b32_e32 v0, 16, v18
	v_lshrrev_b32_e32 v5, 16, v9
	v_and_or_b32 v22, v11, s93, v0
	v_lshrrev_b32_e32 v0, 16, v16
	v_and_or_b32 v21, v17, s93, v5
	v_and_or_b32 v23, v1, s93, v0
	global_store_dwordx4 v[2:3], v[20:23], off glc slc
.LBB8_1726:                             ;   in Loop: Header=BB8_907 Depth=2
	s_or_b64 exec, exec, s[34:35]
	v_and_b32_e32 v1, 14, v38
	v_cndmask_b32_e64 v38, v14, v1, s[28:29]
	v_cmp_ne_u32_e32 vcc, 0, v38
	s_mov_b64 s[30:31], s[58:59]
                                        ; implicit-def: $vgpr16
                                        ; implicit-def: $vgpr17
                                        ; implicit-def: $vgpr0
	s_and_saveexec_b64 s[34:35], vcc
	s_cbranch_execz .LBB8_1728
; %bb.1727:                             ;   in Loop: Header=BB8_907 Depth=2
	v_sub_u32_e32 v0, v14, v1
	v_cndmask_b32_e64 v0, 0, v0, s[28:29]
	v_add3_u32 v16, v13, v10, v0
	v_cmp_lt_i32_e32 vcc, 0, v15
	v_accvgpr_read_b32 v0, a20
	v_cndmask_b32_e32 v0, 0, v0, vcc
	v_sub_u32_e32 v0, v0, v15
	v_lshl_add_u32 v1, v0, 6, v12
	v_ashrrev_i32_e32 v0, 31, v1
	v_lshrrev_b32_e32 v0, 26, v0
	v_add_u32_e32 v2, v1, v0
	v_ashrrev_i32_e32 v0, 6, v2
	v_and_b32_e32 v2, 0xffffffc0, v2
	v_sub_u32_e32 v17, v1, v2
	s_or_b64 s[30:31], s[58:59], exec
.LBB8_1728:                             ;   in Loop: Header=BB8_907 Depth=2
	s_or_b64 exec, exec, s[34:35]
	s_andn2_b64 s[28:29], s[58:59], exec
	s_and_b64 vcc, s[30:31], exec
	s_or_b64 s[58:59], s[28:29], vcc
	v_mov_b32_e32 v12, v26
.LBB8_1729:                             ;   in Loop: Header=BB8_907 Depth=2
	s_or_b64 exec, exec, s[60:61]
	s_and_saveexec_b64 s[36:37], s[58:59]
	s_cbranch_execz .LBB8_1815
.LBB8_1730:                             ;   in Loop: Header=BB8_907 Depth=2
	v_lshlrev_b32_e32 v1, 9, v0
	v_lshlrev_b32_e32 v2, 1, v17
	v_add3_u32 v10, v16, v2, v1
	s_trap 2
	ds_read_b64 v[2:3], v0
	v_ashrrev_i32_e32 v1, 31, v38
	v_lshrrev_b32_e32 v1, 23, v1
	v_add_u32_e32 v1, v38, v1
	v_ashrrev_i32_e32 v13, 9, v1
	v_ashrrev_i32_e32 v11, 31, v10
	v_sub_u32_e32 v14, v13, v0
	s_waitcnt lgkmcnt(0)
	v_add_co_u32_e32 v0, vcc, v2, v10
	v_addc_co_u32_e32 v1, vcc, v3, v11, vcc
	v_cmp_lt_i32_e32 vcc, 0, v14
	s_mov_b64 s[28:29], 0
	v_mov_b32_e32 v9, 0
	v_mov_b32_e32 v23, 0
	v_mov_b32_e32 v15, 0
	v_mov_b32_e32 v5, 0
	v_mov_b32_e32 v26, 0
	v_mov_b32_e32 v24, 0
	v_mov_b32_e32 v18, 0
	v_mov_b32_e32 v8, 0
	s_and_saveexec_b64 s[30:31], vcc
	s_cbranch_execz .LBB8_1770
; %bb.1731:                             ;   in Loop: Header=BB8_907 Depth=2
	s_trap 2
	ds_read_b128 v[18:21], v0
	v_cmp_eq_u16_sdwa s[28:29], v12, v42 src0_sel:BYTE_0 src1_sel:DWORD
	s_mov_b64 s[60:61], 0
	s_mov_b64 s[58:59], 0
                                        ; implicit-def: $sgpr34_sgpr35
                                        ; implicit-def: $vgpr27
                                        ; implicit-def: $vgpr25
                                        ; implicit-def: $vgpr22
                                        ; implicit-def: $vgpr15
	s_waitcnt lgkmcnt(0)
	v_add_co_u32_e32 v8, vcc, v18, v10
	v_addc_co_u32_e32 v9, vcc, v19, v11, vcc
	v_add_co_u32_e32 v10, vcc, v20, v10
	v_addc_co_u32_e32 v11, vcc, v21, v11, vcc
                                        ; implicit-def: $vgpr21
                                        ; implicit-def: $vgpr18
                                        ; implicit-def: $vgpr19
                                        ; implicit-def: $vgpr20
	s_branch .LBB8_1733
.LBB8_1732:                             ;   in Loop: Header=BB8_1733 Depth=3
	s_or_b64 exec, exec, s[62:63]
	v_accvgpr_read_b32 v24, a44
	flat_store_short_d16_hi v[0:1], v29 glc slc
	flat_store_short_d16_hi v[0:1], v30 offset:128 glc slc
	flat_store_short_d16_hi v[0:1], v5 offset:256 glc slc
	;; [unrolled: 1-line block ×3, first 2 shown]
	v_add_co_u32_e32 v5, vcc, v8, v24
	v_accvgpr_read_b32 v29, a45
	v_addc_co_u32_e32 v23, vcc, v9, v29, vcc
	v_add_co_u32_e32 v24, vcc, v10, v24
	v_addc_co_u32_e32 v26, vcc, v11, v29, vcc
	v_accvgpr_read_b32 v29, a46
	v_mov_b32_e32 v30, 0x200
	v_accvgpr_read_b32 v28, a47
	v_cndmask_b32_e64 v29, v30, v29, s[60:61]
	v_cndmask_b32_e64 v10, v10, v24, s[60:61]
	v_accvgpr_read_b32 v24, a20
	v_cndmask_b32_e64 v28, 0, v28, s[60:61]
	v_add_co_u32_e32 v0, vcc, v0, v29
	v_cndmask_b32_e64 v8, v8, v5, s[60:61]
	v_cndmask_b32_e64 v5, 0, v24, s[60:61]
	v_addc_co_u32_e32 v1, vcc, v1, v28, vcc
	v_sub_u32_e32 v14, v14, v5
	v_cmp_gt_i32_e32 vcc, 1, v14
	s_or_b64 s[58:59], vcc, s[58:59]
	s_andn2_b64 vcc, s[34:35], exec
	s_and_b64 s[34:35], s[60:61], exec
	v_cndmask_b32_e64 v9, v9, v23, s[60:61]
	v_cndmask_b32_e64 v11, v11, v26, s[60:61]
	s_or_b64 s[34:35], vcc, s[34:35]
	s_andn2_b64 exec, exec, s[58:59]
	s_cbranch_execz .LBB8_1769
.LBB8_1733:                             ;   Parent Loop BB8_47 Depth=1
                                        ;     Parent Loop BB8_907 Depth=2
                                        ; =>    This Inner Loop Header: Depth=3
	flat_load_ushort v29, v[8:9] glc slc
	flat_load_ushort v30, v[8:9] offset:128 glc slc
	flat_load_ushort v5, v[8:9] offset:256 glc slc
	;; [unrolled: 1-line block ×3, first 2 shown]
	flat_load_ushort v32, v[10:11] glc slc
	flat_load_ushort v31, v[10:11] offset:128 glc slc
	flat_load_ushort v26, v[10:11] offset:256 glc slc
	;; [unrolled: 1-line block ×3, first 2 shown]
	s_and_saveexec_b64 s[62:63], s[60:61]
	s_cbranch_execz .LBB8_1751
; %bb.1734:                             ;   in Loop: Header=BB8_1733 Depth=3
	v_lshlrev_b32_e32 v27, 16, v27
	v_lshlrev_b32_e32 v28, 16, v15
	v_max_f32_e32 v28, v28, v28
	v_max_f32_e32 v27, v27, v27
	v_min_f32_e32 v33, v27, v28
	v_max_f32_e32 v27, v27, v28
	v_cndmask_b32_e64 v33, v27, v33, s[28:29]
	v_and_b32_e32 v27, 0x7f800000, v33
	v_cmp_ne_u32_e32 vcc, s91, v27
                                        ; implicit-def: $vgpr27
	s_and_saveexec_b64 s[60:61], vcc
	s_xor_b64 vcc, exec, s[60:61]
; %bb.1735:                             ;   in Loop: Header=BB8_1733 Depth=3
	v_bfe_u32 v27, v33, 16, 1
	v_add3_u32 v27, v33, v27, s92
                                        ; implicit-def: $vgpr33
; %bb.1736:                             ;   in Loop: Header=BB8_1733 Depth=3
	s_andn2_saveexec_b64 s[60:61], vcc
; %bb.1737:                             ;   in Loop: Header=BB8_1733 Depth=3
	v_or_b32_e32 v27, 0x10000, v33
	v_cmp_eq_u32_sdwa vcc, v33, v42 src0_sel:WORD_0 src1_sel:DWORD
	v_cndmask_b32_e32 v27, v27, v33, vcc
; %bb.1738:                             ;   in Loop: Header=BB8_1733 Depth=3
	s_or_b64 exec, exec, s[60:61]
	v_lshlrev_b32_e32 v25, 16, v25
	v_lshlrev_b32_e32 v28, 16, v18
	v_max_f32_e32 v28, v28, v28
	v_max_f32_e32 v25, v25, v25
	v_min_f32_e32 v33, v25, v28
	v_max_f32_e32 v25, v25, v28
	v_cndmask_b32_e64 v33, v25, v33, s[28:29]
	v_and_b32_e32 v25, 0x7f800000, v33
	v_cmp_ne_u32_e32 vcc, s91, v25
                                        ; implicit-def: $vgpr25
	s_and_saveexec_b64 s[60:61], vcc
	s_xor_b64 vcc, exec, s[60:61]
; %bb.1739:                             ;   in Loop: Header=BB8_1733 Depth=3
	v_bfe_u32 v25, v33, 16, 1
	v_add3_u32 v25, v33, v25, s92
                                        ; implicit-def: $vgpr33
; %bb.1740:                             ;   in Loop: Header=BB8_1733 Depth=3
	s_andn2_saveexec_b64 s[60:61], vcc
; %bb.1741:                             ;   in Loop: Header=BB8_1733 Depth=3
	v_or_b32_e32 v25, 0x10000, v33
	v_cmp_eq_u32_sdwa vcc, v33, v42 src0_sel:WORD_0 src1_sel:DWORD
	v_cndmask_b32_e32 v25, v25, v33, vcc
; %bb.1742:                             ;   in Loop: Header=BB8_1733 Depth=3
	s_or_b64 exec, exec, s[60:61]
	v_lshlrev_b32_e32 v22, 16, v22
	v_lshlrev_b32_e32 v28, 16, v19
	v_max_f32_e32 v28, v28, v28
	v_max_f32_e32 v22, v22, v22
	v_min_f32_e32 v33, v22, v28
	v_max_f32_e32 v22, v22, v28
	v_cndmask_b32_e64 v33, v22, v33, s[28:29]
	v_and_b32_e32 v22, 0x7f800000, v33
	v_cmp_ne_u32_e32 vcc, s91, v22
                                        ; implicit-def: $vgpr22
	s_and_saveexec_b64 s[60:61], vcc
	s_xor_b64 vcc, exec, s[60:61]
; %bb.1743:                             ;   in Loop: Header=BB8_1733 Depth=3
	v_bfe_u32 v22, v33, 16, 1
	v_add3_u32 v22, v33, v22, s92
                                        ; implicit-def: $vgpr33
; %bb.1744:                             ;   in Loop: Header=BB8_1733 Depth=3
	s_andn2_saveexec_b64 s[60:61], vcc
; %bb.1745:                             ;   in Loop: Header=BB8_1733 Depth=3
	v_or_b32_e32 v22, 0x10000, v33
	v_cmp_eq_u32_sdwa vcc, v33, v42 src0_sel:WORD_0 src1_sel:DWORD
	v_cndmask_b32_e32 v22, v22, v33, vcc
; %bb.1746:                             ;   in Loop: Header=BB8_1733 Depth=3
	s_or_b64 exec, exec, s[60:61]
	v_lshlrev_b32_e32 v21, 16, v21
	v_lshlrev_b32_e32 v28, 16, v20
	v_max_f32_e32 v28, v28, v28
	v_max_f32_e32 v21, v21, v21
	v_min_f32_e32 v33, v21, v28
	v_max_f32_e32 v21, v21, v28
	v_cndmask_b32_e64 v33, v21, v33, s[28:29]
	v_and_b32_e32 v21, 0x7f800000, v33
	v_cmp_ne_u32_e32 vcc, s91, v21
                                        ; implicit-def: $vgpr21
	s_and_saveexec_b64 s[60:61], vcc
	s_xor_b64 vcc, exec, s[60:61]
; %bb.1747:                             ;   in Loop: Header=BB8_1733 Depth=3
	v_bfe_u32 v21, v33, 16, 1
	v_add3_u32 v21, v33, v21, s92
                                        ; implicit-def: $vgpr33
; %bb.1748:                             ;   in Loop: Header=BB8_1733 Depth=3
	s_andn2_saveexec_b64 s[60:61], vcc
; %bb.1749:                             ;   in Loop: Header=BB8_1733 Depth=3
	v_or_b32_e32 v21, 0x10000, v33
	v_cmp_eq_u32_sdwa vcc, v33, v42 src0_sel:WORD_0 src1_sel:DWORD
	v_cndmask_b32_e32 v21, v21, v33, vcc
; %bb.1750:                             ;   in Loop: Header=BB8_1733 Depth=3
	s_or_b64 exec, exec, s[60:61]
	v_lshrrev_b32_e32 v27, 16, v27
	v_accvgpr_read_b32 v28, a46
	v_lshrrev_b32_e32 v22, 16, v22
	v_lshrrev_b32_e32 v25, 16, v25
	;; [unrolled: 1-line block ×3, first 2 shown]
	flat_store_short v[0:1], v27 glc slc
	flat_store_short v[0:1], v25 offset:128 glc slc
	flat_store_short v[0:1], v22 offset:256 glc slc
	;; [unrolled: 1-line block ×3, first 2 shown]
	v_add_co_u32_e32 v0, vcc, v0, v28
	v_accvgpr_read_b32 v28, a47
	v_addc_co_u32_e32 v1, vcc, v1, v28, vcc
.LBB8_1751:                             ;   in Loop: Header=BB8_1733 Depth=3
	s_or_b64 exec, exec, s[62:63]
	v_accvgpr_read_b32 v28, a46
	v_add_co_u32_e32 v8, vcc, v8, v28
	v_accvgpr_read_b32 v33, a47
	v_addc_co_u32_e32 v9, vcc, v9, v33, vcc
	v_add_co_u32_e32 v10, vcc, v10, v28
	v_accvgpr_read_b32 v28, a20
	v_sub_u32_e32 v14, v14, v28
	v_addc_co_u32_e32 v11, vcc, v11, v33, vcc
	v_cmp_lt_i32_e64 s[60:61], 0, v14
	s_and_saveexec_b64 s[62:63], s[60:61]
	s_cbranch_execz .LBB8_1753
; %bb.1752:                             ;   in Loop: Header=BB8_1733 Depth=3
	flat_load_ushort v27, v[8:9] glc slc
	flat_load_ushort v25, v[8:9] offset:128 glc slc
	flat_load_ushort v22, v[8:9] offset:256 glc slc
	;; [unrolled: 1-line block ×3, first 2 shown]
	flat_load_ushort v15, v[10:11] glc slc
	flat_load_ushort v18, v[10:11] offset:128 glc slc
	flat_load_ushort v19, v[10:11] offset:256 glc slc
	;; [unrolled: 1-line block ×3, first 2 shown]
	v_add_co_u32_e32 v8, vcc, 0x200, v8
	v_addc_co_u32_e32 v9, vcc, 0, v9, vcc
	v_add_co_u32_e32 v10, vcc, 0x200, v10
	v_addc_co_u32_e32 v11, vcc, 0, v11, vcc
.LBB8_1753:                             ;   in Loop: Header=BB8_1733 Depth=3
	s_or_b64 exec, exec, s[62:63]
	s_waitcnt vmcnt(0) lgkmcnt(0)
	v_lshlrev_b32_e32 v28, 16, v29
	v_lshlrev_b32_e32 v29, 16, v32
	v_max_f32_e32 v29, v29, v29
	v_max_f32_e32 v28, v28, v28
	v_min_f32_e32 v32, v28, v29
	v_max_f32_e32 v28, v28, v29
	v_cndmask_b32_e64 v32, v28, v32, s[28:29]
	v_and_b32_e32 v28, 0x7f800000, v32
	v_cmp_ne_u32_e32 vcc, s91, v28
                                        ; implicit-def: $vgpr29
	s_and_saveexec_b64 s[62:63], vcc
	s_xor_b64 vcc, exec, s[62:63]
; %bb.1754:                             ;   in Loop: Header=BB8_1733 Depth=3
	v_bfe_u32 v28, v32, 16, 1
	v_add3_u32 v29, v32, v28, s92
                                        ; implicit-def: $vgpr32
; %bb.1755:                             ;   in Loop: Header=BB8_1733 Depth=3
	s_andn2_saveexec_b64 s[62:63], vcc
; %bb.1756:                             ;   in Loop: Header=BB8_1733 Depth=3
	v_or_b32_e32 v28, 0x10000, v32
	v_cmp_eq_u32_sdwa vcc, v32, v42 src0_sel:WORD_0 src1_sel:DWORD
	v_cndmask_b32_e32 v29, v28, v32, vcc
; %bb.1757:                             ;   in Loop: Header=BB8_1733 Depth=3
	s_or_b64 exec, exec, s[62:63]
	v_lshlrev_b32_e32 v28, 16, v30
	v_lshlrev_b32_e32 v30, 16, v31
	v_max_f32_e32 v30, v30, v30
	v_max_f32_e32 v28, v28, v28
	v_min_f32_e32 v31, v28, v30
	v_max_f32_e32 v28, v28, v30
	v_cndmask_b32_e64 v31, v28, v31, s[28:29]
	v_and_b32_e32 v28, 0x7f800000, v31
	v_cmp_ne_u32_e32 vcc, s91, v28
                                        ; implicit-def: $vgpr30
	s_and_saveexec_b64 s[62:63], vcc
	s_xor_b64 vcc, exec, s[62:63]
; %bb.1758:                             ;   in Loop: Header=BB8_1733 Depth=3
	v_bfe_u32 v28, v31, 16, 1
	v_add3_u32 v30, v31, v28, s92
                                        ; implicit-def: $vgpr31
; %bb.1759:                             ;   in Loop: Header=BB8_1733 Depth=3
	s_andn2_saveexec_b64 s[62:63], vcc
; %bb.1760:                             ;   in Loop: Header=BB8_1733 Depth=3
	v_or_b32_e32 v28, 0x10000, v31
	v_cmp_eq_u32_sdwa vcc, v31, v42 src0_sel:WORD_0 src1_sel:DWORD
	v_cndmask_b32_e32 v30, v28, v31, vcc
; %bb.1761:                             ;   in Loop: Header=BB8_1733 Depth=3
	s_or_b64 exec, exec, s[62:63]
	v_lshlrev_b32_e32 v5, 16, v5
	v_lshlrev_b32_e32 v26, 16, v26
	v_max_f32_e32 v26, v26, v26
	v_max_f32_e32 v5, v5, v5
	v_min_f32_e32 v28, v5, v26
	v_max_f32_e32 v5, v5, v26
	v_cndmask_b32_e64 v26, v5, v28, s[28:29]
	v_and_b32_e32 v5, 0x7f800000, v26
	v_cmp_ne_u32_e32 vcc, s91, v5
                                        ; implicit-def: $vgpr5
	s_and_saveexec_b64 s[62:63], vcc
	s_xor_b64 vcc, exec, s[62:63]
; %bb.1762:                             ;   in Loop: Header=BB8_1733 Depth=3
	v_bfe_u32 v5, v26, 16, 1
	v_add3_u32 v5, v26, v5, s92
                                        ; implicit-def: $vgpr26
; %bb.1763:                             ;   in Loop: Header=BB8_1733 Depth=3
	s_andn2_saveexec_b64 s[62:63], vcc
; %bb.1764:                             ;   in Loop: Header=BB8_1733 Depth=3
	v_or_b32_e32 v5, 0x10000, v26
	v_cmp_eq_u32_sdwa vcc, v26, v42 src0_sel:WORD_0 src1_sel:DWORD
	v_cndmask_b32_e32 v5, v5, v26, vcc
; %bb.1765:                             ;   in Loop: Header=BB8_1733 Depth=3
	s_or_b64 exec, exec, s[62:63]
	v_lshlrev_b32_e32 v23, 16, v23
	v_lshlrev_b32_e32 v24, 16, v24
	v_max_f32_e32 v24, v24, v24
	v_max_f32_e32 v23, v23, v23
	v_min_f32_e32 v26, v23, v24
	v_max_f32_e32 v23, v23, v24
	v_cndmask_b32_e64 v24, v23, v26, s[28:29]
	v_and_b32_e32 v23, 0x7f800000, v24
	v_cmp_ne_u32_e32 vcc, s91, v23
                                        ; implicit-def: $vgpr23
	s_and_saveexec_b64 s[62:63], vcc
	s_xor_b64 vcc, exec, s[62:63]
; %bb.1766:                             ;   in Loop: Header=BB8_1733 Depth=3
	v_bfe_u32 v23, v24, 16, 1
	v_add3_u32 v23, v24, v23, s92
                                        ; implicit-def: $vgpr24
; %bb.1767:                             ;   in Loop: Header=BB8_1733 Depth=3
	s_andn2_saveexec_b64 s[62:63], vcc
	s_cbranch_execz .LBB8_1732
; %bb.1768:                             ;   in Loop: Header=BB8_1733 Depth=3
	v_or_b32_e32 v23, 0x10000, v24
	v_cmp_eq_u32_sdwa vcc, v24, v42 src0_sel:WORD_0 src1_sel:DWORD
	v_cndmask_b32_e32 v23, v23, v24, vcc
	s_branch .LBB8_1732
.LBB8_1769:                             ;   in Loop: Header=BB8_907 Depth=2
	s_or_b64 exec, exec, s[58:59]
	v_lshlrev_b32_e32 v9, 16, v27
	v_lshlrev_b32_e32 v26, 16, v15
	;; [unrolled: 1-line block ×8, first 2 shown]
	s_and_b64 s[28:29], s[34:35], exec
.LBB8_1770:                             ;   in Loop: Header=BB8_907 Depth=2
	s_or_b64 exec, exec, s[30:31]
	s_and_saveexec_b64 s[30:31], s[28:29]
	s_cbranch_execz .LBB8_1788
; %bb.1771:                             ;   in Loop: Header=BB8_907 Depth=2
	v_max_f32_e32 v10, v26, v26
	v_max_f32_e32 v9, v9, v9
	v_min_f32_e32 v11, v9, v10
	v_max_f32_e32 v9, v9, v10
	v_cmp_eq_u16_sdwa vcc, v12, v42 src0_sel:BYTE_0 src1_sel:DWORD
	v_cndmask_b32_e32 v10, v9, v11, vcc
	v_and_b32_e32 v9, 0x7f800000, v10
	v_cmp_ne_u32_e64 s[28:29], s91, v9
                                        ; implicit-def: $vgpr9
	s_and_saveexec_b64 s[34:35], s[28:29]
	s_xor_b64 s[28:29], exec, s[34:35]
; %bb.1772:                             ;   in Loop: Header=BB8_907 Depth=2
	v_bfe_u32 v9, v10, 16, 1
	v_add3_u32 v9, v10, v9, s92
                                        ; implicit-def: $vgpr10
; %bb.1773:                             ;   in Loop: Header=BB8_907 Depth=2
	s_andn2_saveexec_b64 s[34:35], s[28:29]
; %bb.1774:                             ;   in Loop: Header=BB8_907 Depth=2
	v_or_b32_e32 v9, 0x10000, v10
	v_cmp_eq_u32_sdwa s[28:29], v10, v42 src0_sel:WORD_0 src1_sel:DWORD
	v_cndmask_b32_e64 v9, v9, v10, s[28:29]
; %bb.1775:                             ;   in Loop: Header=BB8_907 Depth=2
	s_or_b64 exec, exec, s[34:35]
	v_max_f32_e32 v10, v24, v24
	v_max_f32_e32 v11, v23, v23
	v_min_f32_e32 v19, v11, v10
	v_max_f32_e32 v10, v11, v10
	v_cndmask_b32_e32 v11, v10, v19, vcc
	v_and_b32_e32 v10, 0x7f800000, v11
	v_cmp_ne_u32_e64 s[28:29], s91, v10
                                        ; implicit-def: $vgpr10
	s_and_saveexec_b64 s[34:35], s[28:29]
	s_xor_b64 s[28:29], exec, s[34:35]
; %bb.1776:                             ;   in Loop: Header=BB8_907 Depth=2
	v_bfe_u32 v10, v11, 16, 1
	v_add3_u32 v10, v11, v10, s92
                                        ; implicit-def: $vgpr11
; %bb.1777:                             ;   in Loop: Header=BB8_907 Depth=2
	s_andn2_saveexec_b64 s[34:35], s[28:29]
; %bb.1778:                             ;   in Loop: Header=BB8_907 Depth=2
	v_or_b32_e32 v10, 0x10000, v11
	v_cmp_eq_u32_sdwa s[28:29], v11, v42 src0_sel:WORD_0 src1_sel:DWORD
	v_cndmask_b32_e64 v10, v10, v11, s[28:29]
; %bb.1779:                             ;   in Loop: Header=BB8_907 Depth=2
	s_or_b64 exec, exec, s[34:35]
	v_max_f32_e32 v11, v18, v18
	v_max_f32_e32 v15, v15, v15
	v_min_f32_e32 v18, v15, v11
	v_max_f32_e32 v11, v15, v11
	v_cndmask_b32_e32 v15, v11, v18, vcc
	v_and_b32_e32 v11, 0x7f800000, v15
	v_cmp_ne_u32_e64 s[28:29], s91, v11
                                        ; implicit-def: $vgpr11
	s_and_saveexec_b64 s[34:35], s[28:29]
	s_xor_b64 s[28:29], exec, s[34:35]
; %bb.1780:                             ;   in Loop: Header=BB8_907 Depth=2
	v_bfe_u32 v11, v15, 16, 1
	v_add3_u32 v11, v15, v11, s92
                                        ; implicit-def: $vgpr15
; %bb.1781:                             ;   in Loop: Header=BB8_907 Depth=2
	s_andn2_saveexec_b64 s[34:35], s[28:29]
; %bb.1782:                             ;   in Loop: Header=BB8_907 Depth=2
	v_or_b32_e32 v11, 0x10000, v15
	v_cmp_eq_u32_sdwa s[28:29], v15, v42 src0_sel:WORD_0 src1_sel:DWORD
	v_cndmask_b32_e64 v11, v11, v15, s[28:29]
; %bb.1783:                             ;   in Loop: Header=BB8_907 Depth=2
	s_or_b64 exec, exec, s[34:35]
	v_max_f32_e32 v8, v8, v8
	v_max_f32_e32 v5, v5, v5
	v_min_f32_e32 v15, v5, v8
	v_max_f32_e32 v5, v5, v8
	v_cndmask_b32_e32 v8, v5, v15, vcc
	v_and_b32_e32 v5, 0x7f800000, v8
	v_cmp_ne_u32_e32 vcc, s91, v5
                                        ; implicit-def: $vgpr5
	s_and_saveexec_b64 s[28:29], vcc
	s_xor_b64 s[28:29], exec, s[28:29]
; %bb.1784:                             ;   in Loop: Header=BB8_907 Depth=2
	v_bfe_u32 v5, v8, 16, 1
	v_add3_u32 v5, v8, v5, s92
                                        ; implicit-def: $vgpr8
; %bb.1785:                             ;   in Loop: Header=BB8_907 Depth=2
	s_andn2_saveexec_b64 s[28:29], s[28:29]
; %bb.1786:                             ;   in Loop: Header=BB8_907 Depth=2
	v_or_b32_e32 v5, 0x10000, v8
	v_cmp_eq_u32_sdwa vcc, v8, v42 src0_sel:WORD_0 src1_sel:DWORD
	v_cndmask_b32_e32 v5, v5, v8, vcc
; %bb.1787:                             ;   in Loop: Header=BB8_907 Depth=2
	s_or_b64 exec, exec, s[28:29]
	flat_store_short_d16_hi v[0:1], v9 glc slc
	flat_store_short_d16_hi v[0:1], v10 offset:128 glc slc
	flat_store_short_d16_hi v[0:1], v11 offset:256 glc slc
	;; [unrolled: 1-line block ×3, first 2 shown]
.LBB8_1788:                             ;   in Loop: Header=BB8_907 Depth=2
	s_or_b64 exec, exec, s[30:31]
	v_lshlrev_b32_e32 v0, 9, v13
	v_cmp_ne_u32_e32 vcc, v38, v0
	s_and_saveexec_b64 s[58:59], vcc
	s_cbranch_execz .LBB8_1814
; %bb.1789:                             ;   in Loop: Header=BB8_907 Depth=2
	v_lshlrev_b32_e32 v1, 6, v14
	v_sub_u32_e32 v1, v17, v1
	v_ashrrev_i32_e32 v5, 31, v1
	v_lshrrev_b32_e32 v5, 26, v5
	v_add_u32_e32 v5, v1, v5
	v_and_b32_e32 v8, 0x7fffffc0, v5
	v_sub_u32_e32 v1, v1, v8
	v_lshlrev_b32_e32 v5, 1, v5
	v_and_b32_e32 v5, 0xffffff80, v5
	v_lshlrev_b32_e32 v1, 1, v1
	v_add3_u32 v0, v5, v1, v0
	v_add_u32_e32 v8, v0, v16
	v_ashrrev_i32_e32 v1, 31, v8
	v_add_co_u32_e32 v10, vcc, v8, v2
	v_sub_u32_e32 v5, v38, v0
	v_addc_co_u32_e32 v11, vcc, v1, v3, vcc
	v_cmp_lt_i32_e32 vcc, 1, v5
	s_mov_b64 s[28:29], 0
	s_and_saveexec_b64 s[60:61], vcc
	s_cbranch_execz .LBB8_1808
; %bb.1790:                             ;   in Loop: Header=BB8_907 Depth=2
	s_trap 2
	ds_read_b128 v[14:17], v0
	v_cmp_eq_u16_sdwa s[28:29], v12, v42 src0_sel:BYTE_0 src1_sel:DWORD
	s_mov_b64 s[66:67], 0
	s_mov_b64 s[62:63], 0
                                        ; implicit-def: $sgpr64_sgpr65
	s_waitcnt lgkmcnt(0)
	v_add_co_u32_e32 v0, vcc, v14, v8
	v_addc_co_u32_e32 v9, vcc, v15, v1, vcc
	v_add_co_u32_e32 v2, vcc, v16, v8
	v_addc_co_u32_e32 v3, vcc, v17, v1, vcc
	s_branch .LBB8_1792
.LBB8_1791:                             ;   in Loop: Header=BB8_1792 Depth=3
	s_or_b64 exec, exec, s[30:31]
	v_lshrrev_b32_e32 v5, 16, v8
	v_accvgpr_read_b32 v14, a34
	buffer_store_short v5, off, s[0:3], s33 offset:192
	flat_store_short v[10:11], v5 glc slc
	v_accvgpr_read_b32 v15, a35
	v_add_co_u32_e32 v5, vcc, v0, v14
	v_addc_co_u32_e32 v8, vcc, v9, v15, vcc
	v_add_co_u32_e32 v13, vcc, v2, v14
	v_accvgpr_read_b32 v16, a42
	v_mov_b32_e32 v17, 0x80
	v_addc_co_u32_e32 v14, vcc, v3, v15, vcc
	v_accvgpr_read_b32 v15, a43
	v_cndmask_b32_e64 v16, v17, v16, s[66:67]
	v_cndmask_b32_e64 v0, v0, v5, s[66:67]
	v_accvgpr_read_b32 v5, a31
	v_cndmask_b32_e64 v15, 0, v15, s[66:67]
	v_add_co_u32_e32 v10, vcc, v10, v16
	v_cndmask_b32_e64 v5, 0, v5, s[66:67]
	v_addc_co_u32_e32 v11, vcc, v11, v15, vcc
	v_sub_u32_e32 v5, v1, v5
	v_cmp_gt_i32_e32 vcc, 2, v5
	s_or_b64 s[62:63], vcc, s[62:63]
	s_andn2_b64 vcc, s[64:65], exec
	s_and_b64 s[30:31], s[66:67], exec
	v_cndmask_b32_e64 v3, v3, v14, s[66:67]
	v_cndmask_b32_e64 v2, v2, v13, s[66:67]
	;; [unrolled: 1-line block ×3, first 2 shown]
	s_or_b64 s[64:65], vcc, s[30:31]
	s_andn2_b64 exec, exec, s[62:63]
	s_cbranch_execz .LBB8_1807
.LBB8_1792:                             ;   Parent Loop BB8_47 Depth=1
                                        ;     Parent Loop BB8_907 Depth=2
                                        ; =>    This Loop Header: Depth=3
                                        ;         Child Loop BB8_1793 Depth 4
                                        ;         Child Loop BB8_1802 Depth 4
	v_lshrrev_b32_e64 v1, 6, s33
	v_add_u32_e32 v1, 0xc0, v1
	s_mov_b64 s[68:69], -1
	s_mov_b64 s[70:71], 0
.LBB8_1793:                             ;   Parent Loop BB8_47 Depth=1
                                        ;     Parent Loop BB8_907 Depth=2
                                        ;       Parent Loop BB8_1792 Depth=3
                                        ; =>      This Inner Loop Header: Depth=4
	s_cmp_eq_u32 s70, 1
	s_cselect_b64 s[30:31], -1, 0
	v_cndmask_b32_e64 v15, v9, v3, s[30:31]
	v_cndmask_b32_e64 v14, v0, v2, s[30:31]
	flat_load_ushort v8, v[14:15] glc slc
	v_add_co_u32_e32 v13, vcc, 0x80, v14
	s_cmp_eq_u32 s70, 0
	v_addc_co_u32_e32 v14, vcc, 0, v15, vcc
	s_cselect_b64 vcc, -1, 0
	s_and_b64 s[34:35], exec, s[68:69]
	s_mov_b64 s[70:71], 1
	v_cndmask_b32_e64 v2, v2, v13, s[30:31]
	s_mov_b64 s[68:69], 0
	v_cndmask_b32_e64 v3, v3, v14, s[30:31]
	v_cndmask_b32_e32 v9, v9, v14, vcc
	v_cndmask_b32_e32 v0, v0, v13, vcc
	s_mov_b64 vcc, s[34:35]
	s_waitcnt vmcnt(0) lgkmcnt(0)
	buffer_store_short v8, v1, s[0:3], 0 offen
	v_lshrrev_b32_e64 v1, 6, s33
	v_add_u32_e32 v1, 0xe0, v1
	s_cbranch_vccnz .LBB8_1793
; %bb.1794:                             ;   in Loop: Header=BB8_1792 Depth=3
	s_and_saveexec_b64 s[30:31], s[66:67]
	s_cbranch_execz .LBB8_1800
; %bb.1795:                             ;   in Loop: Header=BB8_1792 Depth=3
	buffer_load_ushort v1, off, s[0:3], s33 offset:188
	buffer_load_ushort v8, off, s[0:3], s33 offset:190
	s_waitcnt vmcnt(1)
	v_lshlrev_b32_e32 v1, 16, v1
	s_waitcnt vmcnt(0)
	v_lshlrev_b32_e32 v8, 16, v8
	v_max_f32_e32 v8, v8, v8
	v_max_f32_e32 v1, v1, v1
	v_min_f32_e32 v13, v1, v8
	v_max_f32_e32 v1, v1, v8
	v_cndmask_b32_e64 v1, v1, v13, s[28:29]
	v_and_b32_e32 v8, 0x7f800000, v1
	v_cmp_ne_u32_e32 vcc, s91, v8
                                        ; implicit-def: $vgpr8
	s_and_saveexec_b64 s[34:35], vcc
	s_xor_b64 vcc, exec, s[34:35]
; %bb.1796:                             ;   in Loop: Header=BB8_1792 Depth=3
	v_bfe_u32 v8, v1, 16, 1
	v_add3_u32 v8, v1, v8, s92
                                        ; implicit-def: $vgpr1
; %bb.1797:                             ;   in Loop: Header=BB8_1792 Depth=3
	s_andn2_saveexec_b64 s[34:35], vcc
; %bb.1798:                             ;   in Loop: Header=BB8_1792 Depth=3
	v_or_b32_e32 v8, 0x10000, v1
	v_cmp_eq_u32_sdwa vcc, v1, v42 src0_sel:WORD_0 src1_sel:DWORD
	v_cndmask_b32_e32 v8, v8, v1, vcc
; %bb.1799:                             ;   in Loop: Header=BB8_1792 Depth=3
	s_or_b64 exec, exec, s[34:35]
	v_lshrrev_b32_e32 v1, 16, v8
	buffer_store_short v1, off, s[0:3], s33 offset:188
	flat_store_short v[10:11], v1 glc slc
	v_accvgpr_read_b32 v1, a42
	v_add_co_u32_e32 v10, vcc, v10, v1
	v_accvgpr_read_b32 v1, a43
	v_addc_co_u32_e32 v11, vcc, v11, v1, vcc
.LBB8_1800:                             ;   in Loop: Header=BB8_1792 Depth=3
	s_or_b64 exec, exec, s[30:31]
	v_accvgpr_read_b32 v14, a34
	v_accvgpr_read_b32 v15, a35
	v_add_co_u32_e32 v0, vcc, v0, v14
	v_addc_co_u32_e32 v9, vcc, v9, v15, vcc
	v_accvgpr_read_b32 v1, a31
	v_add_co_u32_e32 v2, vcc, v2, v14
	v_sub_u32_e32 v1, v5, v1
	v_addc_co_u32_e32 v3, vcc, v3, v15, vcc
	v_cmp_lt_i32_e64 s[66:67], 1, v1
	s_and_saveexec_b64 s[68:69], s[66:67]
	s_cbranch_execz .LBB8_1803
; %bb.1801:                             ;   in Loop: Header=BB8_1792 Depth=3
	v_lshrrev_b32_e64 v5, 6, s33
	v_add_u32_e32 v5, 0xbc, v5
	s_mov_b64 s[72:73], 0
	s_mov_b64 s[70:71], -1
.LBB8_1802:                             ;   Parent Loop BB8_47 Depth=1
                                        ;     Parent Loop BB8_907 Depth=2
                                        ;       Parent Loop BB8_1792 Depth=3
                                        ; =>      This Inner Loop Header: Depth=4
	s_cmp_eq_u32 s72, 1
	s_cselect_b64 s[30:31], -1, 0
	v_cndmask_b32_e64 v15, v9, v3, s[30:31]
	v_cndmask_b32_e64 v14, v0, v2, s[30:31]
	flat_load_ushort v8, v[14:15] glc slc
	v_add_co_u32_e32 v13, vcc, 0x80, v14
	s_cmp_eq_u32 s72, 0
	v_addc_co_u32_e32 v14, vcc, 0, v15, vcc
	s_cselect_b64 vcc, -1, 0
	s_and_b64 s[34:35], exec, s[70:71]
	s_mov_b64 s[72:73], 1
	v_cndmask_b32_e64 v2, v2, v13, s[30:31]
	s_mov_b64 s[70:71], 0
	v_cndmask_b32_e32 v9, v9, v14, vcc
	v_cndmask_b32_e32 v0, v0, v13, vcc
	v_cndmask_b32_e64 v3, v3, v14, s[30:31]
	s_mov_b64 vcc, s[34:35]
	s_waitcnt vmcnt(0) lgkmcnt(0)
	buffer_store_short v8, v5, s[0:3], 0 offen
	v_lshrrev_b32_e64 v5, 6, s33
	v_add_u32_e32 v5, 0xbe, v5
	s_cbranch_vccnz .LBB8_1802
.LBB8_1803:                             ;   in Loop: Header=BB8_1792 Depth=3
	s_or_b64 exec, exec, s[68:69]
	buffer_load_ushort v5, off, s[0:3], s33 offset:192
	buffer_load_ushort v8, off, s[0:3], s33 offset:224
	s_waitcnt vmcnt(0)
	v_lshlrev_b32_e32 v5, 16, v5
	v_lshlrev_b32_e32 v8, 16, v8
	v_max_f32_e32 v8, v8, v8
	v_max_f32_e32 v5, v5, v5
	v_min_f32_e32 v13, v5, v8
	v_max_f32_e32 v5, v5, v8
	v_cndmask_b32_e64 v5, v5, v13, s[28:29]
	v_and_b32_e32 v8, 0x7f800000, v5
	v_cmp_ne_u32_e32 vcc, s91, v8
                                        ; implicit-def: $vgpr8
	s_and_saveexec_b64 s[30:31], vcc
	s_xor_b64 vcc, exec, s[30:31]
; %bb.1804:                             ;   in Loop: Header=BB8_1792 Depth=3
	v_bfe_u32 v8, v5, 16, 1
	v_add3_u32 v8, v5, v8, s92
                                        ; implicit-def: $vgpr5
; %bb.1805:                             ;   in Loop: Header=BB8_1792 Depth=3
	s_andn2_saveexec_b64 s[30:31], vcc
	s_cbranch_execz .LBB8_1791
; %bb.1806:                             ;   in Loop: Header=BB8_1792 Depth=3
	v_or_b32_e32 v8, 0x10000, v5
	v_cmp_eq_u32_sdwa vcc, v5, v42 src0_sel:WORD_0 src1_sel:DWORD
	v_cndmask_b32_e32 v8, v8, v5, vcc
	s_branch .LBB8_1791
.LBB8_1807:                             ;   in Loop: Header=BB8_907 Depth=2
	s_or_b64 exec, exec, s[62:63]
	s_and_b64 s[28:29], s[64:65], exec
.LBB8_1808:                             ;   in Loop: Header=BB8_907 Depth=2
	s_or_b64 exec, exec, s[60:61]
	s_and_b64 exec, exec, s[28:29]
	s_cbranch_execz .LBB8_1814
; %bb.1809:                             ;   in Loop: Header=BB8_907 Depth=2
	buffer_load_ushort v0, off, s[0:3], s33 offset:188
	buffer_load_ushort v1, off, s[0:3], s33 offset:190
	v_cmp_eq_u16_sdwa vcc, v12, v42 src0_sel:BYTE_0 src1_sel:DWORD
	s_waitcnt vmcnt(0)
	v_lshlrev_b32_e32 v0, 16, v0
	v_lshlrev_b32_e32 v1, 16, v1
	v_max_f32_e32 v1, v1, v1
	v_max_f32_e32 v0, v0, v0
	v_min_f32_e32 v2, v0, v1
	v_max_f32_e32 v0, v0, v1
	v_cndmask_b32_e32 v0, v0, v2, vcc
	v_and_b32_e32 v1, 0x7f800000, v0
	v_cmp_ne_u32_e32 vcc, s91, v1
                                        ; implicit-def: $vgpr1
	s_and_saveexec_b64 s[28:29], vcc
	s_xor_b64 s[28:29], exec, s[28:29]
; %bb.1810:                             ;   in Loop: Header=BB8_907 Depth=2
	v_bfe_u32 v1, v0, 16, 1
	v_add3_u32 v1, v0, v1, s92
                                        ; implicit-def: $vgpr0
; %bb.1811:                             ;   in Loop: Header=BB8_907 Depth=2
	s_andn2_saveexec_b64 s[28:29], s[28:29]
; %bb.1812:                             ;   in Loop: Header=BB8_907 Depth=2
	v_or_b32_e32 v1, 0x10000, v0
	v_cmp_eq_u32_sdwa vcc, v0, v42 src0_sel:WORD_0 src1_sel:DWORD
	v_cndmask_b32_e32 v1, v1, v0, vcc
; %bb.1813:                             ;   in Loop: Header=BB8_907 Depth=2
	s_or_b64 exec, exec, s[28:29]
	flat_store_short_d16_hi v[10:11], v1 glc slc
.LBB8_1814:                             ;   in Loop: Header=BB8_907 Depth=2
	s_or_b64 exec, exec, s[58:59]
.LBB8_1815:                             ;   in Loop: Header=BB8_907 Depth=2
	s_or_b64 exec, exec, s[36:37]
	v_accvgpr_read_b32 v12, a56
	v_accvgpr_read_b32 v14, a58
.LBB8_1816:                             ;   in Loop: Header=BB8_907 Depth=2
	s_and_saveexec_b64 s[28:29], s[10:11]
	s_cbranch_execz .LBB8_1835
; %bb.1817:                             ;   in Loop: Header=BB8_907 Depth=2
	s_and_saveexec_b64 vcc, s[44:45]
	s_xor_b64 s[30:31], exec, vcc
	s_cbranch_execz .LBB8_1832
; %bb.1818:                             ;   in Loop: Header=BB8_907 Depth=2
	s_and_saveexec_b64 s[34:35], s[16:17]
	s_cbranch_execz .LBB8_1831
; %bb.1819:                             ;   in Loop: Header=BB8_907 Depth=2
	s_mov_b64 s[58:59], exec
	v_mbcnt_lo_u32_b32 v0, s58, 0
	v_mbcnt_hi_u32_b32 v0, s59, v0
	v_cmp_eq_u32_e32 vcc, 0, v0
	s_waitcnt vmcnt(0) lgkmcnt(0)
	buffer_wbinvl1_vol
	s_and_saveexec_b64 s[36:37], vcc
	s_cbranch_execz .LBB8_1821
; %bb.1820:                             ;   in Loop: Header=BB8_907 Depth=2
	s_bcnt1_i32_b64 vcc_lo, s[58:59]
	v_mov_b32_e32 v0, vcc_lo
	v_mov_b32_e32 v1, v42
	ds_add_u64 v0, v[0:1]
	s_trap 2
.LBB8_1821:                             ;   in Loop: Header=BB8_907 Depth=2
	s_or_b64 exec, exec, s[36:37]
	s_trap 2
	ds_read_b64 v[0:1], v0
	v_accvgpr_read_b32 v2, a12
	v_accvgpr_read_b32 v8, a20
	;; [unrolled: 1-line block ×3, first 2 shown]
	v_add_co_u32_e32 v2, vcc, v2, v8
	v_addc_co_u32_e32 v3, vcc, 0, v3, vcc
	v_accvgpr_write_b32 a13, v3
	v_accvgpr_write_b32 a12, v2
	s_waitcnt lgkmcnt(0)
	v_cmp_lt_u64_e32 vcc, v[0:1], v[2:3]
	s_and_saveexec_b64 s[36:37], vcc
	s_cbranch_execz .LBB8_1830
; %bb.1822:                             ;   in Loop: Header=BB8_907 Depth=2
	s_mov_b32 s68, 0
	s_mov_b64 s[58:59], 0
                                        ; implicit-def: $sgpr60_sgpr61
                                        ; implicit-def: $sgpr62_sgpr63
	s_branch .LBB8_1824
.LBB8_1823:                             ;   in Loop: Header=BB8_1824 Depth=3
	s_or_b64 exec, exec, s[66:67]
	s_and_b64 vcc, exec, vcc
	s_or_b64 s[58:59], vcc, s[58:59]
	s_andn2_b64 vcc, s[60:61], exec
	s_and_b64 s[60:61], s[62:63], exec
	s_or_b64 s[60:61], vcc, s[60:61]
	s_andn2_b64 exec, exec, s[58:59]
	s_cbranch_execz .LBB8_1828
.LBB8_1824:                             ;   Parent Loop BB8_47 Depth=1
                                        ;     Parent Loop BB8_907 Depth=2
                                        ; =>    This Inner Loop Header: Depth=3
	s_add_i32 s68, s68, 1
	s_cmpk_lg_i32 s68, 0x2710
	s_cselect_b64 s[64:65], -1, 0
	s_and_b64 vcc, exec, s[64:65]
                                        ; implicit-def: $sgpr66_sgpr67
	s_cbranch_vccnz .LBB8_1826
; %bb.1825:                             ;   in Loop: Header=BB8_1824 Depth=3
	s_trap 2
	ds_read_b64 v[0:1], v0
	s_andn2_b64 s[64:65], s[64:65], exec
	s_mov_b32 s68, 0
	s_mov_b64 s[66:67], -1
	s_waitcnt lgkmcnt(0)
	flat_load_dword v0, v[0:1] glc
	s_waitcnt vmcnt(0) lgkmcnt(0)
	buffer_invl2
	buffer_wbinvl1_vol
	v_cmp_eq_u32_e32 vcc, 0, v0
	s_and_b64 vcc, vcc, exec
	s_or_b64 s[64:65], s[64:65], vcc
.LBB8_1826:                             ;   in Loop: Header=BB8_1824 Depth=3
	s_andn2_b64 s[62:63], s[62:63], exec
	s_and_b64 s[66:67], s[66:67], exec
	s_mov_b64 vcc, -1
	s_or_b64 s[62:63], s[62:63], s[66:67]
	s_and_saveexec_b64 s[66:67], s[64:65]
	s_cbranch_execz .LBB8_1823
; %bb.1827:                             ;   in Loop: Header=BB8_1824 Depth=3
	s_sleep 1
	s_trap 2
	ds_read_b64 v[0:1], v0
	v_accvgpr_read_b32 v2, a12
	v_accvgpr_read_b32 v3, a13
	s_andn2_b64 s[62:63], s[62:63], exec
	s_waitcnt lgkmcnt(0)
	v_cmp_ge_u64_e32 vcc, v[0:1], v[2:3]
	s_orn2_b64 vcc, vcc, exec
	s_branch .LBB8_1823
.LBB8_1828:                             ;   in Loop: Header=BB8_907 Depth=2
	s_or_b64 exec, exec, s[58:59]
	s_and_saveexec_b64 vcc, s[60:61]
	s_xor_b64 vcc, exec, vcc
	s_cbranch_execz .LBB8_1830
; %bb.1829:                             ;   in Loop: Header=BB8_907 Depth=2
	v_mov_b32_e32 v0, 1
	ds_write_b32 v0, v0
	s_trap 2
.LBB8_1830:                             ;   in Loop: Header=BB8_907 Depth=2
	s_or_b64 exec, exec, s[36:37]
	;;#ASMSTART
	s_wakeup
	;;#ASMEND
.LBB8_1831:                             ;   in Loop: Header=BB8_907 Depth=2
	s_or_b64 exec, exec, s[34:35]
.LBB8_1832:                             ;   in Loop: Header=BB8_907 Depth=2
	s_andn2_saveexec_b64 vcc, s[30:31]
	s_cbranch_execz .LBB8_1834
; %bb.1833:                             ;   in Loop: Header=BB8_907 Depth=2
	s_waitcnt vmcnt(0) lgkmcnt(0)
	buffer_wbinvl1_vol
	s_barrier
.LBB8_1834:                             ;   in Loop: Header=BB8_907 Depth=2
	s_or_b64 exec, exec, vcc
.LBB8_1835:                             ;   in Loop: Header=BB8_907 Depth=2
	s_or_b64 exec, exec, s[28:29]
	v_and_b32_e32 v0, 16, v62
	s_and_saveexec_b64 s[28:29], s[24:25]
	s_xor_b64 s[30:31], exec, s[28:29]
	s_cbranch_execz .LBB8_1839
; %bb.1836:                             ;   in Loop: Header=BB8_907 Depth=2
	v_and_b32_e32 v1, 16, v62
	v_cmp_lt_i32_e32 vcc, 0, v59
	v_cmp_ne_u32_e64 s[28:29], 0, v1
	v_and_b32_e32 v0, 16, v62
	s_and_b64 vcc, s[28:29], vcc
	s_and_saveexec_b64 s[28:29], vcc
	s_cbranch_execz .LBB8_1838
; %bb.1837:                             ;   in Loop: Header=BB8_907 Depth=2
	v_mov_b32_e32 v0, 1
	s_waitcnt vmcnt(0) lgkmcnt(0)
	buffer_wbinvl1_vol
.LBB8_1838:                             ;   in Loop: Header=BB8_907 Depth=2
	s_or_b64 exec, exec, s[28:29]
.LBB8_1839:                             ;   in Loop: Header=BB8_907 Depth=2
	s_andn2_saveexec_b64 s[28:29], s[30:31]
	s_cbranch_execz .LBB8_1858
; %bb.1840:                             ;   in Loop: Header=BB8_907 Depth=2
	s_and_saveexec_b64 vcc, s[44:45]
	s_xor_b64 s[30:31], exec, vcc
	s_cbranch_execz .LBB8_1855
; %bb.1841:                             ;   in Loop: Header=BB8_907 Depth=2
	s_and_saveexec_b64 s[34:35], s[16:17]
	s_cbranch_execz .LBB8_1854
; %bb.1842:                             ;   in Loop: Header=BB8_907 Depth=2
	s_mov_b64 s[58:59], exec
	v_mbcnt_lo_u32_b32 v1, s58, 0
	v_mbcnt_hi_u32_b32 v1, s59, v1
	v_cmp_eq_u32_e32 vcc, 0, v1
	;;#ASMSTART
	s_waitcnt lgkmcnt(0) vmcnt(0)
	;;#ASMEND
	s_and_saveexec_b64 s[36:37], vcc
	s_cbranch_execz .LBB8_1844
; %bb.1843:                             ;   in Loop: Header=BB8_907 Depth=2
	s_bcnt1_i32_b64 vcc_lo, s[58:59]
	v_mov_b32_e32 v2, vcc_lo
	v_mov_b32_e32 v3, v42
	ds_add_u64 v0, v[2:3]
	s_trap 2
.LBB8_1844:                             ;   in Loop: Header=BB8_907 Depth=2
	s_or_b64 exec, exec, s[36:37]
	s_trap 2
	ds_read_b64 v[2:3], v0
	v_accvgpr_read_b32 v8, a12
	v_accvgpr_read_b32 v10, a20
	;; [unrolled: 1-line block ×3, first 2 shown]
	v_add_co_u32_e32 v8, vcc, v8, v10
	v_addc_co_u32_e32 v9, vcc, 0, v9, vcc
	v_accvgpr_write_b32 a13, v9
	v_accvgpr_write_b32 a12, v8
	s_waitcnt lgkmcnt(0)
	v_cmp_lt_u64_e32 vcc, v[2:3], v[8:9]
	s_and_saveexec_b64 s[36:37], vcc
	s_cbranch_execz .LBB8_1853
; %bb.1845:                             ;   in Loop: Header=BB8_907 Depth=2
	s_mov_b32 s68, 0
	s_mov_b64 s[58:59], 0
                                        ; implicit-def: $sgpr60_sgpr61
                                        ; implicit-def: $sgpr62_sgpr63
	s_branch .LBB8_1847
.LBB8_1846:                             ;   in Loop: Header=BB8_1847 Depth=3
	s_or_b64 exec, exec, s[66:67]
	s_and_b64 vcc, exec, vcc
	s_or_b64 s[58:59], vcc, s[58:59]
	s_andn2_b64 vcc, s[60:61], exec
	s_and_b64 s[60:61], s[62:63], exec
	s_or_b64 s[60:61], vcc, s[60:61]
	s_andn2_b64 exec, exec, s[58:59]
	s_cbranch_execz .LBB8_1851
.LBB8_1847:                             ;   Parent Loop BB8_47 Depth=1
                                        ;     Parent Loop BB8_907 Depth=2
                                        ; =>    This Inner Loop Header: Depth=3
	s_add_i32 s68, s68, 1
	s_cmpk_lg_i32 s68, 0x2710
	s_cselect_b64 s[64:65], -1, 0
	s_and_b64 vcc, exec, s[64:65]
                                        ; implicit-def: $sgpr66_sgpr67
	s_cbranch_vccnz .LBB8_1849
; %bb.1848:                             ;   in Loop: Header=BB8_1847 Depth=3
	s_trap 2
	ds_read_b64 v[2:3], v0
	s_andn2_b64 s[64:65], s[64:65], exec
	s_mov_b32 s68, 0
	s_mov_b64 s[66:67], -1
	s_waitcnt vmcnt(0) lgkmcnt(0)
	flat_load_dword v1, v[2:3] glc
	s_waitcnt vmcnt(0) lgkmcnt(0)
	buffer_invl2
	buffer_wbinvl1_vol
	v_cmp_eq_u32_e32 vcc, 0, v1
	s_and_b64 vcc, vcc, exec
	s_or_b64 s[64:65], s[64:65], vcc
.LBB8_1849:                             ;   in Loop: Header=BB8_1847 Depth=3
	s_andn2_b64 s[62:63], s[62:63], exec
	s_and_b64 s[66:67], s[66:67], exec
	s_mov_b64 vcc, -1
	s_or_b64 s[62:63], s[62:63], s[66:67]
	s_and_saveexec_b64 s[66:67], s[64:65]
	s_cbranch_execz .LBB8_1846
; %bb.1850:                             ;   in Loop: Header=BB8_1847 Depth=3
	s_sleep 1
	s_trap 2
	ds_read_b64 v[2:3], v0
	v_accvgpr_read_b32 v8, a12
	v_accvgpr_read_b32 v9, a13
	s_andn2_b64 s[62:63], s[62:63], exec
	s_waitcnt lgkmcnt(0)
	v_cmp_ge_u64_e32 vcc, v[2:3], v[8:9]
	s_orn2_b64 vcc, vcc, exec
	s_branch .LBB8_1846
.LBB8_1851:                             ;   in Loop: Header=BB8_907 Depth=2
	s_or_b64 exec, exec, s[58:59]
	s_and_saveexec_b64 vcc, s[60:61]
	s_xor_b64 vcc, exec, vcc
	s_cbranch_execz .LBB8_1853
; %bb.1852:                             ;   in Loop: Header=BB8_907 Depth=2
	v_mov_b32_e32 v1, 1
	ds_write_b32 v0, v1
	s_trap 2
.LBB8_1853:                             ;   in Loop: Header=BB8_907 Depth=2
	s_or_b64 exec, exec, s[36:37]
	;;#ASMSTART
	s_wakeup
	;;#ASMEND
.LBB8_1854:                             ;   in Loop: Header=BB8_907 Depth=2
	s_or_b64 exec, exec, s[34:35]
.LBB8_1855:                             ;   in Loop: Header=BB8_907 Depth=2
	s_andn2_saveexec_b64 vcc, s[30:31]
	s_cbranch_execz .LBB8_1857
; %bb.1856:                             ;   in Loop: Header=BB8_907 Depth=2
	;;#ASMSTART
	s_waitcnt lgkmcnt(0) vmcnt(0)
	;;#ASMEND
	s_barrier
.LBB8_1857:                             ;   in Loop: Header=BB8_907 Depth=2
	s_or_b64 exec, exec, vcc
.LBB8_1858:                             ;   in Loop: Header=BB8_907 Depth=2
	s_or_b64 exec, exec, s[28:29]
	v_cmp_ne_u32_e32 vcc, 0, v0
	s_xor_b64 s[28:29], s[12:13], -1
	s_and_b64 vcc, vcc, s[28:29]
	s_and_saveexec_b64 s[28:29], vcc
	s_cbranch_execz .LBB8_1860
; %bb.1859:                             ;   in Loop: Header=BB8_907 Depth=2
	v_accvgpr_read_b32 v0, a18
	v_accvgpr_read_b32 v1, a19
	v_mov_b32_e32 v2, 1
	flat_store_dword v[0:1], v2
.LBB8_1860:                             ;   in Loop: Header=BB8_907 Depth=2
	s_or_b64 exec, exec, s[28:29]
	v_and_b32_e32 v0, 48, v62
	v_cmp_ne_u32_e32 vcc, 0, v0
	s_and_saveexec_b64 s[28:29], vcc
	s_cbranch_execz .LBB8_906
; %bb.1861:                             ;   in Loop: Header=BB8_907 Depth=2
	v_add_co_u32_e32 v44, vcc, 2, v44
	v_addc_co_u32_e32 v45, vcc, 0, v45, vcc
	flat_store_dwordx2 v[46:47], v[44:45]
	s_branch .LBB8_906
.LBB8_1862:                             ;   in Loop: Header=BB8_47 Depth=1
	s_or_b64 exec, exec, s[52:53]
	v_cmp_gt_i32_e32 vcc, 2, v2
	s_and_saveexec_b64 s[30:31], vcc
	s_cbranch_execz .LBB8_1938
.LBB8_1863:                             ;   in Loop: Header=BB8_47 Depth=1
	v_cmp_eq_u32_e64 s[28:29], 0, v2
	s_mov_b64 s[34:35], 0
	s_branch .LBB8_1865
.LBB8_1864:                             ;   in Loop: Header=BB8_1865 Depth=2
	s_or_b64 exec, exec, s[28:29]
	v_add_u32_e32 v14, v12, v14
	s_mov_b64 s[28:29], 0
	s_andn2_b64 exec, exec, s[34:35]
	s_cbranch_execz .LBB8_1939
.LBB8_1865:                             ;   Parent Loop BB8_47 Depth=1
                                        ; =>  This Loop Header: Depth=2
                                        ;       Child Loop BB8_1871 Depth 3
                                        ;       Child Loop BB8_1899 Depth 3
                                        ;       Child Loop BB8_1922 Depth 3
	v_and_b32_e32 v0, 12, v62
	s_mov_b64 s[52:53], -1
	v_cmp_ne_u32_e32 vcc, 0, v0
	s_and_saveexec_b64 s[36:37], vcc
	s_cbranch_execz .LBB8_1877
; %bb.1866:                             ;   in Loop: Header=BB8_1865 Depth=2
	v_and_b32_e32 v0, 8, v62
	v_add_co_u32_e32 v8, vcc, v60, v0
	v_addc_co_u32_e32 v9, vcc, 0, v61, vcc
	v_add_co_u32_e32 v2, vcc, 2, v44
	v_addc_co_u32_e32 v3, vcc, 0, v45, vcc
	v_cmp_lt_u64_e32 vcc, v[8:9], v[2:3]
	v_mov_b32_e32 v1, 1
	s_and_saveexec_b64 s[52:53], vcc
	s_cbranch_execz .LBB8_1876
; %bb.1867:                             ;   in Loop: Header=BB8_1865 Depth=2
	s_mov_b64 s[54:55], 0
	v_mov_b32_e32 v1, 0
                                        ; implicit-def: $sgpr56_sgpr57
	s_branch .LBB8_1871
.LBB8_1868:                             ;   in Loop: Header=BB8_1871 Depth=3
	s_or_b64 exec, exec, s[64:65]
	v_mov_b32_e32 v5, 0
	s_orn2_b64 s[62:63], s[62:63], exec
.LBB8_1869:                             ;   in Loop: Header=BB8_1871 Depth=3
	s_or_b64 exec, exec, s[60:61]
	s_andn2_b64 vcc, s[56:57], exec
	s_and_b64 s[56:57], s[62:63], exec
	s_or_b64 s[56:57], vcc, s[56:57]
	v_mov_b32_e32 v1, v5
.LBB8_1870:                             ;   in Loop: Header=BB8_1871 Depth=3
	s_or_b64 exec, exec, s[58:59]
	s_waitcnt vmcnt(0) lgkmcnt(0)
	v_add_co_u32_e32 v8, vcc, v60, v0
	v_addc_co_u32_e32 v9, vcc, 0, v61, vcc
	v_cmp_ge_u64_e32 vcc, v[8:9], v[2:3]
	s_xor_b64 s[58:59], s[56:57], -1
	s_or_b64 vcc, s[58:59], vcc
	s_and_b64 vcc, exec, vcc
	s_or_b64 s[54:55], vcc, s[54:55]
	s_andn2_b64 exec, exec, s[54:55]
	s_cbranch_execz .LBB8_1875
.LBB8_1871:                             ;   Parent Loop BB8_47 Depth=1
                                        ;     Parent Loop BB8_1865 Depth=2
                                        ; =>    This Inner Loop Header: Depth=3
	s_sleep 1
	flat_load_dwordx2 v[60:61], v[46:47] glc
	v_and_b32_e32 v5, 64, v62
	v_cmp_eq_u32_e32 vcc, 0, v5
	s_andn2_b64 s[56:57], s[56:57], exec
	s_and_saveexec_b64 s[58:59], vcc
	s_cbranch_execz .LBB8_1870
; %bb.1872:                             ;   in Loop: Header=BB8_1871 Depth=3
	v_add_u32_e32 v5, 1, v1
	v_cmp_lt_i32_e32 vcc, s89, v1
	s_mov_b64 s[62:63], -1
	s_and_saveexec_b64 s[60:61], vcc
	s_cbranch_execz .LBB8_1869
; %bb.1873:                             ;   in Loop: Header=BB8_1871 Depth=3
	s_trap 2
	ds_read_b64 v[8:9], v0
	s_waitcnt vmcnt(0) lgkmcnt(0)
	flat_load_dword v1, v[8:9] glc
	s_waitcnt vmcnt(0) lgkmcnt(0)
	buffer_invl2
	buffer_wbinvl1_vol
	v_cmp_ne_u32_e32 vcc, 0, v1
	s_and_saveexec_b64 s[64:65], vcc
	s_cbranch_execz .LBB8_1868
; %bb.1874:                             ;   in Loop: Header=BB8_1871 Depth=3
	v_or_b32_e32 v62, 64, v62
	s_xor_b64 s[62:63], exec, -1
	ds_write_b32 v0, v1
	s_trap 2
	s_branch .LBB8_1868
.LBB8_1875:                             ;   in Loop: Header=BB8_1865 Depth=2
	s_or_b64 exec, exec, s[54:55]
	v_and_b32_e32 v1, 12, v62
.LBB8_1876:                             ;   in Loop: Header=BB8_1865 Depth=2
	s_or_b64 exec, exec, s[52:53]
	v_cmp_eq_u32_e32 vcc, 0, v1
	s_orn2_b64 s[52:53], vcc, exec
	;;#ASMSTART
	s_wakeup
	;;#ASMEND
.LBB8_1877:                             ;   in Loop: Header=BB8_1865 Depth=2
	s_or_b64 exec, exec, s[36:37]
	s_xor_b64 s[28:29], s[28:29], -1
	s_and_b64 s[28:29], exec, s[28:29]
	s_or_b64 s[34:35], s[28:29], s[34:35]
	v_sub_u32_e32 v0, v40, v14
	s_xor_b64 s[28:29], s[52:53], -1
	v_min_i32_e32 v12, v12, v0
	s_and_saveexec_b64 s[36:37], s[28:29]
	s_cbranch_execz .LBB8_1891
; %bb.1878:                             ;   in Loop: Header=BB8_1865 Depth=2
	v_and_b32_e32 v0, 0x108, v62
	v_cmp_ne_u32_e32 vcc, s90, v0
	v_and_b32_e32 v0, 7, v44
	s_and_saveexec_b64 s[28:29], vcc
	s_xor_b64 s[28:29], exec, s[28:29]
                                        ; implicit-def: $vgpr2_vgpr3
; %bb.1879:                             ;   in Loop: Header=BB8_1865 Depth=2
	v_mov_b32_e32 v3, v42
; %bb.1880:                             ;   in Loop: Header=BB8_1865 Depth=2
	s_andn2_saveexec_b64 s[28:29], s[28:29]
	s_cbranch_execz .LBB8_1882
; %bb.1881:                             ;   in Loop: Header=BB8_1865 Depth=2
	v_accvgpr_read_b32 v8, a10
	v_accvgpr_read_b32 v9, a11
	v_ashrrev_i32_e32 v13, 31, v12
	v_mov_b32_e32 v3, v42
	v_mad_u64_u32 v[8:9], vcc, v0, 24, v[8:9]
	v_lshlrev_b64 v[10:11], 1, v[12:13]
	flat_store_dwordx2 v[8:9], v[10:11] offset:8
.LBB8_1882:                             ;   in Loop: Header=BB8_1865 Depth=2
	s_or_b64 exec, exec, s[28:29]
	v_and_b32_e32 v1, 0x100, v62
	v_cmp_ne_u32_e32 vcc, 0, v1
	s_mov_b64 s[28:29], -1
                                        ; implicit-def: $vgpr8_vgpr9
	s_and_saveexec_b64 s[52:53], vcc
	s_cbranch_execz .LBB8_1886
; %bb.1883:                             ;   in Loop: Header=BB8_1865 Depth=2
	v_accvgpr_read_b32 v8, a10
	v_accvgpr_read_b32 v9, a11
	v_mad_u64_u32 v[10:11], s[28:29], v0, 24, v[8:9]
	v_mov_b32_e32 v2, v11
	v_mad_u64_u32 v[8:9], s[28:29], v3, 24, v[2:3]
	v_mov_b32_e32 v11, v8
	flat_load_dword v1, v[10:11]
                                        ; implicit-def: $vgpr8_vgpr9
	s_waitcnt vmcnt(0) lgkmcnt(0)
	v_cmp_ne_u32_e32 vcc, 1, v1
	v_cmp_eq_u32_e64 s[28:29], 1, v1
	s_and_saveexec_b64 s[54:55], s[28:29]
	s_cbranch_execz .LBB8_1885
; %bb.1884:                             ;   in Loop: Header=BB8_1865 Depth=2
	flat_load_dword v8, v[10:11] offset:4 glc
	s_waitcnt vmcnt(0) lgkmcnt(0)
	v_ashrrev_i32_e32 v9, 31, v8
	v_lshrrev_b64 v[8:9], 1, v[8:9]
.LBB8_1885:                             ;   in Loop: Header=BB8_1865 Depth=2
	s_or_b64 exec, exec, s[54:55]
	s_orn2_b64 s[28:29], vcc, exec
.LBB8_1886:                             ;   in Loop: Header=BB8_1865 Depth=2
	s_or_b64 exec, exec, s[52:53]
	s_and_saveexec_b64 vcc, s[28:29]
; %bb.1887:                             ;   in Loop: Header=BB8_1865 Depth=2
	v_accvgpr_read_b32 v8, a14
	v_mul_lo_u32 v1, v3, v8
	v_accvgpr_read_b32 v3, a15
	v_mul_lo_u32 v2, v0, v3
	v_mad_u64_u32 v[8:9], s[28:29], v0, v8, 0
	v_add3_u32 v9, v9, v2, v1
; %bb.1888:                             ;   in Loop: Header=BB8_1865 Depth=2
	s_or_b64 exec, exec, vcc
	v_lshlrev_b64 v[0:1], 1, v[8:9]
	v_accvgpr_read_b32 v2, a16
	v_accvgpr_read_b32 v3, a17
	v_add_co_u32_e32 v0, vcc, v2, v0
	v_addc_co_u32_e32 v1, vcc, v3, v1, vcc
	s_trap 2
	ds_write_b64 v0, v[0:1]
	v_and_b32_e32 v0, 0x2000, v62
	v_cmp_ne_u32_e32 vcc, 0, v0
	s_and_saveexec_b64 s[28:29], vcc
	s_cbranch_execz .LBB8_1890
; %bb.1889:                             ;   in Loop: Header=BB8_1865 Depth=2
	ds_read_b64 v[0:1], v0 offset:584
	s_waitcnt lgkmcnt(0)
	v_add_co_u32_e32 v0, vcc, 1, v0
	v_addc_co_u32_e32 v1, vcc, 0, v1, vcc
	ds_write_b64 v0, v[0:1] offset:584
.LBB8_1890:                             ;   in Loop: Header=BB8_1865 Depth=2
	s_or_b64 exec, exec, s[28:29]
	v_add_co_u32_e32 v44, vcc, 2, v44
	v_addc_co_u32_e32 v45, vcc, 0, v45, vcc
.LBB8_1891:                             ;   in Loop: Header=BB8_1865 Depth=2
	s_or_b64 exec, exec, s[36:37]
	s_and_saveexec_b64 s[28:29], s[10:11]
	s_cbranch_execz .LBB8_1910
; %bb.1892:                             ;   in Loop: Header=BB8_1865 Depth=2
	s_and_saveexec_b64 vcc, s[44:45]
	s_xor_b64 s[36:37], exec, vcc
	s_cbranch_execz .LBB8_1907
; %bb.1893:                             ;   in Loop: Header=BB8_1865 Depth=2
	s_and_saveexec_b64 s[52:53], s[16:17]
	s_cbranch_execz .LBB8_1906
; %bb.1894:                             ;   in Loop: Header=BB8_1865 Depth=2
	s_mov_b64 s[56:57], exec
	v_mbcnt_lo_u32_b32 v0, s56, 0
	v_mbcnt_hi_u32_b32 v0, s57, v0
	v_cmp_eq_u32_e32 vcc, 0, v0
	s_waitcnt vmcnt(0) lgkmcnt(0)
	buffer_wbinvl1_vol
	s_and_saveexec_b64 s[54:55], vcc
	s_cbranch_execz .LBB8_1896
; %bb.1895:                             ;   in Loop: Header=BB8_1865 Depth=2
	s_bcnt1_i32_b64 vcc_lo, s[56:57]
	v_mov_b32_e32 v0, vcc_lo
	v_mov_b32_e32 v1, v42
	ds_add_u64 v0, v[0:1]
	s_trap 2
.LBB8_1896:                             ;   in Loop: Header=BB8_1865 Depth=2
	s_or_b64 exec, exec, s[54:55]
	s_trap 2
	ds_read_b64 v[0:1], v0
	v_accvgpr_read_b32 v2, a12
	v_accvgpr_read_b32 v8, a20
	;; [unrolled: 1-line block ×3, first 2 shown]
	v_add_co_u32_e32 v2, vcc, v2, v8
	v_addc_co_u32_e32 v3, vcc, 0, v3, vcc
	v_accvgpr_write_b32 a13, v3
	v_accvgpr_write_b32 a12, v2
	s_waitcnt lgkmcnt(0)
	v_cmp_lt_u64_e32 vcc, v[0:1], v[2:3]
	s_and_saveexec_b64 s[54:55], vcc
	s_cbranch_execz .LBB8_1905
; %bb.1897:                             ;   in Loop: Header=BB8_1865 Depth=2
	s_mov_b32 s66, 0
	s_mov_b64 s[56:57], 0
                                        ; implicit-def: $sgpr58_sgpr59
                                        ; implicit-def: $sgpr60_sgpr61
	s_branch .LBB8_1899
.LBB8_1898:                             ;   in Loop: Header=BB8_1899 Depth=3
	s_or_b64 exec, exec, s[64:65]
	s_and_b64 vcc, exec, vcc
	s_or_b64 s[56:57], vcc, s[56:57]
	s_andn2_b64 vcc, s[58:59], exec
	s_and_b64 s[58:59], s[60:61], exec
	s_or_b64 s[58:59], vcc, s[58:59]
	s_andn2_b64 exec, exec, s[56:57]
	s_cbranch_execz .LBB8_1903
.LBB8_1899:                             ;   Parent Loop BB8_47 Depth=1
                                        ;     Parent Loop BB8_1865 Depth=2
                                        ; =>    This Inner Loop Header: Depth=3
	s_add_i32 s66, s66, 1
	s_cmpk_lg_i32 s66, 0x2710
	s_cselect_b64 s[62:63], -1, 0
	s_and_b64 vcc, exec, s[62:63]
                                        ; implicit-def: $sgpr64_sgpr65
	s_cbranch_vccnz .LBB8_1901
; %bb.1900:                             ;   in Loop: Header=BB8_1899 Depth=3
	s_trap 2
	ds_read_b64 v[0:1], v0
	s_andn2_b64 s[62:63], s[62:63], exec
	s_mov_b32 s66, 0
	s_mov_b64 s[64:65], -1
	s_waitcnt lgkmcnt(0)
	flat_load_dword v0, v[0:1] glc
	s_waitcnt vmcnt(0) lgkmcnt(0)
	buffer_invl2
	buffer_wbinvl1_vol
	v_cmp_eq_u32_e32 vcc, 0, v0
	s_and_b64 vcc, vcc, exec
	s_or_b64 s[62:63], s[62:63], vcc
.LBB8_1901:                             ;   in Loop: Header=BB8_1899 Depth=3
	s_andn2_b64 s[60:61], s[60:61], exec
	s_and_b64 s[64:65], s[64:65], exec
	s_mov_b64 vcc, -1
	s_or_b64 s[60:61], s[60:61], s[64:65]
	s_and_saveexec_b64 s[64:65], s[62:63]
	s_cbranch_execz .LBB8_1898
; %bb.1902:                             ;   in Loop: Header=BB8_1899 Depth=3
	s_sleep 1
	s_trap 2
	ds_read_b64 v[0:1], v0
	v_accvgpr_read_b32 v2, a12
	v_accvgpr_read_b32 v3, a13
	s_andn2_b64 s[60:61], s[60:61], exec
	s_waitcnt lgkmcnt(0)
	v_cmp_ge_u64_e32 vcc, v[0:1], v[2:3]
	s_orn2_b64 vcc, vcc, exec
	s_branch .LBB8_1898
.LBB8_1903:                             ;   in Loop: Header=BB8_1865 Depth=2
	s_or_b64 exec, exec, s[56:57]
	s_and_saveexec_b64 vcc, s[58:59]
	s_xor_b64 vcc, exec, vcc
	s_cbranch_execz .LBB8_1905
; %bb.1904:                             ;   in Loop: Header=BB8_1865 Depth=2
	v_mov_b32_e32 v0, 1
	ds_write_b32 v0, v0
	s_trap 2
.LBB8_1905:                             ;   in Loop: Header=BB8_1865 Depth=2
	s_or_b64 exec, exec, s[54:55]
	;;#ASMSTART
	s_wakeup
	;;#ASMEND
.LBB8_1906:                             ;   in Loop: Header=BB8_1865 Depth=2
	s_or_b64 exec, exec, s[52:53]
.LBB8_1907:                             ;   in Loop: Header=BB8_1865 Depth=2
	s_andn2_saveexec_b64 vcc, s[36:37]
	s_cbranch_execz .LBB8_1909
; %bb.1908:                             ;   in Loop: Header=BB8_1865 Depth=2
	s_waitcnt vmcnt(0) lgkmcnt(0)
	buffer_wbinvl1_vol
	s_barrier
.LBB8_1909:                             ;   in Loop: Header=BB8_1865 Depth=2
	s_or_b64 exec, exec, vcc
.LBB8_1910:                             ;   in Loop: Header=BB8_1865 Depth=2
	s_or_b64 exec, exec, s[28:29]
	v_and_b32_e32 v0, 16, v62
	s_and_saveexec_b64 s[28:29], s[24:25]
	s_xor_b64 s[28:29], exec, s[28:29]
	s_cbranch_execz .LBB8_1914
; %bb.1911:                             ;   in Loop: Header=BB8_1865 Depth=2
	s_trap 2
	ds_read_b32 v1, v0
	v_cmp_lt_i32_e32 vcc, 0, v12
	v_and_b32_e32 v2, 16, v62
	v_and_b32_e32 v0, 16, v62
	s_waitcnt lgkmcnt(0)
	v_readfirstlane_b32 s36, v1
	s_cmp_eq_u32 s36, 0
	s_cselect_b64 s[36:37], -1, 0
	s_and_b64 s[36:37], vcc, s[36:37]
	v_cmp_ne_u32_e32 vcc, 0, v2
	s_and_b64 s[36:37], vcc, s[36:37]
	s_and_saveexec_b64 vcc, s[36:37]
	s_cbranch_execz .LBB8_1913
; %bb.1912:                             ;   in Loop: Header=BB8_1865 Depth=2
	v_mov_b32_e32 v0, 1
	s_waitcnt vmcnt(0)
	buffer_wbinvl1_vol
.LBB8_1913:                             ;   in Loop: Header=BB8_1865 Depth=2
	s_or_b64 exec, exec, vcc
.LBB8_1914:                             ;   in Loop: Header=BB8_1865 Depth=2
	s_andn2_saveexec_b64 s[28:29], s[28:29]
	s_cbranch_execz .LBB8_1933
; %bb.1915:                             ;   in Loop: Header=BB8_1865 Depth=2
	s_and_saveexec_b64 vcc, s[44:45]
	s_xor_b64 s[36:37], exec, vcc
	s_cbranch_execz .LBB8_1930
; %bb.1916:                             ;   in Loop: Header=BB8_1865 Depth=2
	s_and_saveexec_b64 s[52:53], s[16:17]
	s_cbranch_execz .LBB8_1929
; %bb.1917:                             ;   in Loop: Header=BB8_1865 Depth=2
	s_mov_b64 s[56:57], exec
	v_mbcnt_lo_u32_b32 v1, s56, 0
	v_mbcnt_hi_u32_b32 v1, s57, v1
	v_cmp_eq_u32_e32 vcc, 0, v1
	;;#ASMSTART
	s_waitcnt lgkmcnt(0) vmcnt(0)
	;;#ASMEND
	s_and_saveexec_b64 s[54:55], vcc
	s_cbranch_execz .LBB8_1919
; %bb.1918:                             ;   in Loop: Header=BB8_1865 Depth=2
	s_bcnt1_i32_b64 vcc_lo, s[56:57]
	v_mov_b32_e32 v2, vcc_lo
	v_mov_b32_e32 v3, v42
	ds_add_u64 v0, v[2:3]
	s_trap 2
.LBB8_1919:                             ;   in Loop: Header=BB8_1865 Depth=2
	s_or_b64 exec, exec, s[54:55]
	s_trap 2
	ds_read_b64 v[2:3], v0
	v_accvgpr_read_b32 v8, a12
	v_accvgpr_read_b32 v10, a20
	;; [unrolled: 1-line block ×3, first 2 shown]
	v_add_co_u32_e32 v8, vcc, v8, v10
	v_addc_co_u32_e32 v9, vcc, 0, v9, vcc
	v_accvgpr_write_b32 a13, v9
	v_accvgpr_write_b32 a12, v8
	s_waitcnt lgkmcnt(0)
	v_cmp_lt_u64_e32 vcc, v[2:3], v[8:9]
	s_and_saveexec_b64 s[54:55], vcc
	s_cbranch_execz .LBB8_1928
; %bb.1920:                             ;   in Loop: Header=BB8_1865 Depth=2
	s_mov_b32 s66, 0
	s_mov_b64 s[56:57], 0
                                        ; implicit-def: $sgpr58_sgpr59
                                        ; implicit-def: $sgpr60_sgpr61
	s_branch .LBB8_1922
.LBB8_1921:                             ;   in Loop: Header=BB8_1922 Depth=3
	s_or_b64 exec, exec, s[64:65]
	s_and_b64 vcc, exec, vcc
	s_or_b64 s[56:57], vcc, s[56:57]
	s_andn2_b64 vcc, s[58:59], exec
	s_and_b64 s[58:59], s[60:61], exec
	s_or_b64 s[58:59], vcc, s[58:59]
	s_andn2_b64 exec, exec, s[56:57]
	s_cbranch_execz .LBB8_1926
.LBB8_1922:                             ;   Parent Loop BB8_47 Depth=1
                                        ;     Parent Loop BB8_1865 Depth=2
                                        ; =>    This Inner Loop Header: Depth=3
	s_add_i32 s66, s66, 1
	s_cmpk_lg_i32 s66, 0x2710
	s_cselect_b64 s[62:63], -1, 0
	s_and_b64 vcc, exec, s[62:63]
                                        ; implicit-def: $sgpr64_sgpr65
	s_cbranch_vccnz .LBB8_1924
; %bb.1923:                             ;   in Loop: Header=BB8_1922 Depth=3
	s_trap 2
	ds_read_b64 v[2:3], v0
	s_andn2_b64 s[62:63], s[62:63], exec
	s_mov_b32 s66, 0
	s_mov_b64 s[64:65], -1
	s_waitcnt vmcnt(0) lgkmcnt(0)
	flat_load_dword v1, v[2:3] glc
	s_waitcnt vmcnt(0) lgkmcnt(0)
	buffer_invl2
	buffer_wbinvl1_vol
	v_cmp_eq_u32_e32 vcc, 0, v1
	s_and_b64 vcc, vcc, exec
	s_or_b64 s[62:63], s[62:63], vcc
.LBB8_1924:                             ;   in Loop: Header=BB8_1922 Depth=3
	s_andn2_b64 s[60:61], s[60:61], exec
	s_and_b64 s[64:65], s[64:65], exec
	s_mov_b64 vcc, -1
	s_or_b64 s[60:61], s[60:61], s[64:65]
	s_and_saveexec_b64 s[64:65], s[62:63]
	s_cbranch_execz .LBB8_1921
; %bb.1925:                             ;   in Loop: Header=BB8_1922 Depth=3
	s_sleep 1
	s_trap 2
	ds_read_b64 v[2:3], v0
	v_accvgpr_read_b32 v8, a12
	v_accvgpr_read_b32 v9, a13
	s_andn2_b64 s[60:61], s[60:61], exec
	s_waitcnt lgkmcnt(0)
	v_cmp_ge_u64_e32 vcc, v[2:3], v[8:9]
	s_orn2_b64 vcc, vcc, exec
	s_branch .LBB8_1921
.LBB8_1926:                             ;   in Loop: Header=BB8_1865 Depth=2
	s_or_b64 exec, exec, s[56:57]
	s_and_saveexec_b64 vcc, s[58:59]
	s_xor_b64 vcc, exec, vcc
	s_cbranch_execz .LBB8_1928
; %bb.1927:                             ;   in Loop: Header=BB8_1865 Depth=2
	v_mov_b32_e32 v1, 1
	ds_write_b32 v0, v1
	s_trap 2
.LBB8_1928:                             ;   in Loop: Header=BB8_1865 Depth=2
	s_or_b64 exec, exec, s[54:55]
	;;#ASMSTART
	s_wakeup
	;;#ASMEND
.LBB8_1929:                             ;   in Loop: Header=BB8_1865 Depth=2
	s_or_b64 exec, exec, s[52:53]
.LBB8_1930:                             ;   in Loop: Header=BB8_1865 Depth=2
	s_andn2_saveexec_b64 vcc, s[36:37]
	s_cbranch_execz .LBB8_1932
; %bb.1931:                             ;   in Loop: Header=BB8_1865 Depth=2
	;;#ASMSTART
	s_waitcnt lgkmcnt(0) vmcnt(0)
	;;#ASMEND
	s_barrier
.LBB8_1932:                             ;   in Loop: Header=BB8_1865 Depth=2
	s_or_b64 exec, exec, vcc
.LBB8_1933:                             ;   in Loop: Header=BB8_1865 Depth=2
	s_or_b64 exec, exec, s[28:29]
	v_cmp_ne_u32_e32 vcc, 0, v0
	s_xor_b64 s[28:29], s[12:13], -1
	s_and_b64 vcc, vcc, s[28:29]
	s_and_saveexec_b64 s[28:29], vcc
	s_cbranch_execz .LBB8_1935
; %bb.1934:                             ;   in Loop: Header=BB8_1865 Depth=2
	v_accvgpr_read_b32 v0, a18
	v_accvgpr_read_b32 v1, a19
	v_mov_b32_e32 v2, 1
	flat_store_dword v[0:1], v2
.LBB8_1935:                             ;   in Loop: Header=BB8_1865 Depth=2
	s_or_b64 exec, exec, s[28:29]
	v_and_b32_e32 v0, 48, v62
	v_cmp_ne_u32_e32 vcc, 0, v0
	s_and_saveexec_b64 s[28:29], vcc
	s_cbranch_execz .LBB8_1864
; %bb.1936:                             ;   in Loop: Header=BB8_1865 Depth=2
	v_add_co_u32_e32 v44, vcc, 2, v44
	v_addc_co_u32_e32 v45, vcc, 0, v45, vcc
	flat_store_dwordx2 v[46:47], v[44:45]
	s_branch .LBB8_1864
.LBB8_1937:                             ;   in Loop: Header=BB8_47 Depth=1
	s_or_b64 exec, exec, s[54:55]
	s_or_b64 exec, exec, s[52:53]
	v_cmp_gt_i32_e32 vcc, 2, v2
	s_and_saveexec_b64 s[30:31], vcc
	s_cbranch_execnz .LBB8_1863
.LBB8_1938:                             ;   in Loop: Header=BB8_47 Depth=1
	s_or_b64 exec, exec, s[30:31]
	s_and_b64 vcc, exec, s[26:27]
	s_cbranch_vccz .LBB8_1940
	s_branch .LBB8_2264
.LBB8_1939:                             ;   in Loop: Header=BB8_47 Depth=1
	s_or_b64 exec, exec, s[34:35]
	s_or_b64 exec, exec, s[30:31]
	s_and_b64 vcc, exec, s[26:27]
	s_cbranch_vccnz .LBB8_2264
.LBB8_1940:                             ;   in Loop: Header=BB8_47 Depth=1
	s_mov_b32 s70, 1
.LBB8_1941:                             ;   Parent Loop BB8_47 Depth=1
                                        ; =>  This Loop Header: Depth=2
                                        ;       Child Loop BB8_1944 Depth 3
                                        ;         Child Loop BB8_1952 Depth 4
                                        ;         Child Loop BB8_1980 Depth 4
	;; [unrolled: 1-line block ×9, first 2 shown]
                                        ;           Child Loop BB8_2037 Depth 5
                                        ;           Child Loop BB8_2042 Depth 5
                                        ;         Child Loop BB8_2048 Depth 4
                                        ;         Child Loop BB8_2056 Depth 4
	;; [unrolled: 1-line block ×3, first 2 shown]
                                        ;           Child Loop BB8_2068 Depth 5
                                        ;           Child Loop BB8_2073 Depth 5
                                        ;         Child Loop BB8_2078 Depth 4
                                        ;         Child Loop BB8_2147 Depth 4
	;; [unrolled: 1-line block ×3, first 2 shown]
                                        ;       Child Loop BB8_2188 Depth 3
                                        ;         Child Loop BB8_2194 Depth 4
                                        ;         Child Loop BB8_2222 Depth 4
	;; [unrolled: 1-line block ×3, first 2 shown]
	s_sub_i32 s26, s82, s70
	s_cmp_le_i32 s76, s26
	s_cselect_b32 s27, s76, 0
	s_sub_i32 s26, s26, s27
	v_accvgpr_read_b32 v8, a50
	s_ashr_i32 s27, s26, 31
	v_accvgpr_read_b32 v9, a51
	v_mul_lo_u32 v2, v8, s27
	v_mul_lo_u32 v3, v9, s26
	v_mad_u64_u32 v[0:1], s[26:27], v8, s26, 0
	v_add3_u32 v1, v1, v2, v3
	v_accvgpr_read_b32 v2, a52
	v_accvgpr_read_b32 v3, a53
	v_sub_co_u32_e32 v2, vcc, v2, v0
	v_subb_co_u32_e32 v3, vcc, v3, v1, vcc
	v_cmp_lt_i64_e32 vcc, v[8:9], v[2:3]
	v_cndmask_b32_e32 v2, v2, v8, vcc
	v_max_i32_e32 v48, 0, v2
	v_add_u32_e32 v3, 31, v48
	v_lshrrev_b32_e32 v3, 1, v3
	v_and_b32_e32 v3, 0x3ffffff0, v3
	v_cmp_lt_i32_e32 vcc, 0, v2
	v_max_i32_e32 v32, s85, v3
	s_and_b64 s[26:27], s[50:51], vcc
	v_mov_b32_e32 v2, 0
	v_mov_b32_e32 v34, 0
	s_and_saveexec_b64 s[34:35], s[26:27]
	s_cbranch_execz .LBB8_2185
; %bb.1942:                             ;   in Loop: Header=BB8_1941 Depth=2
	v_accvgpr_read_b32 v2, a54
	v_accvgpr_read_b32 v3, a55
	v_add_co_u32_e32 v0, vcc, v0, v2
	v_addc_co_u32_e32 v1, vcc, v1, v3, vcc
	s_mov_b32 s71, 1
	s_mov_b64 s[52:53], -1
	s_mov_b64 s[36:37], 0
	v_mov_b32_e32 v34, 0
	v_lshlrev_b64 v[36:37], 1, v[0:1]
	s_branch .LBB8_1944
.LBB8_1943:                             ;   in Loop: Header=BB8_1944 Depth=3
	s_or_b64 exec, exec, s[26:27]
	v_add_u32_e32 v34, v32, v34
	v_cmp_ge_i32_e32 vcc, v34, v48
	s_xor_b64 s[26:27], s[52:53], -1
	s_or_b64 s[26:27], s[26:27], vcc
	s_and_b64 s[26:27], exec, s[26:27]
	s_or_b64 s[36:37], s[26:27], s[36:37]
	s_mov_b64 s[52:53], 0
	s_waitcnt lgkmcnt(0)
	v_mov_b32_e32 v2, s71
	s_mov_b32 s71, 2
	s_andn2_b64 exec, exec, s[36:37]
	s_cbranch_execz .LBB8_2260
.LBB8_1944:                             ;   Parent Loop BB8_47 Depth=1
                                        ;     Parent Loop BB8_1941 Depth=2
                                        ; =>    This Loop Header: Depth=3
                                        ;         Child Loop BB8_1952 Depth 4
                                        ;         Child Loop BB8_1980 Depth 4
	;; [unrolled: 1-line block ×9, first 2 shown]
                                        ;           Child Loop BB8_2037 Depth 5
                                        ;           Child Loop BB8_2042 Depth 5
                                        ;         Child Loop BB8_2048 Depth 4
                                        ;         Child Loop BB8_2056 Depth 4
	;; [unrolled: 1-line block ×3, first 2 shown]
                                        ;           Child Loop BB8_2068 Depth 5
                                        ;           Child Loop BB8_2073 Depth 5
                                        ;         Child Loop BB8_2078 Depth 4
                                        ;         Child Loop BB8_2147 Depth 4
	;; [unrolled: 1-line block ×3, first 2 shown]
	s_and_saveexec_b64 s[26:27], s[4:5]
	s_cbranch_execz .LBB8_1946
; %bb.1945:                             ;   in Loop: Header=BB8_1944 Depth=3
	s_trap 2
	ds_read_b128 v[0:3], v0
	v_ashrrev_i32_e32 v35, 31, v34
	s_waitcnt lgkmcnt(0)
	v_add_co_u32_e32 v5, vcc, v0, v36
	v_addc_co_u32_e32 v9, vcc, v1, v37, vcc
	v_lshlrev_b64 v[0:1], 1, v[34:35]
	v_add_co_u32_e32 v8, vcc, v5, v0
	v_addc_co_u32_e32 v9, vcc, v9, v1, vcc
	v_add_co_u32_e32 v5, vcc, v2, v36
	ds_write_b64 v0, v[8:9]
	v_addc_co_u32_e32 v8, vcc, v3, v37, vcc
	v_add_co_u32_e32 v0, vcc, v5, v0
	v_addc_co_u32_e32 v1, vcc, v8, v1, vcc
	v_cmp_ne_u64_e32 vcc, 0, v[2:3]
	v_cndmask_b32_e32 v1, 0, v1, vcc
	v_cndmask_b32_e32 v0, 0, v0, vcc
	ds_write_b64 v0, v[0:1]
.LBB8_1946:                             ;   in Loop: Header=BB8_1944 Depth=3
	s_or_b64 exec, exec, s[26:27]
	v_and_b32_e32 v0, 12, v62
	v_cmp_ne_u32_e32 vcc, 0, v0
	s_mov_b64 s[28:29], -1
	s_and_saveexec_b64 s[26:27], vcc
	s_cbranch_execz .LBB8_1958
; %bb.1947:                             ;   in Loop: Header=BB8_1944 Depth=3
	v_and_b32_e32 v0, 8, v62
	v_add_co_u32_e32 v8, vcc, v60, v0
	v_addc_co_u32_e32 v9, vcc, 0, v61, vcc
	v_add_co_u32_e32 v2, vcc, 2, v44
	v_addc_co_u32_e32 v3, vcc, 0, v45, vcc
	v_cmp_lt_u64_e32 vcc, v[8:9], v[2:3]
	v_mov_b32_e32 v1, 1
	s_and_saveexec_b64 s[28:29], vcc
	s_cbranch_execz .LBB8_1957
; %bb.1948:                             ;   in Loop: Header=BB8_1944 Depth=3
	s_mov_b64 s[30:31], 0
	v_mov_b32_e32 v1, 0
                                        ; implicit-def: $sgpr54_sgpr55
	s_branch .LBB8_1952
.LBB8_1949:                             ;   in Loop: Header=BB8_1952 Depth=4
	s_or_b64 exec, exec, s[62:63]
	v_mov_b32_e32 v5, 0
	s_orn2_b64 s[60:61], s[60:61], exec
.LBB8_1950:                             ;   in Loop: Header=BB8_1952 Depth=4
	s_or_b64 exec, exec, s[58:59]
	s_andn2_b64 vcc, s[54:55], exec
	s_and_b64 s[54:55], s[60:61], exec
	s_or_b64 s[54:55], vcc, s[54:55]
	v_mov_b32_e32 v1, v5
.LBB8_1951:                             ;   in Loop: Header=BB8_1952 Depth=4
	s_or_b64 exec, exec, s[56:57]
	s_waitcnt vmcnt(0) lgkmcnt(0)
	v_add_co_u32_e32 v8, vcc, v60, v0
	v_addc_co_u32_e32 v9, vcc, 0, v61, vcc
	v_cmp_ge_u64_e32 vcc, v[8:9], v[2:3]
	s_xor_b64 s[56:57], s[54:55], -1
	s_or_b64 vcc, s[56:57], vcc
	s_and_b64 vcc, exec, vcc
	s_or_b64 s[30:31], vcc, s[30:31]
	s_andn2_b64 exec, exec, s[30:31]
	s_cbranch_execz .LBB8_1956
.LBB8_1952:                             ;   Parent Loop BB8_47 Depth=1
                                        ;     Parent Loop BB8_1941 Depth=2
                                        ;       Parent Loop BB8_1944 Depth=3
                                        ; =>      This Inner Loop Header: Depth=4
	s_sleep 1
	flat_load_dwordx2 v[60:61], v[46:47] glc
	v_and_b32_e32 v5, 64, v62
	v_cmp_eq_u32_e32 vcc, 0, v5
	s_andn2_b64 s[54:55], s[54:55], exec
	s_and_saveexec_b64 s[56:57], vcc
	s_cbranch_execz .LBB8_1951
; %bb.1953:                             ;   in Loop: Header=BB8_1952 Depth=4
	v_add_u32_e32 v5, 1, v1
	v_cmp_lt_i32_e32 vcc, s89, v1
	s_mov_b64 s[60:61], -1
	s_and_saveexec_b64 s[58:59], vcc
	s_cbranch_execz .LBB8_1950
; %bb.1954:                             ;   in Loop: Header=BB8_1952 Depth=4
	s_trap 2
	ds_read_b64 v[8:9], v0
	s_waitcnt vmcnt(0) lgkmcnt(0)
	flat_load_dword v1, v[8:9] glc
	s_waitcnt vmcnt(0) lgkmcnt(0)
	buffer_invl2
	buffer_wbinvl1_vol
	v_cmp_ne_u32_e32 vcc, 0, v1
	s_and_saveexec_b64 s[62:63], vcc
	s_cbranch_execz .LBB8_1949
; %bb.1955:                             ;   in Loop: Header=BB8_1952 Depth=4
	v_or_b32_e32 v62, 64, v62
	s_xor_b64 s[60:61], exec, -1
	ds_write_b32 v0, v1
	s_trap 2
	s_branch .LBB8_1949
.LBB8_1956:                             ;   in Loop: Header=BB8_1944 Depth=3
	s_or_b64 exec, exec, s[30:31]
	v_and_b32_e32 v1, 12, v62
.LBB8_1957:                             ;   in Loop: Header=BB8_1944 Depth=3
	s_or_b64 exec, exec, s[28:29]
	v_cmp_eq_u32_e32 vcc, 0, v1
	s_orn2_b64 s[28:29], vcc, exec
	;;#ASMSTART
	s_wakeup
	;;#ASMEND
.LBB8_1958:                             ;   in Loop: Header=BB8_1944 Depth=3
	s_or_b64 exec, exec, s[26:27]
	v_sub_u32_e32 v0, v48, v34
	s_xor_b64 s[26:27], s[28:29], -1
	v_min_i32_e32 v32, v32, v0
	s_and_saveexec_b64 s[28:29], s[26:27]
	s_cbranch_execz .LBB8_1972
; %bb.1959:                             ;   in Loop: Header=BB8_1944 Depth=3
	v_and_b32_e32 v0, 0x108, v62
	v_cmp_ne_u32_e32 vcc, s90, v0
	v_and_b32_e32 v0, 7, v44
	s_and_saveexec_b64 s[26:27], vcc
	s_xor_b64 s[26:27], exec, s[26:27]
                                        ; implicit-def: $vgpr2_vgpr3
; %bb.1960:                             ;   in Loop: Header=BB8_1944 Depth=3
	v_mov_b32_e32 v3, v42
; %bb.1961:                             ;   in Loop: Header=BB8_1944 Depth=3
	s_andn2_saveexec_b64 s[26:27], s[26:27]
	s_cbranch_execz .LBB8_1963
; %bb.1962:                             ;   in Loop: Header=BB8_1944 Depth=3
	v_accvgpr_read_b32 v8, a10
	v_accvgpr_read_b32 v9, a11
	v_ashrrev_i32_e32 v33, 31, v32
	v_mov_b32_e32 v3, v42
	v_mad_u64_u32 v[8:9], vcc, v0, 24, v[8:9]
	v_lshlrev_b64 v[10:11], 1, v[32:33]
	flat_store_dwordx2 v[8:9], v[10:11] offset:8
.LBB8_1963:                             ;   in Loop: Header=BB8_1944 Depth=3
	s_or_b64 exec, exec, s[26:27]
	v_and_b32_e32 v1, 0x100, v62
	v_cmp_ne_u32_e32 vcc, 0, v1
	s_mov_b64 s[26:27], -1
                                        ; implicit-def: $vgpr8_vgpr9
	s_and_saveexec_b64 s[30:31], vcc
	s_cbranch_execz .LBB8_1967
; %bb.1964:                             ;   in Loop: Header=BB8_1944 Depth=3
	v_accvgpr_read_b32 v8, a10
	v_accvgpr_read_b32 v9, a11
	v_mad_u64_u32 v[10:11], s[26:27], v0, 24, v[8:9]
	v_mov_b32_e32 v2, v11
	v_mad_u64_u32 v[8:9], s[26:27], v3, 24, v[2:3]
	v_mov_b32_e32 v11, v8
	flat_load_dword v1, v[10:11]
                                        ; implicit-def: $vgpr8_vgpr9
	s_waitcnt vmcnt(0) lgkmcnt(0)
	v_cmp_ne_u32_e32 vcc, 1, v1
	v_cmp_eq_u32_e64 s[26:27], 1, v1
	s_and_saveexec_b64 s[54:55], s[26:27]
	s_cbranch_execz .LBB8_1966
; %bb.1965:                             ;   in Loop: Header=BB8_1944 Depth=3
	flat_load_dword v8, v[10:11] offset:4 glc
	s_waitcnt vmcnt(0) lgkmcnt(0)
	v_ashrrev_i32_e32 v9, 31, v8
	v_lshrrev_b64 v[8:9], 1, v[8:9]
.LBB8_1966:                             ;   in Loop: Header=BB8_1944 Depth=3
	s_or_b64 exec, exec, s[54:55]
	s_orn2_b64 s[26:27], vcc, exec
.LBB8_1967:                             ;   in Loop: Header=BB8_1944 Depth=3
	s_or_b64 exec, exec, s[30:31]
	s_and_saveexec_b64 vcc, s[26:27]
; %bb.1968:                             ;   in Loop: Header=BB8_1944 Depth=3
	v_accvgpr_read_b32 v8, a14
	v_mul_lo_u32 v1, v3, v8
	v_accvgpr_read_b32 v3, a15
	v_mul_lo_u32 v2, v0, v3
	v_mad_u64_u32 v[8:9], s[26:27], v0, v8, 0
	v_add3_u32 v9, v9, v2, v1
; %bb.1969:                             ;   in Loop: Header=BB8_1944 Depth=3
	s_or_b64 exec, exec, vcc
	v_lshlrev_b64 v[0:1], 1, v[8:9]
	v_accvgpr_read_b32 v2, a16
	v_accvgpr_read_b32 v3, a17
	v_add_co_u32_e32 v0, vcc, v2, v0
	v_addc_co_u32_e32 v1, vcc, v3, v1, vcc
	s_trap 2
	ds_write_b64 v0, v[0:1]
	v_and_b32_e32 v0, 0x2000, v62
	v_cmp_ne_u32_e32 vcc, 0, v0
	s_and_saveexec_b64 s[26:27], vcc
	s_cbranch_execz .LBB8_1971
; %bb.1970:                             ;   in Loop: Header=BB8_1944 Depth=3
	ds_read_b64 v[0:1], v0 offset:584
	s_waitcnt lgkmcnt(0)
	v_add_co_u32_e32 v0, vcc, 1, v0
	v_addc_co_u32_e32 v1, vcc, 0, v1, vcc
	ds_write_b64 v0, v[0:1] offset:584
.LBB8_1971:                             ;   in Loop: Header=BB8_1944 Depth=3
	s_or_b64 exec, exec, s[26:27]
	v_add_co_u32_e32 v44, vcc, 2, v44
	v_addc_co_u32_e32 v45, vcc, 0, v45, vcc
.LBB8_1972:                             ;   in Loop: Header=BB8_1944 Depth=3
	s_or_b64 exec, exec, s[28:29]
	s_and_saveexec_b64 s[26:27], s[10:11]
	s_cbranch_execz .LBB8_1991
; %bb.1973:                             ;   in Loop: Header=BB8_1944 Depth=3
	s_and_saveexec_b64 s[28:29], s[44:45]
	s_xor_b64 s[28:29], exec, s[28:29]
	s_cbranch_execz .LBB8_1988
; %bb.1974:                             ;   in Loop: Header=BB8_1944 Depth=3
	s_and_saveexec_b64 s[30:31], s[16:17]
	s_cbranch_execz .LBB8_1987
; %bb.1975:                             ;   in Loop: Header=BB8_1944 Depth=3
	s_mov_b64 s[56:57], exec
	v_mbcnt_lo_u32_b32 v0, s56, 0
	v_mbcnt_hi_u32_b32 v0, s57, v0
	v_cmp_eq_u32_e32 vcc, 0, v0
	s_waitcnt vmcnt(0) lgkmcnt(0)
	buffer_wbinvl1_vol
	s_and_saveexec_b64 s[54:55], vcc
	s_cbranch_execz .LBB8_1977
; %bb.1976:                             ;   in Loop: Header=BB8_1944 Depth=3
	s_bcnt1_i32_b64 vcc_lo, s[56:57]
	v_mov_b32_e32 v0, vcc_lo
	v_mov_b32_e32 v1, v42
	ds_add_u64 v0, v[0:1]
	s_trap 2
.LBB8_1977:                             ;   in Loop: Header=BB8_1944 Depth=3
	s_or_b64 exec, exec, s[54:55]
	s_trap 2
	ds_read_b64 v[0:1], v0
	v_accvgpr_read_b32 v2, a12
	v_accvgpr_read_b32 v8, a20
	;; [unrolled: 1-line block ×3, first 2 shown]
	v_add_co_u32_e32 v2, vcc, v2, v8
	v_addc_co_u32_e32 v3, vcc, 0, v3, vcc
	v_accvgpr_write_b32 a13, v3
	v_accvgpr_write_b32 a12, v2
	s_waitcnt lgkmcnt(0)
	v_cmp_lt_u64_e32 vcc, v[0:1], v[2:3]
	s_and_saveexec_b64 s[54:55], vcc
	s_cbranch_execz .LBB8_1986
; %bb.1978:                             ;   in Loop: Header=BB8_1944 Depth=3
	s_mov_b32 s66, 0
	s_mov_b64 s[56:57], 0
                                        ; implicit-def: $sgpr58_sgpr59
                                        ; implicit-def: $sgpr60_sgpr61
	s_branch .LBB8_1980
.LBB8_1979:                             ;   in Loop: Header=BB8_1980 Depth=4
	s_or_b64 exec, exec, s[64:65]
	s_and_b64 vcc, exec, vcc
	s_or_b64 s[56:57], vcc, s[56:57]
	s_andn2_b64 vcc, s[58:59], exec
	s_and_b64 s[58:59], s[60:61], exec
	s_or_b64 s[58:59], vcc, s[58:59]
	s_andn2_b64 exec, exec, s[56:57]
	s_cbranch_execz .LBB8_1984
.LBB8_1980:                             ;   Parent Loop BB8_47 Depth=1
                                        ;     Parent Loop BB8_1941 Depth=2
                                        ;       Parent Loop BB8_1944 Depth=3
                                        ; =>      This Inner Loop Header: Depth=4
	s_add_i32 s66, s66, 1
	s_cmpk_lg_i32 s66, 0x2710
	s_cselect_b64 s[62:63], -1, 0
	s_and_b64 vcc, exec, s[62:63]
                                        ; implicit-def: $sgpr64_sgpr65
	s_cbranch_vccnz .LBB8_1982
; %bb.1981:                             ;   in Loop: Header=BB8_1980 Depth=4
	s_trap 2
	ds_read_b64 v[0:1], v0
	s_andn2_b64 s[62:63], s[62:63], exec
	s_mov_b32 s66, 0
	s_mov_b64 s[64:65], -1
	s_waitcnt lgkmcnt(0)
	flat_load_dword v0, v[0:1] glc
	s_waitcnt vmcnt(0) lgkmcnt(0)
	buffer_invl2
	buffer_wbinvl1_vol
	v_cmp_eq_u32_e32 vcc, 0, v0
	s_and_b64 vcc, vcc, exec
	s_or_b64 s[62:63], s[62:63], vcc
.LBB8_1982:                             ;   in Loop: Header=BB8_1980 Depth=4
	s_andn2_b64 s[60:61], s[60:61], exec
	s_and_b64 s[64:65], s[64:65], exec
	s_mov_b64 vcc, -1
	s_or_b64 s[60:61], s[60:61], s[64:65]
	s_and_saveexec_b64 s[64:65], s[62:63]
	s_cbranch_execz .LBB8_1979
; %bb.1983:                             ;   in Loop: Header=BB8_1980 Depth=4
	s_sleep 1
	s_trap 2
	ds_read_b64 v[0:1], v0
	v_accvgpr_read_b32 v2, a12
	v_accvgpr_read_b32 v3, a13
	s_andn2_b64 s[60:61], s[60:61], exec
	s_waitcnt lgkmcnt(0)
	v_cmp_ge_u64_e32 vcc, v[0:1], v[2:3]
	s_orn2_b64 vcc, vcc, exec
	s_branch .LBB8_1979
.LBB8_1984:                             ;   in Loop: Header=BB8_1944 Depth=3
	s_or_b64 exec, exec, s[56:57]
	s_and_saveexec_b64 vcc, s[58:59]
	s_xor_b64 vcc, exec, vcc
	s_cbranch_execz .LBB8_1986
; %bb.1985:                             ;   in Loop: Header=BB8_1944 Depth=3
	v_mov_b32_e32 v0, 1
	ds_write_b32 v0, v0
	s_trap 2
.LBB8_1986:                             ;   in Loop: Header=BB8_1944 Depth=3
	s_or_b64 exec, exec, s[54:55]
	;;#ASMSTART
	s_wakeup
	;;#ASMEND
.LBB8_1987:                             ;   in Loop: Header=BB8_1944 Depth=3
	s_or_b64 exec, exec, s[30:31]
.LBB8_1988:                             ;   in Loop: Header=BB8_1944 Depth=3
	s_andn2_saveexec_b64 s[28:29], s[28:29]
	s_cbranch_execz .LBB8_1990
; %bb.1989:                             ;   in Loop: Header=BB8_1944 Depth=3
	s_waitcnt vmcnt(0) lgkmcnt(0)
	buffer_wbinvl1_vol
	s_barrier
.LBB8_1990:                             ;   in Loop: Header=BB8_1944 Depth=3
	s_or_b64 exec, exec, s[28:29]
.LBB8_1991:                             ;   in Loop: Header=BB8_1944 Depth=3
	s_or_b64 exec, exec, s[26:27]
	s_trap 2
	ds_read_b32 v0, v0
	v_and_b32_e32 v1, 0x4000, v62
	v_cmp_ne_u32_e32 vcc, 0, v1
	s_xor_b64 s[26:27], s[6:7], -1
	s_and_b64 s[28:29], s[26:27], vcc
	s_and_saveexec_b64 s[26:27], s[28:29]
	s_cbranch_execz .LBB8_2010
; %bb.1992:                             ;   in Loop: Header=BB8_1944 Depth=3
	s_and_saveexec_b64 s[28:29], s[44:45]
	s_xor_b64 s[28:29], exec, s[28:29]
	s_cbranch_execz .LBB8_2007
; %bb.1993:                             ;   in Loop: Header=BB8_1944 Depth=3
	s_and_saveexec_b64 s[30:31], s[16:17]
	s_cbranch_execz .LBB8_2006
; %bb.1994:                             ;   in Loop: Header=BB8_1944 Depth=3
	s_mov_b64 s[56:57], exec
	v_mbcnt_lo_u32_b32 v1, s56, 0
	v_mbcnt_hi_u32_b32 v1, s57, v1
	v_cmp_eq_u32_e32 vcc, 0, v1
	s_waitcnt vmcnt(0) lgkmcnt(0)
	buffer_wbinvl1_vol
	s_and_saveexec_b64 s[54:55], vcc
	s_cbranch_execz .LBB8_1996
; %bb.1995:                             ;   in Loop: Header=BB8_1944 Depth=3
	s_bcnt1_i32_b64 vcc_lo, s[56:57]
	v_mov_b32_e32 v2, vcc_lo
	v_mov_b32_e32 v3, v42
	ds_add_u64 v0, v[2:3]
	s_trap 2
.LBB8_1996:                             ;   in Loop: Header=BB8_1944 Depth=3
	s_or_b64 exec, exec, s[54:55]
	s_trap 2
	ds_read_b64 v[2:3], v0
	v_accvgpr_read_b32 v8, a12
	v_accvgpr_read_b32 v10, a20
	;; [unrolled: 1-line block ×3, first 2 shown]
	v_add_co_u32_e32 v8, vcc, v8, v10
	v_addc_co_u32_e32 v9, vcc, 0, v9, vcc
	v_accvgpr_write_b32 a13, v9
	v_accvgpr_write_b32 a12, v8
	s_waitcnt lgkmcnt(0)
	v_cmp_lt_u64_e32 vcc, v[2:3], v[8:9]
	s_and_saveexec_b64 s[54:55], vcc
	s_cbranch_execz .LBB8_2005
; %bb.1997:                             ;   in Loop: Header=BB8_1944 Depth=3
	s_mov_b32 s66, 0
	s_mov_b64 s[56:57], 0
                                        ; implicit-def: $sgpr58_sgpr59
                                        ; implicit-def: $sgpr60_sgpr61
	s_branch .LBB8_1999
.LBB8_1998:                             ;   in Loop: Header=BB8_1999 Depth=4
	s_or_b64 exec, exec, s[64:65]
	s_and_b64 vcc, exec, vcc
	s_or_b64 s[56:57], vcc, s[56:57]
	s_andn2_b64 vcc, s[58:59], exec
	s_and_b64 s[58:59], s[60:61], exec
	s_or_b64 s[58:59], vcc, s[58:59]
	s_andn2_b64 exec, exec, s[56:57]
	s_cbranch_execz .LBB8_2003
.LBB8_1999:                             ;   Parent Loop BB8_47 Depth=1
                                        ;     Parent Loop BB8_1941 Depth=2
                                        ;       Parent Loop BB8_1944 Depth=3
                                        ; =>      This Inner Loop Header: Depth=4
	s_add_i32 s66, s66, 1
	s_cmpk_lg_i32 s66, 0x2710
	s_cselect_b64 s[62:63], -1, 0
	s_and_b64 vcc, exec, s[62:63]
                                        ; implicit-def: $sgpr64_sgpr65
	s_cbranch_vccnz .LBB8_2001
; %bb.2000:                             ;   in Loop: Header=BB8_1999 Depth=4
	s_trap 2
	ds_read_b64 v[2:3], v0
	s_andn2_b64 s[62:63], s[62:63], exec
	s_mov_b32 s66, 0
	s_mov_b64 s[64:65], -1
	s_waitcnt lgkmcnt(0)
	flat_load_dword v1, v[2:3] glc
	s_waitcnt vmcnt(0) lgkmcnt(0)
	buffer_invl2
	buffer_wbinvl1_vol
	v_cmp_eq_u32_e32 vcc, 0, v1
	s_and_b64 vcc, vcc, exec
	s_or_b64 s[62:63], s[62:63], vcc
.LBB8_2001:                             ;   in Loop: Header=BB8_1999 Depth=4
	s_andn2_b64 s[60:61], s[60:61], exec
	s_and_b64 s[64:65], s[64:65], exec
	s_mov_b64 vcc, -1
	s_or_b64 s[60:61], s[60:61], s[64:65]
	s_and_saveexec_b64 s[64:65], s[62:63]
	s_cbranch_execz .LBB8_1998
; %bb.2002:                             ;   in Loop: Header=BB8_1999 Depth=4
	s_sleep 1
	s_trap 2
	ds_read_b64 v[2:3], v0
	v_accvgpr_read_b32 v8, a12
	v_accvgpr_read_b32 v9, a13
	s_andn2_b64 s[60:61], s[60:61], exec
	s_waitcnt lgkmcnt(0)
	v_cmp_ge_u64_e32 vcc, v[2:3], v[8:9]
	s_orn2_b64 vcc, vcc, exec
	s_branch .LBB8_1998
.LBB8_2003:                             ;   in Loop: Header=BB8_1944 Depth=3
	s_or_b64 exec, exec, s[56:57]
	s_and_saveexec_b64 vcc, s[58:59]
	s_xor_b64 vcc, exec, vcc
	s_cbranch_execz .LBB8_2005
; %bb.2004:                             ;   in Loop: Header=BB8_1944 Depth=3
	v_mov_b32_e32 v1, 1
	ds_write_b32 v0, v1
	s_trap 2
.LBB8_2005:                             ;   in Loop: Header=BB8_1944 Depth=3
	s_or_b64 exec, exec, s[54:55]
	;;#ASMSTART
	s_wakeup
	;;#ASMEND
.LBB8_2006:                             ;   in Loop: Header=BB8_1944 Depth=3
	s_or_b64 exec, exec, s[30:31]
.LBB8_2007:                             ;   in Loop: Header=BB8_1944 Depth=3
	s_andn2_saveexec_b64 s[28:29], s[28:29]
	s_cbranch_execz .LBB8_2009
; %bb.2008:                             ;   in Loop: Header=BB8_1944 Depth=3
	s_waitcnt vmcnt(0) lgkmcnt(0)
	buffer_wbinvl1_vol
	s_barrier
.LBB8_2009:                             ;   in Loop: Header=BB8_1944 Depth=3
	s_or_b64 exec, exec, s[28:29]
.LBB8_2010:                             ;   in Loop: Header=BB8_1944 Depth=3
	s_or_b64 exec, exec, s[26:27]
	s_trap 2
	s_waitcnt lgkmcnt(0)
	ds_read_b64 v[2:3], v0
	v_mov_b32_e32 v33, 0
	s_waitcnt lgkmcnt(0)
	v_readfirstlane_b32 s26, v2
	v_readfirstlane_b32 s27, v3
	s_cmp_eq_u64 s[26:27], 0
	s_cselect_b64 s[26:27], -1, 0
	s_or_b64 s[26:27], s[26:27], s[26:27]
	s_and_b64 vcc, exec, s[26:27]
	s_cbranch_vccnz .LBB8_2139
; %bb.2011:                             ;   in Loop: Header=BB8_1944 Depth=3
	s_trap 2
	ds_read_b64 v[2:3], v0
	v_cmp_eq_u32_e32 vcc, 0, v0
	v_cndmask_b32_e32 v33, 0, v32, vcc
	v_lshlrev_b32_e32 v35, 1, v33
	s_waitcnt lgkmcnt(0)
	v_cmp_ne_u64_e32 vcc, 0, v[2:3]
	s_cbranch_vccz .LBB8_2025
; %bb.2012:                             ;   in Loop: Header=BB8_1944 Depth=3
	s_mov_b64 s[28:29], -1
	s_and_saveexec_b64 s[26:27], s[20:21]
	s_cbranch_execz .LBB8_2014
; %bb.2013:                             ;   in Loop: Header=BB8_1944 Depth=3
	ds_read_b32 v0, v0 offset:720
	s_waitcnt lgkmcnt(0)
	v_and_b32_e32 v0, 15, v0
	v_cmp_eq_u32_e32 vcc, 0, v0
	s_orn2_b64 s[28:29], vcc, exec
.LBB8_2014:                             ;   in Loop: Header=BB8_1944 Depth=3
	s_or_b64 exec, exec, s[26:27]
	s_and_saveexec_b64 s[26:27], s[22:23]
	s_cbranch_execz .LBB8_2016
; %bb.2015:                             ;   in Loop: Header=BB8_1944 Depth=3
	ds_read_b32 v0, v0 offset:784
	s_waitcnt lgkmcnt(0)
	v_and_b32_e32 v0, 15, v0
	v_cmp_eq_u32_e32 vcc, 0, v0
	s_and_b64 vcc, s[28:29], vcc
	s_andn2_b64 s[28:29], s[28:29], exec
	s_and_b64 vcc, vcc, exec
	s_or_b64 s[28:29], s[28:29], vcc
.LBB8_2016:                             ;   in Loop: Header=BB8_1944 Depth=3
	s_or_b64 exec, exec, s[26:27]
	s_xor_b64 s[28:29], s[28:29], -1
	v_cndmask_b32_e64 v0, 0, 1, s[28:29]
	s_mov_b64 s[26:27], -1
	;;#ASMSTART
	;;#ASMEND
	v_cmp_ne_u32_e32 vcc, 0, v0
	s_cbranch_vccz .LBB8_2026
; %bb.2017:                             ;   in Loop: Header=BB8_1944 Depth=3
	s_trap 2
	ds_read_b128 v[8:11], v0
	s_mov_b64 s[54:55], -1
	s_mov_b32 s28, 0
	s_cbranch_execnz .LBB8_2027
.LBB8_2018:                             ;   in Loop: Header=BB8_1944 Depth=3
	v_ashrrev_i32_e32 v0, 31, v35
	v_lshrrev_b32_e32 v0, 21, v0
	s_trap 2
	s_waitcnt lgkmcnt(0)
	ds_read_b128 v[8:11], v0
	v_add_u32_e32 v0, v35, v0
	v_ashrrev_i32_e32 v5, 11, v0
	v_accvgpr_read_b32 v0, a36
	v_accvgpr_read_b32 v2, a40
	v_sub_u32_e32 v29, v5, v0
	s_waitcnt lgkmcnt(0)
	v_add_co_u32_e32 v0, vcc, v8, v2
	v_accvgpr_read_b32 v3, a41
	v_addc_co_u32_e32 v1, vcc, v9, v3, vcc
	v_add_co_u32_e32 v2, vcc, v10, v2
	v_addc_co_u32_e32 v3, vcc, v11, v3, vcc
	v_cmp_lt_i32_e32 vcc, 0, v29
	s_mov_b64 s[28:29], 0
                                        ; implicit-def: $vgpr12_vgpr13
                                        ; implicit-def: $vgpr16_vgpr17
	s_and_saveexec_b64 s[26:27], vcc
	s_cbranch_execz .LBB8_2029
; %bb.2019:                             ;   in Loop: Header=BB8_1944 Depth=3
	s_trap 2
	ds_read_b64 v[12:13], v0
	v_accvgpr_read_b32 v14, a40
	v_accvgpr_read_b32 v15, a41
	s_mov_b64 s[56:57], 0
                                        ; implicit-def: $sgpr30_sgpr31
                                        ; implicit-def: $vgpr16_vgpr17
	s_waitcnt lgkmcnt(0)
	v_add_co_u32_e32 v30, vcc, v12, v14
	v_addc_co_u32_e32 v31, vcc, v13, v15, vcc
                                        ; implicit-def: $vgpr12_vgpr13
	s_branch .LBB8_2021
.LBB8_2020:                             ;   in Loop: Header=BB8_2021 Depth=4
	s_or_b64 exec, exec, s[58:59]
	s_waitcnt vmcnt(0)
	global_store_dwordx4 v[0:1], v[20:23], off glc slc
	global_store_dwordx4 v[0:1], v[24:27], off offset:1024 glc slc
	v_add_co_u32_e32 v0, vcc, 0x800, v0
	v_addc_co_u32_e32 v1, vcc, 0, v1, vcc
	global_store_dwordx4 v[2:3], v[20:23], off glc slc
	global_store_dwordx4 v[2:3], v[24:27], off offset:1024 glc slc
	v_add_co_u32_e32 v2, vcc, 0x800, v2
	v_addc_co_u32_e32 v3, vcc, 0, v3, vcc
	v_accvgpr_read_b32 v22, a24
	v_accvgpr_read_b32 v23, a25
	v_add_co_u32_e32 v20, vcc, v0, v22
	v_addc_co_u32_e32 v21, vcc, v1, v23, vcc
	v_add_co_u32_e32 v22, vcc, v2, v22
	v_addc_co_u32_e32 v23, vcc, v3, v23, vcc
	;; [unrolled: 2-line block ×3, first 2 shown]
	v_sub_u32_e32 v29, v29, v49
	v_cmp_gt_i32_e32 vcc, 1, v29
	s_or_b64 s[28:29], vcc, s[28:29]
	s_andn2_b64 vcc, s[30:31], exec
	s_and_b64 s[30:31], s[56:57], exec
	v_cndmask_b32_e64 v1, v1, v21, s[56:57]
	v_cndmask_b32_e64 v0, v0, v20, s[56:57]
	v_cndmask_b32_e64 v3, v3, v23, s[56:57]
	v_cndmask_b32_e64 v2, v2, v22, s[56:57]
	s_or_b64 s[30:31], vcc, s[30:31]
	s_andn2_b64 exec, exec, s[28:29]
	s_cbranch_execz .LBB8_2028
.LBB8_2021:                             ;   Parent Loop BB8_47 Depth=1
                                        ;     Parent Loop BB8_1941 Depth=2
                                        ;       Parent Loop BB8_1944 Depth=3
                                        ; =>      This Inner Loop Header: Depth=4
	global_load_dwordx4 v[20:23], v[30:31], off glc slc
	global_load_dwordx4 v[24:27], v[30:31], off offset:1024 glc slc
	s_and_saveexec_b64 s[58:59], s[56:57]
	s_cbranch_execz .LBB8_2023
; %bb.2022:                             ;   in Loop: Header=BB8_2021 Depth=4
	global_store_dwordx4 v[0:1], v[12:15], off glc slc
	global_store_dwordx4 v[0:1], v[16:19], off offset:1024 glc slc
	global_store_dwordx4 v[2:3], v[12:15], off glc slc
	global_store_dwordx4 v[2:3], v[16:19], off offset:1024 glc slc
	v_add_co_u32_e32 v0, vcc, v0, v7
	v_addc_co_u32_e32 v1, vcc, v1, v4, vcc
	v_add_co_u32_e32 v2, vcc, v2, v7
	v_addc_co_u32_e32 v3, vcc, v3, v4, vcc
.LBB8_2023:                             ;   in Loop: Header=BB8_2021 Depth=4
	s_or_b64 exec, exec, s[58:59]
	v_accvgpr_read_b32 v28, a20
	v_add_co_u32_e32 v30, vcc, v30, v7
	v_sub_u32_e32 v29, v29, v28
	v_addc_co_u32_e32 v31, vcc, v31, v4, vcc
	v_cmp_lt_i32_e64 s[56:57], 0, v29
	v_mov_b32_e32 v49, 0
	v_pk_mov_b32 v[38:39], 0, 0
	s_and_saveexec_b64 s[58:59], s[56:57]
	s_cbranch_execz .LBB8_2020
; %bb.2024:                             ;   in Loop: Header=BB8_2021 Depth=4
	global_load_dwordx4 v[12:15], v[30:31], off glc slc
	global_load_dwordx4 v[16:19], v[30:31], off offset:1024 glc slc
	v_add_co_u32_e32 v30, vcc, 0x800, v30
	v_accvgpr_read_b32 v39, a25
	v_addc_co_u32_e32 v31, vcc, 0, v31, vcc
	v_accvgpr_read_b32 v49, a20
	v_accvgpr_read_b32 v38, a24
	s_branch .LBB8_2020
.LBB8_2025:                             ;   in Loop: Header=BB8_1944 Depth=3
	s_cbranch_execnz .LBB8_2081
	s_branch .LBB8_2139
.LBB8_2026:                             ;   in Loop: Header=BB8_1944 Depth=3
	s_mov_b64 s[54:55], 0
                                        ; implicit-def: $sgpr28
                                        ; implicit-def: $vgpr8_vgpr9
	s_andn2_b64 vcc, exec, s[26:27]
	s_cbranch_vccz .LBB8_2018
.LBB8_2027:                             ;   in Loop: Header=BB8_1944 Depth=3
	v_mov_b32_e32 v17, s28
	v_mov_b32_e32 v16, v35
	v_accvgpr_read_b32 v18, a37
	v_accvgpr_read_b32 v0, a36
	s_and_saveexec_b64 s[30:31], s[54:55]
	s_cbranch_execnz .LBB8_2053
	s_branch .LBB8_2080
.LBB8_2028:                             ;   in Loop: Header=BB8_1944 Depth=3
	s_or_b64 exec, exec, s[28:29]
	s_and_b64 s[28:29], s[30:31], exec
.LBB8_2029:                             ;   in Loop: Header=BB8_1944 Depth=3
	s_or_b64 exec, exec, s[26:27]
	s_and_saveexec_b64 s[26:27], s[28:29]
	s_cbranch_execz .LBB8_2031
; %bb.2030:                             ;   in Loop: Header=BB8_1944 Depth=3
	global_store_dwordx4 v[0:1], v[12:15], off glc slc
	global_store_dwordx4 v[0:1], v[16:19], off offset:1024 glc slc
	global_store_dwordx4 v[2:3], v[12:15], off glc slc
	global_store_dwordx4 v[2:3], v[16:19], off offset:1024 glc slc
.LBB8_2031:                             ;   in Loop: Header=BB8_1944 Depth=3
	s_or_b64 exec, exec, s[26:27]
	v_lshlrev_b32_e32 v24, 11, v5
	v_cmp_ne_u32_e32 vcc, v35, v24
                                        ; implicit-def: $vgpr16
                                        ; implicit-def: $vgpr17
                                        ; implicit-def: $vgpr18
                                        ; implicit-def: $vgpr0
	s_and_saveexec_b64 s[56:57], vcc
	s_cbranch_execz .LBB8_2052
; %bb.2032:                             ;   in Loop: Header=BB8_1944 Depth=3
	v_lshlrev_b32_e32 v1, 6, v29
	v_accvgpr_read_b32 v2, a37
	v_sub_u32_e32 v1, v2, v1
	v_ashrrev_i32_e32 v2, 31, v1
	v_lshrrev_b32_e32 v2, 26, v2
	v_add_u32_e32 v2, v1, v2
	v_ashrrev_i32_e32 v14, 6, v2
	v_and_b32_e32 v2, 0xffffffc0, v2
	v_sub_u32_e32 v25, v1, v2
	v_lshlrev_b32_e32 v1, 4, v25
	v_sub_u32_e32 v0, v35, v24
	v_lshl_add_u32 v1, v14, 10, v1
	v_add_u32_e32 v12, v1, v24
	v_sub_u32_e32 v5, v0, v1
	v_ashrrev_i32_e32 v1, 31, v0
	v_lshrrev_b32_e32 v1, 22, v1
	v_add_u32_e32 v1, v0, v1
	v_and_b32_e32 v26, 0xfffffc00, v1
	v_sub_u32_e32 v27, v0, v26
	v_ashrrev_i32_e32 v2, 10, v1
	v_cmp_lt_i32_e64 s[26:27], 15, v27
	v_addc_co_u32_e64 v15, vcc, 0, v2, s[26:27]
	v_ashrrev_i32_e32 v1, 31, v12
	v_add_co_u32_e32 v0, vcc, v12, v8
	v_addc_co_u32_e32 v3, vcc, v1, v9, vcc
	v_add_co_u32_e32 v2, vcc, v12, v10
	v_addc_co_u32_e32 v13, vcc, v1, v11, vcc
	v_sub_u32_e32 v30, v15, v14
	v_cmp_lt_i32_e32 vcc, 15, v5
	s_mov_b64 s[28:29], 0
                                        ; implicit-def: $vgpr14_vgpr15
	s_and_saveexec_b64 s[58:59], vcc
	s_cbranch_execz .LBB8_2046
; %bb.2033:                             ;   in Loop: Header=BB8_1944 Depth=3
	s_trap 2
	ds_read_b64 v[14:15], v0
	s_mov_b64 s[64:65], 0
	s_mov_b64 s[60:61], 0
                                        ; implicit-def: $sgpr62_sgpr63
	s_waitcnt lgkmcnt(0)
	v_add_co_u32_e32 v22, vcc, v14, v12
	v_addc_co_u32_e32 v23, vcc, v15, v1, vcc
                                        ; implicit-def: $vgpr14_vgpr15
	s_branch .LBB8_2035
.LBB8_2034:                             ;   in Loop: Header=BB8_2035 Depth=4
	s_or_b64 exec, exec, s[28:29]
	v_cmp_gt_i32_e32 vcc, 16, v5
	s_or_b64 s[60:61], vcc, s[60:61]
	s_andn2_b64 s[28:29], s[62:63], exec
	s_and_b64 vcc, s[64:65], exec
	s_or_b64 s[62:63], s[28:29], vcc
	s_andn2_b64 exec, exec, s[60:61]
	s_cbranch_execz .LBB8_2045
.LBB8_2035:                             ;   Parent Loop BB8_47 Depth=1
                                        ;     Parent Loop BB8_1941 Depth=2
                                        ;       Parent Loop BB8_1944 Depth=3
                                        ; =>      This Loop Header: Depth=4
                                        ;           Child Loop BB8_2037 Depth 5
                                        ;           Child Loop BB8_2042 Depth 5
	global_load_dwordx4 v[18:21], v[22:23], off glc slc
	s_and_saveexec_b64 s[66:67], s[64:65]
	s_cbranch_execz .LBB8_2039
; %bb.2036:                             ;   in Loop: Header=BB8_2035 Depth=4
	s_mov_b64 s[68:69], 0
	s_mov_b64 s[64:65], -1
.LBB8_2037:                             ;   Parent Loop BB8_47 Depth=1
                                        ;     Parent Loop BB8_1941 Depth=2
                                        ;       Parent Loop BB8_1944 Depth=3
                                        ;         Parent Loop BB8_2035 Depth=4
                                        ; =>        This Inner Loop Header: Depth=5
	s_cmp_eq_u32 s68, 1
	s_cselect_b64 s[28:29], -1, 0
	v_cndmask_b32_e64 v28, v0, v2, s[28:29]
	v_cndmask_b32_e64 v29, v3, v13, s[28:29]
	v_add_co_u32_e32 v1, vcc, 0x400, v28
	s_cmp_eq_u32 s68, 0
	v_addc_co_u32_e32 v12, vcc, 0, v29, vcc
	s_cselect_b64 vcc, -1, 0
	s_and_b64 s[30:31], exec, s[64:65]
	s_mov_b64 s[68:69], 1
	v_cndmask_b32_e64 v2, v2, v1, s[28:29]
	s_mov_b64 s[64:65], 0
	v_cndmask_b32_e64 v13, v13, v12, s[28:29]
	v_cndmask_b32_e32 v3, v3, v12, vcc
	v_cndmask_b32_e32 v0, v0, v1, vcc
	s_mov_b64 vcc, s[30:31]
	global_store_dwordx4 v[28:29], v[14:17], off glc slc
	s_cbranch_vccnz .LBB8_2037
; %bb.2038:                             ;   in Loop: Header=BB8_2035 Depth=4
	v_accvgpr_read_b32 v28, a32
	v_accvgpr_read_b32 v29, a33
	v_add_co_u32_e32 v0, vcc, v0, v28
	v_addc_co_u32_e32 v3, vcc, v3, v29, vcc
	v_add_co_u32_e32 v2, vcc, v2, v28
	v_addc_co_u32_e32 v13, vcc, v13, v29, vcc
.LBB8_2039:                             ;   in Loop: Header=BB8_2035 Depth=4
	s_or_b64 exec, exec, s[66:67]
	v_accvgpr_read_b32 v1, a38
	v_add_co_u32_e32 v22, vcc, v1, v22
	v_accvgpr_read_b32 v1, a39
	v_addc_co_u32_e32 v23, vcc, v1, v23, vcc
	v_accvgpr_read_b32 v1, a21
	v_sub_u32_e32 v5, v5, v1
	v_cmp_lt_i32_e64 s[64:65], 15, v5
	s_and_saveexec_b64 s[28:29], s[64:65]
	s_cbranch_execz .LBB8_2041
; %bb.2040:                             ;   in Loop: Header=BB8_2035 Depth=4
	global_load_dwordx4 v[14:17], v[22:23], off glc slc
	v_add_co_u32_e32 v22, vcc, 0x400, v22
	v_addc_co_u32_e32 v23, vcc, 0, v23, vcc
.LBB8_2041:                             ;   in Loop: Header=BB8_2035 Depth=4
	s_or_b64 exec, exec, s[28:29]
	s_mov_b64 s[68:69], 0
	s_mov_b64 s[66:67], -1
	s_waitcnt vmcnt(0)
.LBB8_2042:                             ;   Parent Loop BB8_47 Depth=1
                                        ;     Parent Loop BB8_1941 Depth=2
                                        ;       Parent Loop BB8_1944 Depth=3
                                        ;         Parent Loop BB8_2035 Depth=4
                                        ; =>        This Inner Loop Header: Depth=5
	s_cmp_eq_u32 s68, 1
	s_cselect_b64 s[28:29], -1, 0
	v_cndmask_b32_e64 v28, v0, v2, s[28:29]
	v_cndmask_b32_e64 v29, v3, v13, s[28:29]
	v_add_co_u32_e32 v1, vcc, 0x400, v28
	s_cmp_eq_u32 s68, 0
	v_addc_co_u32_e32 v12, vcc, 0, v29, vcc
	s_cselect_b64 vcc, -1, 0
	s_and_b64 s[30:31], exec, s[66:67]
	s_mov_b64 s[68:69], 1
	v_cndmask_b32_e64 v2, v2, v1, s[28:29]
	s_mov_b64 s[66:67], 0
	v_cndmask_b32_e64 v13, v13, v12, s[28:29]
	v_cndmask_b32_e32 v3, v3, v12, vcc
	v_cndmask_b32_e32 v0, v0, v1, vcc
	s_mov_b64 vcc, s[30:31]
	global_store_dwordx4 v[28:29], v[18:21], off glc slc
	s_cbranch_vccnz .LBB8_2042
; %bb.2043:                             ;   in Loop: Header=BB8_2035 Depth=4
	v_accvgpr_read_b32 v12, a20
	v_sub_u32_e32 v30, v30, v12
	s_and_saveexec_b64 s[28:29], s[64:65]
	s_cbranch_execz .LBB8_2034
; %bb.2044:                             ;   in Loop: Header=BB8_2035 Depth=4
	v_accvgpr_read_b32 v18, a32
	v_accvgpr_read_b32 v19, a33
	v_add_co_u32_e32 v0, vcc, v0, v18
	v_addc_co_u32_e32 v3, vcc, v3, v19, vcc
	v_add_co_u32_e32 v2, vcc, v2, v18
	v_addc_co_u32_e32 v13, vcc, v13, v19, vcc
	v_add_co_u32_e32 v22, vcc, v22, v18
	v_accvgpr_read_b32 v1, a21
	v_accvgpr_read_b32 v12, a20
	v_addc_co_u32_e32 v23, vcc, v23, v19, vcc
	v_sub_u32_e32 v5, v5, v1
	v_sub_u32_e32 v30, v30, v12
	s_branch .LBB8_2034
.LBB8_2045:                             ;   in Loop: Header=BB8_1944 Depth=3
	s_or_b64 exec, exec, s[60:61]
	s_and_b64 s[28:29], s[62:63], exec
.LBB8_2046:                             ;   in Loop: Header=BB8_1944 Depth=3
	s_or_b64 exec, exec, s[58:59]
	s_and_saveexec_b64 s[58:59], s[28:29]
	s_cbranch_execz .LBB8_2049
; %bb.2047:                             ;   in Loop: Header=BB8_1944 Depth=3
	s_mov_b64 s[62:63], 0
	s_mov_b64 s[60:61], -1
.LBB8_2048:                             ;   Parent Loop BB8_47 Depth=1
                                        ;     Parent Loop BB8_1941 Depth=2
                                        ;       Parent Loop BB8_1944 Depth=3
                                        ; =>      This Inner Loop Header: Depth=4
	s_cmp_eq_u32 s62, 1
	s_cselect_b64 s[28:29], -1, 0
	v_cndmask_b32_e64 v18, v0, v2, s[28:29]
	v_cndmask_b32_e64 v19, v3, v13, s[28:29]
	v_add_co_u32_e32 v1, vcc, 0x400, v18
	s_cmp_eq_u32 s62, 0
	v_addc_co_u32_e32 v5, vcc, 0, v19, vcc
	s_cselect_b64 vcc, -1, 0
	s_and_b64 s[30:31], exec, s[60:61]
	s_mov_b64 s[62:63], 1
	v_cndmask_b32_e64 v2, v2, v1, s[28:29]
	s_mov_b64 s[60:61], 0
	v_cndmask_b32_e64 v13, v13, v5, s[28:29]
	v_cndmask_b32_e32 v3, v3, v5, vcc
	v_cndmask_b32_e32 v0, v0, v1, vcc
	s_mov_b64 vcc, s[30:31]
	global_store_dwordx4 v[18:19], v[14:17], off glc slc
	s_cbranch_vccnz .LBB8_2048
.LBB8_2049:                             ;   in Loop: Header=BB8_1944 Depth=3
	s_or_b64 exec, exec, s[58:59]
	v_and_b32_e32 v1, 14, v35
	v_cndmask_b32_e64 v16, v27, v1, s[26:27]
	v_cmp_ne_u32_e32 vcc, 0, v16
	s_mov_b64 s[28:29], s[54:55]
                                        ; implicit-def: $vgpr17
                                        ; implicit-def: $vgpr18
                                        ; implicit-def: $vgpr0
	s_and_saveexec_b64 s[30:31], vcc
	s_cbranch_execz .LBB8_2051
; %bb.2050:                             ;   in Loop: Header=BB8_1944 Depth=3
	v_sub_u32_e32 v0, v27, v1
	v_cndmask_b32_e64 v0, 0, v0, s[26:27]
	v_add3_u32 v17, v26, v24, v0
	v_cmp_lt_i32_e32 vcc, 0, v30
	v_accvgpr_read_b32 v0, a20
	v_cndmask_b32_e32 v0, 0, v0, vcc
	v_sub_u32_e32 v0, v0, v30
	v_lshl_add_u32 v1, v0, 6, v25
	v_ashrrev_i32_e32 v0, 31, v1
	v_lshrrev_b32_e32 v0, 26, v0
	v_add_u32_e32 v2, v1, v0
	v_ashrrev_i32_e32 v0, 6, v2
	v_and_b32_e32 v2, 0xffffffc0, v2
	v_sub_u32_e32 v18, v1, v2
	s_or_b64 s[28:29], s[54:55], exec
.LBB8_2051:                             ;   in Loop: Header=BB8_1944 Depth=3
	s_or_b64 exec, exec, s[30:31]
	s_andn2_b64 s[26:27], s[54:55], exec
	s_and_b64 s[28:29], s[28:29], exec
	s_or_b64 s[54:55], s[26:27], s[28:29]
.LBB8_2052:                             ;   in Loop: Header=BB8_1944 Depth=3
	s_or_b64 exec, exec, s[56:57]
	s_and_saveexec_b64 s[30:31], s[54:55]
	s_cbranch_execz .LBB8_2080
.LBB8_2053:                             ;   in Loop: Header=BB8_1944 Depth=3
	v_lshlrev_b32_e32 v1, 10, v0
	v_lshlrev_b32_e32 v2, 1, v18
	v_add3_u32 v12, v17, v2, v1
	v_ashrrev_i32_e32 v1, 31, v16
	v_lshrrev_b32_e32 v1, 22, v1
	v_add_u32_e32 v1, v16, v1
	v_ashrrev_i32_e32 v13, 31, v12
	s_waitcnt lgkmcnt(0)
	v_add_co_u32_e32 v2, vcc, v8, v12
	v_ashrrev_i32_e32 v5, 10, v1
	v_addc_co_u32_e32 v3, vcc, v9, v13, vcc
	v_sub_u32_e32 v14, v5, v0
	v_add_co_u32_e32 v0, vcc, v10, v12
	v_addc_co_u32_e32 v1, vcc, v11, v13, vcc
	v_cmp_lt_i32_e32 vcc, 0, v14
	s_mov_b64 s[28:29], 0
                                        ; implicit-def: $vgpr19
                                        ; implicit-def: $vgpr20
                                        ; implicit-def: $vgpr21
                                        ; implicit-def: $vgpr22
                                        ; implicit-def: $vgpr23
                                        ; implicit-def: $vgpr24
                                        ; implicit-def: $vgpr25
                                        ; implicit-def: $vgpr26
	s_and_saveexec_b64 s[26:27], vcc
	s_cbranch_execz .LBB8_2061
; %bb.2054:                             ;   in Loop: Header=BB8_1944 Depth=3
	s_trap 2
	ds_read_b64 v[20:21], v0
	s_mov_b64 s[56:57], 0
                                        ; implicit-def: $sgpr54_sgpr55
                                        ; implicit-def: $vgpr19
                                        ; implicit-def: $vgpr22
                                        ; implicit-def: $vgpr23
                                        ; implicit-def: $vgpr24
                                        ; implicit-def: $vgpr25
                                        ; implicit-def: $vgpr26
	s_waitcnt lgkmcnt(0)
	v_add_co_u32_e32 v12, vcc, v20, v12
	v_addc_co_u32_e32 v13, vcc, v21, v13, vcc
                                        ; implicit-def: $vgpr20
                                        ; implicit-def: $vgpr21
	s_branch .LBB8_2056
.LBB8_2055:                             ;   in Loop: Header=BB8_2056 Depth=4
	s_or_b64 exec, exec, s[58:59]
	s_waitcnt vmcnt(0) lgkmcnt(0)
	flat_store_short v[2:3], v27 glc slc
	flat_store_short v[2:3], v29 offset:128 glc slc
	flat_store_short v[2:3], v30 offset:256 glc slc
	;; [unrolled: 1-line block ×7, first 2 shown]
	v_add_co_u32_e32 v2, vcc, s79, v2
	v_addc_co_u32_e32 v3, vcc, 0, v3, vcc
	flat_store_short v[0:1], v27 glc slc
	flat_store_short v[0:1], v29 offset:128 glc slc
	flat_store_short v[0:1], v30 offset:256 glc slc
	;; [unrolled: 1-line block ×7, first 2 shown]
	v_add_co_u32_e32 v0, vcc, s79, v0
	v_addc_co_u32_e32 v1, vcc, 0, v1, vcc
	v_accvgpr_read_b32 v30, a32
	v_accvgpr_read_b32 v31, a33
	v_add_co_u32_e32 v27, vcc, v2, v30
	v_addc_co_u32_e32 v28, vcc, v3, v31, vcc
	v_add_co_u32_e32 v29, vcc, v0, v30
	v_addc_co_u32_e32 v30, vcc, v1, v31, vcc
	;; [unrolled: 2-line block ×3, first 2 shown]
	v_sub_u32_e32 v14, v51, v52
	v_cmp_gt_i32_e32 vcc, 1, v14
	s_or_b64 s[28:29], vcc, s[28:29]
	s_andn2_b64 vcc, s[54:55], exec
	s_and_b64 s[54:55], s[56:57], exec
	v_cndmask_b32_e64 v3, v3, v28, s[56:57]
	v_cndmask_b32_e64 v2, v2, v27, s[56:57]
	;; [unrolled: 1-line block ×4, first 2 shown]
	s_or_b64 s[54:55], vcc, s[54:55]
	s_andn2_b64 exec, exec, s[28:29]
	s_cbranch_execz .LBB8_2060
.LBB8_2056:                             ;   Parent Loop BB8_47 Depth=1
                                        ;     Parent Loop BB8_1941 Depth=2
                                        ;       Parent Loop BB8_1944 Depth=3
                                        ; =>      This Inner Loop Header: Depth=4
	flat_load_ushort v27, v[12:13] glc slc
	flat_load_ushort v29, v[12:13] offset:128 glc slc
	flat_load_ushort v30, v[12:13] offset:256 glc slc
	;; [unrolled: 1-line block ×7, first 2 shown]
	s_and_saveexec_b64 s[58:59], s[56:57]
	s_cbranch_execz .LBB8_2058
; %bb.2057:                             ;   in Loop: Header=BB8_2056 Depth=4
	v_accvgpr_read_b32 v15, a38
	flat_store_short v[2:3], v19 glc slc
	flat_store_short v[2:3], v20 offset:128 glc slc
	flat_store_short v[2:3], v21 offset:256 glc slc
	;; [unrolled: 1-line block ×7, first 2 shown]
	flat_store_short v[0:1], v19 glc slc
	flat_store_short v[0:1], v20 offset:128 glc slc
	flat_store_short v[0:1], v21 offset:256 glc slc
	;; [unrolled: 1-line block ×7, first 2 shown]
	v_add_co_u32_e32 v2, vcc, v2, v15
	v_accvgpr_read_b32 v28, a39
	v_addc_co_u32_e32 v3, vcc, v3, v28, vcc
	v_add_co_u32_e32 v0, vcc, v0, v15
	v_addc_co_u32_e32 v1, vcc, v1, v28, vcc
.LBB8_2058:                             ;   in Loop: Header=BB8_2056 Depth=4
	s_or_b64 exec, exec, s[58:59]
	v_accvgpr_read_b32 v15, a38
	v_accvgpr_read_b32 v28, a20
	v_add_co_u32_e32 v12, vcc, v12, v15
	v_accvgpr_read_b32 v15, a39
	v_sub_u32_e32 v51, v14, v28
	v_addc_co_u32_e32 v13, vcc, v13, v15, vcc
	v_cmp_lt_i32_e64 s[56:57], 0, v51
	v_mov_b32_e32 v52, 0
	v_pk_mov_b32 v[14:15], 0, 0
	s_and_saveexec_b64 s[58:59], s[56:57]
	s_cbranch_execz .LBB8_2055
; %bb.2059:                             ;   in Loop: Header=BB8_2056 Depth=4
	flat_load_ushort v19, v[12:13] glc slc
	flat_load_ushort v20, v[12:13] offset:128 glc slc
	flat_load_ushort v21, v[12:13] offset:256 glc slc
	flat_load_ushort v22, v[12:13] offset:384 glc slc
	flat_load_ushort v23, v[12:13] offset:512 glc slc
	flat_load_ushort v24, v[12:13] offset:640 glc slc
	flat_load_ushort v25, v[12:13] offset:768 glc slc
	flat_load_ushort v26, v[12:13] offset:896 glc slc
	v_add_co_u32_e32 v12, vcc, 0x400, v12
	v_accvgpr_read_b32 v14, a32
	v_addc_co_u32_e32 v13, vcc, 0, v13, vcc
	v_accvgpr_read_b32 v52, a20
	v_accvgpr_read_b32 v15, a33
	s_branch .LBB8_2055
.LBB8_2060:                             ;   in Loop: Header=BB8_1944 Depth=3
	s_or_b64 exec, exec, s[28:29]
	s_and_b64 s[28:29], s[54:55], exec
.LBB8_2061:                             ;   in Loop: Header=BB8_1944 Depth=3
	s_or_b64 exec, exec, s[26:27]
	s_and_saveexec_b64 s[26:27], s[28:29]
	s_cbranch_execz .LBB8_2063
; %bb.2062:                             ;   in Loop: Header=BB8_1944 Depth=3
	flat_store_short v[2:3], v19 glc slc
	flat_store_short v[2:3], v20 offset:128 glc slc
	flat_store_short v[2:3], v21 offset:256 glc slc
	;; [unrolled: 1-line block ×7, first 2 shown]
	flat_store_short v[0:1], v19 glc slc
	flat_store_short v[0:1], v20 offset:128 glc slc
	flat_store_short v[0:1], v21 offset:256 glc slc
	;; [unrolled: 1-line block ×7, first 2 shown]
.LBB8_2063:                             ;   in Loop: Header=BB8_1944 Depth=3
	s_or_b64 exec, exec, s[26:27]
	v_lshlrev_b32_e32 v0, 10, v5
	v_cmp_ne_u32_e32 vcc, v16, v0
	s_and_saveexec_b64 s[54:55], vcc
	s_cbranch_execz .LBB8_2079
; %bb.2064:                             ;   in Loop: Header=BB8_1944 Depth=3
	v_lshlrev_b32_e32 v1, 6, v14
	v_sub_u32_e32 v1, v18, v1
	v_ashrrev_i32_e32 v2, 31, v1
	v_lshrrev_b32_e32 v2, 26, v2
	v_add_u32_e32 v2, v1, v2
	v_and_b32_e32 v3, 0x7fffffc0, v2
	v_sub_u32_e32 v1, v1, v3
	v_lshlrev_b32_e32 v2, 1, v2
	v_and_b32_e32 v2, 0xffffff80, v2
	v_lshlrev_b32_e32 v1, 1, v1
	v_add3_u32 v0, v2, v1, v0
	v_add_u32_e32 v12, v0, v17
	v_sub_u32_e32 v13, v16, v0
	v_ashrrev_i32_e32 v1, 31, v12
	v_add_co_u32_e32 v0, vcc, v8, v12
	v_addc_co_u32_e32 v3, vcc, v9, v1, vcc
	v_add_co_u32_e32 v2, vcc, v10, v12
	v_addc_co_u32_e32 v9, vcc, v11, v1, vcc
	v_cmp_lt_i32_e32 vcc, 1, v13
	s_mov_b64 s[26:27], 0
                                        ; implicit-def: $vgpr5
	s_and_saveexec_b64 s[56:57], vcc
	s_cbranch_execz .LBB8_2076
; %bb.2065:                             ;   in Loop: Header=BB8_1944 Depth=3
	s_trap 2
	ds_read_b64 v[10:11], v0
	s_mov_b64 s[62:63], 0
	s_mov_b64 s[58:59], 0
                                        ; implicit-def: $sgpr60_sgpr61
                                        ; implicit-def: $vgpr5
	s_waitcnt lgkmcnt(0)
	v_add_co_u32_e32 v10, vcc, v10, v12
	v_addc_co_u32_e32 v11, vcc, v11, v1, vcc
.LBB8_2066:                             ;   Parent Loop BB8_47 Depth=1
                                        ;     Parent Loop BB8_1941 Depth=2
                                        ;       Parent Loop BB8_1944 Depth=3
                                        ; =>      This Loop Header: Depth=4
                                        ;           Child Loop BB8_2068 Depth 5
                                        ;           Child Loop BB8_2073 Depth 5
	flat_load_ushort v1, v[10:11] glc slc
	s_and_saveexec_b64 s[64:65], s[62:63]
	s_cbranch_execz .LBB8_2070
; %bb.2067:                             ;   in Loop: Header=BB8_2066 Depth=4
	s_mov_b64 s[66:67], 0
	s_mov_b64 s[62:63], -1
.LBB8_2068:                             ;   Parent Loop BB8_47 Depth=1
                                        ;     Parent Loop BB8_1941 Depth=2
                                        ;       Parent Loop BB8_1944 Depth=3
                                        ;         Parent Loop BB8_2066 Depth=4
                                        ; =>        This Inner Loop Header: Depth=5
	s_cmp_eq_u32 s66, 1
	s_cselect_b64 s[26:27], -1, 0
	v_cndmask_b32_e64 v14, v0, v2, s[26:27]
	v_cndmask_b32_e64 v15, v3, v9, s[26:27]
	v_add_co_u32_e32 v8, vcc, 0x80, v14
	s_cmp_eq_u32 s66, 0
	v_addc_co_u32_e32 v12, vcc, 0, v15, vcc
	s_cselect_b64 vcc, -1, 0
	s_and_b64 s[28:29], exec, s[62:63]
	s_mov_b64 s[66:67], 1
	v_cndmask_b32_e64 v2, v2, v8, s[26:27]
	s_mov_b64 s[62:63], 0
	v_cndmask_b32_e64 v9, v9, v12, s[26:27]
	v_cndmask_b32_e32 v3, v3, v12, vcc
	v_cndmask_b32_e32 v0, v0, v8, vcc
	s_mov_b64 vcc, s[28:29]
	flat_store_short v[14:15], v5 glc slc
	s_cbranch_vccnz .LBB8_2068
; %bb.2069:                             ;   in Loop: Header=BB8_2066 Depth=4
	v_accvgpr_read_b32 v14, a34
	v_accvgpr_read_b32 v15, a35
	v_add_co_u32_e32 v0, vcc, v0, v14
	v_addc_co_u32_e32 v3, vcc, v3, v15, vcc
	v_add_co_u32_e32 v2, vcc, v2, v14
	v_addc_co_u32_e32 v9, vcc, v9, v15, vcc
.LBB8_2070:                             ;   in Loop: Header=BB8_2066 Depth=4
	s_or_b64 exec, exec, s[64:65]
	v_accvgpr_read_b32 v8, a42
	v_add_co_u32_e32 v10, vcc, v8, v10
	v_accvgpr_read_b32 v8, a43
	v_addc_co_u32_e32 v11, vcc, v8, v11, vcc
	v_accvgpr_read_b32 v8, a31
	v_sub_u32_e32 v8, v13, v8
	v_cmp_lt_i32_e64 s[62:63], 1, v8
	s_and_saveexec_b64 s[26:27], s[62:63]
	s_cbranch_execz .LBB8_2072
; %bb.2071:                             ;   in Loop: Header=BB8_2066 Depth=4
	flat_load_ushort v5, v[10:11] glc slc
	v_add_co_u32_e32 v10, vcc, 0x80, v10
	v_addc_co_u32_e32 v11, vcc, 0, v11, vcc
.LBB8_2072:                             ;   in Loop: Header=BB8_2066 Depth=4
	s_or_b64 exec, exec, s[26:27]
	s_mov_b64 s[66:67], 0
	s_mov_b64 s[64:65], -1
	s_waitcnt vmcnt(0)
.LBB8_2073:                             ;   Parent Loop BB8_47 Depth=1
                                        ;     Parent Loop BB8_1941 Depth=2
                                        ;       Parent Loop BB8_1944 Depth=3
                                        ;         Parent Loop BB8_2066 Depth=4
                                        ; =>        This Inner Loop Header: Depth=5
	s_cmp_eq_u32 s66, 1
	s_cselect_b64 s[26:27], -1, 0
	v_cndmask_b32_e64 v13, v3, v9, s[26:27]
	v_cndmask_b32_e64 v12, v0, v2, s[26:27]
	s_waitcnt lgkmcnt(0)
	flat_store_short v[12:13], v1 glc slc
	v_add_co_u32_e32 v12, vcc, 0x80, v12
	s_cmp_eq_u32 s66, 0
	v_addc_co_u32_e32 v13, vcc, 0, v13, vcc
	s_cselect_b64 vcc, -1, 0
	s_and_b64 s[28:29], exec, s[64:65]
	s_mov_b64 s[66:67], 1
	v_cndmask_b32_e64 v2, v2, v12, s[26:27]
	s_mov_b64 s[64:65], 0
	v_cndmask_b32_e64 v9, v9, v13, s[26:27]
	v_cndmask_b32_e32 v3, v3, v13, vcc
	v_cndmask_b32_e32 v0, v0, v12, vcc
	s_mov_b64 vcc, s[28:29]
	s_cbranch_vccnz .LBB8_2073
; %bb.2074:                             ;   in Loop: Header=BB8_2066 Depth=4
	v_accvgpr_read_b32 v16, a34
	v_accvgpr_read_b32 v17, a35
	v_add_co_u32_e32 v1, vcc, v0, v16
	v_addc_co_u32_e32 v12, vcc, v3, v17, vcc
	v_add_co_u32_e32 v13, vcc, v2, v16
	v_addc_co_u32_e32 v14, vcc, v9, v17, vcc
	v_cndmask_b32_e64 v16, 0, v16, s[62:63]
	v_cndmask_b32_e64 v0, v0, v1, s[62:63]
	v_accvgpr_read_b32 v1, a31
	v_cndmask_b32_e64 v15, 0, v17, s[62:63]
	v_add_co_u32_e32 v10, vcc, v10, v16
	v_cndmask_b32_e64 v1, 0, v1, s[62:63]
	v_addc_co_u32_e32 v11, vcc, v11, v15, vcc
	v_cndmask_b32_e64 v2, v2, v13, s[62:63]
	v_sub_u32_e32 v13, v8, v1
	v_cmp_gt_i32_e32 vcc, 2, v13
	s_or_b64 s[58:59], vcc, s[58:59]
	s_andn2_b64 s[26:27], s[60:61], exec
	s_and_b64 s[28:29], s[62:63], exec
	v_cndmask_b32_e64 v9, v9, v14, s[62:63]
	v_cndmask_b32_e64 v3, v3, v12, s[62:63]
	s_or_b64 s[60:61], s[26:27], s[28:29]
	s_andn2_b64 exec, exec, s[58:59]
	s_cbranch_execnz .LBB8_2066
; %bb.2075:                             ;   in Loop: Header=BB8_1944 Depth=3
	s_or_b64 exec, exec, s[58:59]
	s_and_b64 s[26:27], s[60:61], exec
.LBB8_2076:                             ;   in Loop: Header=BB8_1944 Depth=3
	s_or_b64 exec, exec, s[56:57]
	s_and_b64 exec, exec, s[26:27]
	s_cbranch_execz .LBB8_2079
; %bb.2077:                             ;   in Loop: Header=BB8_1944 Depth=3
	s_mov_b64 s[58:59], 0
	s_mov_b64 s[56:57], -1
.LBB8_2078:                             ;   Parent Loop BB8_47 Depth=1
                                        ;     Parent Loop BB8_1941 Depth=2
                                        ;       Parent Loop BB8_1944 Depth=3
                                        ; =>      This Inner Loop Header: Depth=4
	s_cmp_eq_u32 s58, 1
	s_cselect_b64 s[26:27], -1, 0
	v_cndmask_b32_e64 v10, v0, v2, s[26:27]
	v_cndmask_b32_e64 v11, v3, v9, s[26:27]
	v_add_co_u32_e32 v1, vcc, 0x80, v10
	s_cmp_eq_u32 s58, 0
	v_addc_co_u32_e32 v8, vcc, 0, v11, vcc
	s_cselect_b64 vcc, -1, 0
	s_and_b64 s[28:29], exec, s[56:57]
	s_mov_b64 s[58:59], 1
	v_cndmask_b32_e64 v2, v2, v1, s[26:27]
	s_mov_b64 s[56:57], 0
	v_cndmask_b32_e64 v9, v9, v8, s[26:27]
	v_cndmask_b32_e32 v3, v3, v8, vcc
	v_cndmask_b32_e32 v0, v0, v1, vcc
	s_mov_b64 vcc, s[28:29]
	flat_store_short v[10:11], v5 glc slc
	s_cbranch_vccnz .LBB8_2078
.LBB8_2079:                             ;   in Loop: Header=BB8_1944 Depth=3
	s_or_b64 exec, exec, s[54:55]
.LBB8_2080:                             ;   in Loop: Header=BB8_1944 Depth=3
	s_or_b64 exec, exec, s[30:31]
	s_branch .LBB8_2139
.LBB8_2081:                             ;   in Loop: Header=BB8_1944 Depth=3
	s_mov_b64 s[26:27], -1
	s_and_saveexec_b64 s[28:29], s[20:21]
	s_cbranch_execz .LBB8_2083
; %bb.2082:                             ;   in Loop: Header=BB8_1944 Depth=3
	ds_read_b32 v0, v0 offset:720
	s_waitcnt lgkmcnt(0)
	v_and_b32_e32 v0, 15, v0
	v_cmp_eq_u32_e32 vcc, 0, v0
	s_orn2_b64 s[26:27], vcc, exec
.LBB8_2083:                             ;   in Loop: Header=BB8_1944 Depth=3
	s_or_b64 exec, exec, s[28:29]
	s_and_saveexec_b64 s[28:29], s[18:19]
	s_cbranch_execz .LBB8_2085
; %bb.2084:                             ;   in Loop: Header=BB8_1944 Depth=3
	ds_read_b32 v0, v0 offset:784
	s_waitcnt lgkmcnt(0)
	v_and_b32_e32 v0, 15, v0
	v_cmp_eq_u32_e32 vcc, 0, v0
	s_and_b64 vcc, s[26:27], vcc
	s_andn2_b64 s[26:27], s[26:27], exec
	s_and_b64 vcc, vcc, exec
	s_or_b64 s[26:27], s[26:27], vcc
.LBB8_2085:                             ;   in Loop: Header=BB8_1944 Depth=3
	s_or_b64 exec, exec, s[28:29]
	s_xor_b64 s[26:27], s[26:27], -1
	v_cndmask_b32_e64 v0, 0, 1, s[26:27]
	;;#ASMSTART
	;;#ASMEND
	s_trap 2
	ds_read_b64 v[2:3], v0
	s_mov_b64 s[26:27], -1
	v_cmp_ne_u32_e32 vcc, 0, v0
	s_cbranch_vccz .LBB8_2094
; %bb.2086:                             ;   in Loop: Header=BB8_1944 Depth=3
	s_mov_b64 s[28:29], -1
	s_mov_b32 s30, 0
	s_cbranch_execnz .LBB8_2095
.LBB8_2087:                             ;   in Loop: Header=BB8_1944 Depth=3
	v_ashrrev_i32_e32 v0, 31, v35
	v_lshrrev_b32_e32 v0, 21, v0
	v_add_u32_e32 v0, v35, v0
	v_ashrrev_i32_e32 v5, 11, v0
	v_accvgpr_read_b32 v0, a36
	v_sub_u32_e32 v26, v5, v0
	v_accvgpr_read_b32 v0, a40
	s_waitcnt lgkmcnt(0)
	v_add_co_u32_e32 v0, vcc, v2, v0
	v_accvgpr_read_b32 v1, a41
	v_addc_co_u32_e32 v1, vcc, v3, v1, vcc
	v_cmp_lt_i32_e32 vcc, 0, v26
	s_mov_b64 s[30:31], 0
                                        ; implicit-def: $vgpr8_vgpr9
                                        ; implicit-def: $vgpr12_vgpr13
	s_and_saveexec_b64 s[26:27], vcc
	s_cbranch_execz .LBB8_2097
; %bb.2088:                             ;   in Loop: Header=BB8_1944 Depth=3
	s_trap 2
	ds_read_b64 v[8:9], v0
	v_accvgpr_read_b32 v10, a40
	v_accvgpr_read_b32 v11, a41
	s_mov_b64 s[56:57], 0
                                        ; implicit-def: $sgpr54_sgpr55
                                        ; implicit-def: $vgpr12_vgpr13
	s_waitcnt lgkmcnt(0)
	v_add_co_u32_e32 v24, vcc, v8, v10
	v_addc_co_u32_e32 v25, vcc, v9, v11, vcc
                                        ; implicit-def: $vgpr8_vgpr9
	s_branch .LBB8_2090
.LBB8_2089:                             ;   in Loop: Header=BB8_2090 Depth=4
	s_or_b64 exec, exec, s[58:59]
	s_waitcnt vmcnt(0)
	global_store_dwordx4 v[0:1], v[16:19], off glc slc
	global_store_dwordx4 v[0:1], v[20:23], off offset:1024 glc slc
	v_add_co_u32_e32 v0, vcc, v0, v26
	v_addc_co_u32_e32 v1, vcc, v1, v27, vcc
	v_add_co_u32_e32 v0, vcc, 0x800, v0
	v_addc_co_u32_e32 v1, vcc, 0, v1, vcc
	;; [unrolled: 2-line block ×3, first 2 shown]
	v_sub_u32_e32 v26, v29, v30
	v_cmp_gt_i32_e32 vcc, 1, v26
	s_or_b64 s[30:31], vcc, s[30:31]
	s_andn2_b64 vcc, s[54:55], exec
	s_and_b64 s[54:55], s[56:57], exec
	s_or_b64 s[54:55], vcc, s[54:55]
	s_andn2_b64 exec, exec, s[30:31]
	s_cbranch_execz .LBB8_2096
.LBB8_2090:                             ;   Parent Loop BB8_47 Depth=1
                                        ;     Parent Loop BB8_1941 Depth=2
                                        ;       Parent Loop BB8_1944 Depth=3
                                        ; =>      This Inner Loop Header: Depth=4
	global_load_dwordx4 v[16:19], v[24:25], off glc slc
	global_load_dwordx4 v[20:23], v[24:25], off offset:1024 glc slc
	s_and_saveexec_b64 s[58:59], s[56:57]
	s_cbranch_execz .LBB8_2092
; %bb.2091:                             ;   in Loop: Header=BB8_2090 Depth=4
	v_add_co_u32_e32 v28, vcc, v0, v7
	v_addc_co_u32_e32 v29, vcc, v1, v4, vcc
	global_store_dwordx4 v[0:1], v[8:11], off glc slc
	global_store_dwordx4 v[0:1], v[12:15], off offset:1024 glc slc
	v_pk_mov_b32 v[0:1], v[28:29], v[28:29] op_sel:[0,1]
.LBB8_2092:                             ;   in Loop: Header=BB8_2090 Depth=4
	s_or_b64 exec, exec, s[58:59]
	v_accvgpr_read_b32 v28, a20
	v_add_co_u32_e32 v24, vcc, v24, v7
	v_sub_u32_e32 v29, v26, v28
	v_addc_co_u32_e32 v25, vcc, v25, v4, vcc
	v_cmp_lt_i32_e64 s[56:57], 0, v29
	v_mov_b32_e32 v30, 0
	v_pk_mov_b32 v[26:27], 0, 0
	s_and_saveexec_b64 s[58:59], s[56:57]
	s_cbranch_execz .LBB8_2089
; %bb.2093:                             ;   in Loop: Header=BB8_2090 Depth=4
	global_load_dwordx4 v[8:11], v[24:25], off glc slc
	global_load_dwordx4 v[12:15], v[24:25], off offset:1024 glc slc
	v_add_co_u32_e32 v24, vcc, 0x800, v24
	v_accvgpr_read_b32 v27, a25
	v_addc_co_u32_e32 v25, vcc, 0, v25, vcc
	v_accvgpr_read_b32 v30, a20
	v_accvgpr_read_b32 v26, a24
	s_branch .LBB8_2089
.LBB8_2094:                             ;   in Loop: Header=BB8_1944 Depth=3
	s_mov_b64 s[28:29], 0
                                        ; implicit-def: $sgpr30
	s_andn2_b64 vcc, exec, s[26:27]
	s_cbranch_vccz .LBB8_2087
.LBB8_2095:                             ;   in Loop: Header=BB8_1944 Depth=3
	v_mov_b32_e32 v5, s30
	v_accvgpr_read_b32 v12, a37
	v_accvgpr_read_b32 v0, a36
	s_and_saveexec_b64 s[26:27], s[28:29]
	s_cbranch_execnz .LBB8_2116
	s_branch .LBB8_2138
.LBB8_2096:                             ;   in Loop: Header=BB8_1944 Depth=3
	s_or_b64 exec, exec, s[30:31]
	s_and_b64 s[30:31], s[54:55], exec
.LBB8_2097:                             ;   in Loop: Header=BB8_1944 Depth=3
	s_or_b64 exec, exec, s[26:27]
	s_and_saveexec_b64 s[26:27], s[30:31]
	s_cbranch_execz .LBB8_2099
; %bb.2098:                             ;   in Loop: Header=BB8_1944 Depth=3
	global_store_dwordx4 v[0:1], v[8:11], off glc slc
	global_store_dwordx4 v[0:1], v[12:15], off offset:1024 glc slc
.LBB8_2099:                             ;   in Loop: Header=BB8_1944 Depth=3
	s_or_b64 exec, exec, s[26:27]
	v_lshlrev_b32_e32 v18, 11, v5
	v_cmp_ne_u32_e32 vcc, v35, v18
                                        ; implicit-def: $vgpr5
                                        ; implicit-def: $vgpr12
                                        ; implicit-def: $vgpr0
	s_and_saveexec_b64 s[30:31], vcc
	s_cbranch_execz .LBB8_2115
; %bb.2100:                             ;   in Loop: Header=BB8_1944 Depth=3
	v_lshlrev_b32_e32 v1, 6, v26
	v_accvgpr_read_b32 v5, a37
	v_sub_u32_e32 v1, v5, v1
	v_ashrrev_i32_e32 v5, 31, v1
	v_lshrrev_b32_e32 v5, 26, v5
	v_add_u32_e32 v5, v1, v5
	v_ashrrev_i32_e32 v8, 6, v5
	v_and_b32_e32 v5, 0xffffffc0, v5
	v_sub_u32_e32 v19, v1, v5
	v_lshlrev_b32_e32 v1, 4, v19
	v_sub_u32_e32 v0, v35, v18
	v_lshl_add_u32 v1, v8, 10, v1
	v_add_u32_e32 v10, v1, v18
	v_sub_u32_e32 v5, v0, v1
	v_ashrrev_i32_e32 v1, 31, v0
	v_lshrrev_b32_e32 v1, 22, v1
	v_add_u32_e32 v1, v0, v1
	v_and_b32_e32 v20, 0xfffffc00, v1
	v_sub_u32_e32 v22, v0, v20
	v_ashrrev_i32_e32 v9, 10, v1
	v_cmp_lt_i32_e64 s[26:27], 15, v22
	v_addc_co_u32_e64 v0, vcc, 0, v9, s[26:27]
	v_sub_u32_e32 v21, v0, v8
	v_ashrrev_i32_e32 v11, 31, v10
	v_add_co_u32_e32 v0, vcc, v10, v2
	v_addc_co_u32_e32 v1, vcc, v11, v3, vcc
	v_cmp_lt_i32_e32 vcc, 15, v5
	s_mov_b64 s[56:57], 0
                                        ; implicit-def: $vgpr8_vgpr9
	s_and_saveexec_b64 s[54:55], vcc
	s_cbranch_execz .LBB8_2110
; %bb.2101:                             ;   in Loop: Header=BB8_1944 Depth=3
	s_trap 2
	ds_read_b64 v[8:9], v0
	s_mov_b64 s[60:61], 0
                                        ; implicit-def: $sgpr58_sgpr59
	s_waitcnt lgkmcnt(0)
	v_add_co_u32_e32 v16, vcc, v8, v10
	v_addc_co_u32_e32 v17, vcc, v9, v11, vcc
                                        ; implicit-def: $vgpr8_vgpr9
	s_branch .LBB8_2103
.LBB8_2102:                             ;   in Loop: Header=BB8_2103 Depth=4
	s_or_b64 exec, exec, s[62:63]
	v_cmp_gt_i32_e32 vcc, 16, v5
	s_or_b64 s[56:57], vcc, s[56:57]
	s_andn2_b64 vcc, s[58:59], exec
	s_and_b64 s[58:59], s[60:61], exec
	s_or_b64 s[58:59], vcc, s[58:59]
	s_andn2_b64 exec, exec, s[56:57]
	s_cbranch_execz .LBB8_2109
.LBB8_2103:                             ;   Parent Loop BB8_47 Depth=1
                                        ;     Parent Loop BB8_1941 Depth=2
                                        ;       Parent Loop BB8_1944 Depth=3
                                        ; =>      This Inner Loop Header: Depth=4
	global_load_dwordx4 v[12:15], v[16:17], off glc slc
	s_and_saveexec_b64 s[62:63], s[60:61]
	s_cbranch_execz .LBB8_2105
; %bb.2104:                             ;   in Loop: Header=BB8_2103 Depth=4
	v_accvgpr_read_b32 v23, a38
	v_add_co_u32_e32 v24, vcc, v0, v23
	v_accvgpr_read_b32 v23, a39
	v_addc_co_u32_e32 v25, vcc, v1, v23, vcc
	global_store_dwordx4 v[0:1], v[8:11], off glc slc
	v_pk_mov_b32 v[0:1], v[24:25], v[24:25] op_sel:[0,1]
.LBB8_2105:                             ;   in Loop: Header=BB8_2103 Depth=4
	s_or_b64 exec, exec, s[62:63]
	v_accvgpr_read_b32 v23, a38
	v_add_co_u32_e32 v16, vcc, v16, v23
	v_accvgpr_read_b32 v23, a39
	v_addc_co_u32_e32 v17, vcc, v17, v23, vcc
	v_accvgpr_read_b32 v23, a21
	v_sub_u32_e32 v5, v5, v23
	v_cmp_lt_i32_e64 s[60:61], 15, v5
	s_and_saveexec_b64 s[62:63], s[60:61]
	s_cbranch_execz .LBB8_2107
; %bb.2106:                             ;   in Loop: Header=BB8_2103 Depth=4
	global_load_dwordx4 v[8:11], v[16:17], off glc slc
	v_add_co_u32_e32 v16, vcc, 0x400, v16
	v_addc_co_u32_e32 v17, vcc, 0, v17, vcc
.LBB8_2107:                             ;   in Loop: Header=BB8_2103 Depth=4
	s_or_b64 exec, exec, s[62:63]
	v_accvgpr_read_b32 v24, a20
	s_waitcnt vmcnt(0)
	global_store_dwordx4 v[0:1], v[12:15], off glc slc
	v_add_co_u32_e32 v0, vcc, 0x400, v0
	v_sub_u32_e32 v21, v21, v24
	v_addc_co_u32_e32 v1, vcc, 0, v1, vcc
	s_and_saveexec_b64 s[62:63], s[60:61]
	s_cbranch_execz .LBB8_2102
; %bb.2108:                             ;   in Loop: Header=BB8_2103 Depth=4
	v_accvgpr_read_b32 v12, a32
	v_accvgpr_read_b32 v13, a33
	v_add_co_u32_e32 v0, vcc, v0, v12
	v_addc_co_u32_e32 v1, vcc, v1, v13, vcc
	v_add_co_u32_e32 v16, vcc, v16, v12
	v_accvgpr_read_b32 v12, a21
	v_sub_u32_e32 v5, v5, v12
	v_accvgpr_read_b32 v12, a20
	v_addc_co_u32_e32 v17, vcc, v17, v13, vcc
	v_sub_u32_e32 v21, v21, v12
	s_branch .LBB8_2102
.LBB8_2109:                             ;   in Loop: Header=BB8_1944 Depth=3
	s_or_b64 exec, exec, s[56:57]
	s_and_b64 s[56:57], s[58:59], exec
.LBB8_2110:                             ;   in Loop: Header=BB8_1944 Depth=3
	s_or_b64 exec, exec, s[54:55]
	s_and_saveexec_b64 vcc, s[56:57]
	s_cbranch_execz .LBB8_2112
; %bb.2111:                             ;   in Loop: Header=BB8_1944 Depth=3
	global_store_dwordx4 v[0:1], v[8:11], off glc slc
.LBB8_2112:                             ;   in Loop: Header=BB8_1944 Depth=3
	s_or_b64 exec, exec, vcc
	v_and_b32_e32 v1, 14, v35
	v_cndmask_b32_e64 v35, v22, v1, s[26:27]
	v_cmp_ne_u32_e32 vcc, 0, v35
	s_mov_b64 s[54:55], s[28:29]
                                        ; implicit-def: $vgpr5
                                        ; implicit-def: $vgpr12
                                        ; implicit-def: $vgpr0
	s_and_saveexec_b64 s[56:57], vcc
	s_cbranch_execz .LBB8_2114
; %bb.2113:                             ;   in Loop: Header=BB8_1944 Depth=3
	v_sub_u32_e32 v0, v22, v1
	v_cndmask_b32_e64 v0, 0, v0, s[26:27]
	v_add3_u32 v5, v20, v18, v0
	v_cmp_lt_i32_e32 vcc, 0, v21
	v_accvgpr_read_b32 v0, a20
	v_cndmask_b32_e32 v0, 0, v0, vcc
	v_sub_u32_e32 v0, v0, v21
	v_lshl_add_u32 v1, v0, 6, v19
	v_ashrrev_i32_e32 v0, 31, v1
	v_lshrrev_b32_e32 v0, 26, v0
	v_add_u32_e32 v8, v1, v0
	v_ashrrev_i32_e32 v0, 6, v8
	v_and_b32_e32 v8, 0xffffffc0, v8
	v_sub_u32_e32 v12, v1, v8
	s_or_b64 s[54:55], s[28:29], exec
.LBB8_2114:                             ;   in Loop: Header=BB8_1944 Depth=3
	s_or_b64 exec, exec, s[56:57]
	s_andn2_b64 s[26:27], s[28:29], exec
	s_and_b64 s[28:29], s[54:55], exec
	s_or_b64 s[28:29], s[26:27], s[28:29]
.LBB8_2115:                             ;   in Loop: Header=BB8_1944 Depth=3
	s_or_b64 exec, exec, s[30:31]
	s_and_saveexec_b64 s[26:27], s[28:29]
	s_cbranch_execz .LBB8_2138
.LBB8_2116:                             ;   in Loop: Header=BB8_1944 Depth=3
	v_lshlrev_b32_e32 v1, 10, v0
	s_waitcnt lgkmcnt(0)
	v_lshlrev_b32_e32 v8, 1, v12
	v_add3_u32 v8, v5, v8, v1
	v_ashrrev_i32_e32 v1, 31, v35
	v_lshrrev_b32_e32 v1, 22, v1
	v_add_u32_e32 v1, v35, v1
	v_ashrrev_i32_e32 v13, 10, v1
	v_sub_u32_e32 v10, v13, v0
	v_ashrrev_i32_e32 v9, 31, v8
	v_add_co_u32_e32 v0, vcc, v2, v8
	v_addc_co_u32_e32 v1, vcc, v3, v9, vcc
	v_cmp_lt_i32_e32 vcc, 0, v10
	s_mov_b64 s[30:31], 0
                                        ; implicit-def: $vgpr14
                                        ; implicit-def: $vgpr15
                                        ; implicit-def: $vgpr16
                                        ; implicit-def: $vgpr17
                                        ; implicit-def: $vgpr18
                                        ; implicit-def: $vgpr19
                                        ; implicit-def: $vgpr20
                                        ; implicit-def: $vgpr21
	s_and_saveexec_b64 s[28:29], vcc
	s_cbranch_execz .LBB8_2124
; %bb.2117:                             ;   in Loop: Header=BB8_1944 Depth=3
	s_trap 2
	ds_read_b64 v[14:15], v0
	s_mov_b64 s[56:57], 0
                                        ; implicit-def: $sgpr54_sgpr55
                                        ; implicit-def: $vgpr16
                                        ; implicit-def: $vgpr17
                                        ; implicit-def: $vgpr18
                                        ; implicit-def: $vgpr19
                                        ; implicit-def: $vgpr20
                                        ; implicit-def: $vgpr21
	s_waitcnt lgkmcnt(0)
	v_add_co_u32_e32 v8, vcc, v14, v8
	v_addc_co_u32_e32 v9, vcc, v15, v9, vcc
                                        ; implicit-def: $vgpr14
                                        ; implicit-def: $vgpr15
	s_branch .LBB8_2119
.LBB8_2118:                             ;   in Loop: Header=BB8_2119 Depth=4
	s_or_b64 exec, exec, s[58:59]
	s_waitcnt vmcnt(0) lgkmcnt(0)
	flat_store_short v[0:1], v22 glc slc
	flat_store_short v[0:1], v23 offset:128 glc slc
	flat_store_short v[0:1], v24 offset:256 glc slc
	;; [unrolled: 1-line block ×7, first 2 shown]
	v_add_co_u32_e32 v0, vcc, v0, v10
	v_addc_co_u32_e32 v1, vcc, v1, v11, vcc
	v_add_co_u32_e32 v0, vcc, s79, v0
	v_addc_co_u32_e32 v1, vcc, 0, v1, vcc
	;; [unrolled: 2-line block ×3, first 2 shown]
	v_sub_u32_e32 v10, v31, v38
	v_cmp_gt_i32_e32 vcc, 1, v10
	s_or_b64 s[30:31], vcc, s[30:31]
	s_andn2_b64 vcc, s[54:55], exec
	s_and_b64 s[54:55], s[56:57], exec
	s_or_b64 s[54:55], vcc, s[54:55]
	s_andn2_b64 exec, exec, s[30:31]
	s_cbranch_execz .LBB8_2123
.LBB8_2119:                             ;   Parent Loop BB8_47 Depth=1
                                        ;     Parent Loop BB8_1941 Depth=2
                                        ;       Parent Loop BB8_1944 Depth=3
                                        ; =>      This Inner Loop Header: Depth=4
	flat_load_ushort v22, v[8:9] glc slc
	flat_load_ushort v23, v[8:9] offset:128 glc slc
	flat_load_ushort v24, v[8:9] offset:256 glc slc
	;; [unrolled: 1-line block ×7, first 2 shown]
	s_and_saveexec_b64 s[58:59], s[56:57]
	s_cbranch_execz .LBB8_2121
; %bb.2120:                             ;   in Loop: Header=BB8_2119 Depth=4
	v_accvgpr_read_b32 v11, a38
	flat_store_short v[0:1], v14 glc slc
	flat_store_short v[0:1], v15 offset:128 glc slc
	flat_store_short v[0:1], v16 offset:256 glc slc
	;; [unrolled: 1-line block ×7, first 2 shown]
	v_add_co_u32_e32 v0, vcc, v0, v11
	v_accvgpr_read_b32 v11, a39
	v_addc_co_u32_e32 v1, vcc, v1, v11, vcc
.LBB8_2121:                             ;   in Loop: Header=BB8_2119 Depth=4
	s_or_b64 exec, exec, s[58:59]
	v_accvgpr_read_b32 v11, a38
	v_accvgpr_read_b32 v28, a20
	v_add_co_u32_e32 v8, vcc, v8, v11
	v_accvgpr_read_b32 v11, a39
	v_sub_u32_e32 v31, v10, v28
	v_addc_co_u32_e32 v9, vcc, v9, v11, vcc
	v_cmp_lt_i32_e64 s[56:57], 0, v31
	v_mov_b32_e32 v38, 0
	v_pk_mov_b32 v[10:11], 0, 0
	s_and_saveexec_b64 s[58:59], s[56:57]
	s_cbranch_execz .LBB8_2118
; %bb.2122:                             ;   in Loop: Header=BB8_2119 Depth=4
	flat_load_ushort v14, v[8:9] glc slc
	flat_load_ushort v15, v[8:9] offset:128 glc slc
	flat_load_ushort v16, v[8:9] offset:256 glc slc
	;; [unrolled: 1-line block ×7, first 2 shown]
	v_add_co_u32_e32 v8, vcc, 0x400, v8
	v_accvgpr_read_b32 v10, a32
	v_addc_co_u32_e32 v9, vcc, 0, v9, vcc
	v_accvgpr_read_b32 v38, a20
	v_accvgpr_read_b32 v11, a33
	s_branch .LBB8_2118
.LBB8_2123:                             ;   in Loop: Header=BB8_1944 Depth=3
	s_or_b64 exec, exec, s[30:31]
	s_and_b64 s[30:31], s[54:55], exec
.LBB8_2124:                             ;   in Loop: Header=BB8_1944 Depth=3
	s_or_b64 exec, exec, s[28:29]
	s_and_saveexec_b64 s[28:29], s[30:31]
	s_cbranch_execz .LBB8_2126
; %bb.2125:                             ;   in Loop: Header=BB8_1944 Depth=3
	flat_store_short v[0:1], v14 glc slc
	flat_store_short v[0:1], v15 offset:128 glc slc
	flat_store_short v[0:1], v16 offset:256 glc slc
	;; [unrolled: 1-line block ×7, first 2 shown]
.LBB8_2126:                             ;   in Loop: Header=BB8_1944 Depth=3
	s_or_b64 exec, exec, s[28:29]
	v_lshlrev_b32_e32 v0, 10, v13
	v_cmp_ne_u32_e32 vcc, v35, v0
	s_and_saveexec_b64 s[28:29], vcc
	s_cbranch_execz .LBB8_2137
; %bb.2127:                             ;   in Loop: Header=BB8_1944 Depth=3
	v_lshlrev_b32_e32 v1, 6, v10
	v_sub_u32_e32 v1, v12, v1
	v_ashrrev_i32_e32 v8, 31, v1
	v_lshrrev_b32_e32 v8, 26, v8
	v_add_u32_e32 v8, v1, v8
	v_and_b32_e32 v9, 0x7fffffc0, v8
	v_sub_u32_e32 v1, v1, v9
	v_lshlrev_b32_e32 v8, 1, v8
	v_and_b32_e32 v8, 0xffffff80, v8
	v_lshlrev_b32_e32 v1, 1, v1
	v_add3_u32 v0, v8, v1, v0
	v_add_u32_e32 v8, v0, v5
	v_sub_u32_e32 v10, v35, v0
	v_ashrrev_i32_e32 v9, 31, v8
	v_add_co_u32_e32 v0, vcc, v2, v8
	v_addc_co_u32_e32 v1, vcc, v3, v9, vcc
	v_cmp_lt_i32_e32 vcc, 1, v10
	s_mov_b64 s[54:55], 0
                                        ; implicit-def: $vgpr5
	s_and_saveexec_b64 s[30:31], vcc
	s_cbranch_execz .LBB8_2135
; %bb.2128:                             ;   in Loop: Header=BB8_1944 Depth=3
	s_trap 2
	ds_read_b64 v[2:3], v0
	s_mov_b64 s[58:59], 0
                                        ; implicit-def: $sgpr56_sgpr57
                                        ; implicit-def: $vgpr5
	s_waitcnt lgkmcnt(0)
	v_add_co_u32_e32 v2, vcc, v2, v8
	v_addc_co_u32_e32 v3, vcc, v3, v9, vcc
	s_branch .LBB8_2130
.LBB8_2129:                             ;   in Loop: Header=BB8_2130 Depth=4
	s_or_b64 exec, exec, s[60:61]
	s_waitcnt vmcnt(0) lgkmcnt(0)
	flat_store_short v[0:1], v11 glc slc
	v_add_co_u32_e32 v0, vcc, v0, v8
	v_addc_co_u32_e32 v1, vcc, v1, v9, vcc
	v_add_co_u32_e32 v2, vcc, v2, v8
	v_addc_co_u32_e32 v3, vcc, v3, v9, vcc
	;; [unrolled: 2-line block ×3, first 2 shown]
	v_sub_u32_e32 v10, v10, v12
	v_cmp_gt_i32_e32 vcc, 2, v10
	s_or_b64 s[54:55], vcc, s[54:55]
	s_andn2_b64 vcc, s[56:57], exec
	s_and_b64 s[56:57], s[58:59], exec
	s_or_b64 s[56:57], vcc, s[56:57]
	s_andn2_b64 exec, exec, s[54:55]
	s_cbranch_execz .LBB8_2134
.LBB8_2130:                             ;   Parent Loop BB8_47 Depth=1
                                        ;     Parent Loop BB8_1941 Depth=2
                                        ;       Parent Loop BB8_1944 Depth=3
                                        ; =>      This Inner Loop Header: Depth=4
	flat_load_ushort v11, v[2:3] glc slc
	s_and_saveexec_b64 s[60:61], s[58:59]
	s_cbranch_execz .LBB8_2132
; %bb.2131:                             ;   in Loop: Header=BB8_2130 Depth=4
	v_accvgpr_read_b32 v8, a42
	v_add_co_u32_e32 v8, vcc, v0, v8
	v_accvgpr_read_b32 v9, a43
	v_addc_co_u32_e32 v9, vcc, v1, v9, vcc
	flat_store_short v[0:1], v5 glc slc
	v_pk_mov_b32 v[0:1], v[8:9], v[8:9] op_sel:[0,1]
.LBB8_2132:                             ;   in Loop: Header=BB8_2130 Depth=4
	s_or_b64 exec, exec, s[60:61]
	v_accvgpr_read_b32 v8, a42
	v_add_co_u32_e32 v2, vcc, v2, v8
	v_accvgpr_read_b32 v8, a43
	v_addc_co_u32_e32 v3, vcc, v3, v8, vcc
	v_accvgpr_read_b32 v8, a31
	v_sub_u32_e32 v10, v10, v8
	v_cmp_lt_i32_e64 s[58:59], 1, v10
	v_mov_b32_e32 v12, 0
	v_pk_mov_b32 v[8:9], 0, 0
	s_and_saveexec_b64 s[60:61], s[58:59]
	s_cbranch_execz .LBB8_2129
; %bb.2133:                             ;   in Loop: Header=BB8_2130 Depth=4
	flat_load_ushort v5, v[2:3] glc slc
	v_add_co_u32_e32 v2, vcc, 0x80, v2
	v_accvgpr_read_b32 v8, a34
	v_addc_co_u32_e32 v3, vcc, 0, v3, vcc
	v_accvgpr_read_b32 v12, a31
	v_accvgpr_read_b32 v9, a35
	s_branch .LBB8_2129
.LBB8_2134:                             ;   in Loop: Header=BB8_1944 Depth=3
	s_or_b64 exec, exec, s[54:55]
	s_and_b64 s[54:55], s[56:57], exec
.LBB8_2135:                             ;   in Loop: Header=BB8_1944 Depth=3
	s_or_b64 exec, exec, s[30:31]
	s_and_b64 exec, exec, s[54:55]
	s_cbranch_execz .LBB8_2137
; %bb.2136:                             ;   in Loop: Header=BB8_1944 Depth=3
	flat_store_short v[0:1], v5 glc slc
.LBB8_2137:                             ;   in Loop: Header=BB8_1944 Depth=3
	s_or_b64 exec, exec, s[28:29]
.LBB8_2138:                             ;   in Loop: Header=BB8_1944 Depth=3
	s_or_b64 exec, exec, s[26:27]
.LBB8_2139:                             ;   in Loop: Header=BB8_1944 Depth=3
	s_and_saveexec_b64 s[26:27], s[10:11]
	s_cbranch_execz .LBB8_2158
; %bb.2140:                             ;   in Loop: Header=BB8_1944 Depth=3
	s_and_saveexec_b64 s[28:29], s[44:45]
	s_xor_b64 s[28:29], exec, s[28:29]
	s_cbranch_execz .LBB8_2155
; %bb.2141:                             ;   in Loop: Header=BB8_1944 Depth=3
	s_and_saveexec_b64 s[30:31], s[16:17]
	s_cbranch_execz .LBB8_2154
; %bb.2142:                             ;   in Loop: Header=BB8_1944 Depth=3
	s_mov_b64 s[56:57], exec
	v_mbcnt_lo_u32_b32 v0, s56, 0
	v_mbcnt_hi_u32_b32 v0, s57, v0
	v_cmp_eq_u32_e32 vcc, 0, v0
	s_waitcnt vmcnt(0) lgkmcnt(0)
	buffer_wbinvl1_vol
	s_and_saveexec_b64 s[54:55], vcc
	s_cbranch_execz .LBB8_2144
; %bb.2143:                             ;   in Loop: Header=BB8_1944 Depth=3
	s_bcnt1_i32_b64 vcc_lo, s[56:57]
	v_mov_b32_e32 v0, vcc_lo
	v_mov_b32_e32 v1, v42
	ds_add_u64 v0, v[0:1]
	s_trap 2
.LBB8_2144:                             ;   in Loop: Header=BB8_1944 Depth=3
	s_or_b64 exec, exec, s[54:55]
	s_trap 2
	ds_read_b64 v[0:1], v0
	v_accvgpr_read_b32 v2, a12
	v_accvgpr_read_b32 v8, a20
	;; [unrolled: 1-line block ×3, first 2 shown]
	v_add_co_u32_e32 v2, vcc, v2, v8
	v_addc_co_u32_e32 v3, vcc, 0, v3, vcc
	v_accvgpr_write_b32 a13, v3
	v_accvgpr_write_b32 a12, v2
	s_waitcnt lgkmcnt(0)
	v_cmp_lt_u64_e32 vcc, v[0:1], v[2:3]
	s_and_saveexec_b64 s[54:55], vcc
	s_cbranch_execz .LBB8_2153
; %bb.2145:                             ;   in Loop: Header=BB8_1944 Depth=3
	s_mov_b32 s66, 0
	s_mov_b64 s[56:57], 0
                                        ; implicit-def: $sgpr58_sgpr59
                                        ; implicit-def: $sgpr60_sgpr61
	s_branch .LBB8_2147
.LBB8_2146:                             ;   in Loop: Header=BB8_2147 Depth=4
	s_or_b64 exec, exec, s[64:65]
	s_and_b64 vcc, exec, vcc
	s_or_b64 s[56:57], vcc, s[56:57]
	s_andn2_b64 vcc, s[58:59], exec
	s_and_b64 s[58:59], s[60:61], exec
	s_or_b64 s[58:59], vcc, s[58:59]
	s_andn2_b64 exec, exec, s[56:57]
	s_cbranch_execz .LBB8_2151
.LBB8_2147:                             ;   Parent Loop BB8_47 Depth=1
                                        ;     Parent Loop BB8_1941 Depth=2
                                        ;       Parent Loop BB8_1944 Depth=3
                                        ; =>      This Inner Loop Header: Depth=4
	s_add_i32 s66, s66, 1
	s_cmpk_lg_i32 s66, 0x2710
	s_cselect_b64 s[62:63], -1, 0
	s_and_b64 vcc, exec, s[62:63]
                                        ; implicit-def: $sgpr64_sgpr65
	s_cbranch_vccnz .LBB8_2149
; %bb.2148:                             ;   in Loop: Header=BB8_2147 Depth=4
	s_trap 2
	ds_read_b64 v[0:1], v0
	s_andn2_b64 s[62:63], s[62:63], exec
	s_mov_b32 s66, 0
	s_mov_b64 s[64:65], -1
	s_waitcnt lgkmcnt(0)
	flat_load_dword v0, v[0:1] glc
	s_waitcnt vmcnt(0) lgkmcnt(0)
	buffer_invl2
	buffer_wbinvl1_vol
	v_cmp_eq_u32_e32 vcc, 0, v0
	s_and_b64 vcc, vcc, exec
	s_or_b64 s[62:63], s[62:63], vcc
.LBB8_2149:                             ;   in Loop: Header=BB8_2147 Depth=4
	s_andn2_b64 s[60:61], s[60:61], exec
	s_and_b64 s[64:65], s[64:65], exec
	s_mov_b64 vcc, -1
	s_or_b64 s[60:61], s[60:61], s[64:65]
	s_and_saveexec_b64 s[64:65], s[62:63]
	s_cbranch_execz .LBB8_2146
; %bb.2150:                             ;   in Loop: Header=BB8_2147 Depth=4
	s_sleep 1
	s_trap 2
	ds_read_b64 v[0:1], v0
	v_accvgpr_read_b32 v2, a12
	v_accvgpr_read_b32 v3, a13
	s_andn2_b64 s[60:61], s[60:61], exec
	s_waitcnt lgkmcnt(0)
	v_cmp_ge_u64_e32 vcc, v[0:1], v[2:3]
	s_orn2_b64 vcc, vcc, exec
	s_branch .LBB8_2146
.LBB8_2151:                             ;   in Loop: Header=BB8_1944 Depth=3
	s_or_b64 exec, exec, s[56:57]
	s_and_saveexec_b64 vcc, s[58:59]
	s_xor_b64 vcc, exec, vcc
	s_cbranch_execz .LBB8_2153
; %bb.2152:                             ;   in Loop: Header=BB8_1944 Depth=3
	v_mov_b32_e32 v0, 1
	ds_write_b32 v0, v0
	s_trap 2
.LBB8_2153:                             ;   in Loop: Header=BB8_1944 Depth=3
	s_or_b64 exec, exec, s[54:55]
	;;#ASMSTART
	s_wakeup
	;;#ASMEND
.LBB8_2154:                             ;   in Loop: Header=BB8_1944 Depth=3
	s_or_b64 exec, exec, s[30:31]
.LBB8_2155:                             ;   in Loop: Header=BB8_1944 Depth=3
	s_andn2_saveexec_b64 s[28:29], s[28:29]
	s_cbranch_execz .LBB8_2157
; %bb.2156:                             ;   in Loop: Header=BB8_1944 Depth=3
	s_waitcnt vmcnt(0) lgkmcnt(0)
	buffer_wbinvl1_vol
	s_barrier
.LBB8_2157:                             ;   in Loop: Header=BB8_1944 Depth=3
	s_or_b64 exec, exec, s[28:29]
.LBB8_2158:                             ;   in Loop: Header=BB8_1944 Depth=3
	s_or_b64 exec, exec, s[26:27]
	v_and_b32_e32 v0, 16, v62
	s_and_saveexec_b64 s[26:27], s[24:25]
	s_xor_b64 s[28:29], exec, s[26:27]
	s_cbranch_execz .LBB8_2162
; %bb.2159:                             ;   in Loop: Header=BB8_1944 Depth=3
	v_and_b32_e32 v1, 16, v62
	v_cmp_lt_i32_e32 vcc, 0, v33
	v_cmp_ne_u32_e64 s[26:27], 0, v1
	v_and_b32_e32 v0, 16, v62
	s_and_b64 vcc, s[26:27], vcc
	s_and_saveexec_b64 s[26:27], vcc
	s_cbranch_execz .LBB8_2161
; %bb.2160:                             ;   in Loop: Header=BB8_1944 Depth=3
	v_mov_b32_e32 v0, 1
	s_waitcnt vmcnt(0) lgkmcnt(0)
	buffer_wbinvl1_vol
.LBB8_2161:                             ;   in Loop: Header=BB8_1944 Depth=3
	s_or_b64 exec, exec, s[26:27]
.LBB8_2162:                             ;   in Loop: Header=BB8_1944 Depth=3
	s_andn2_saveexec_b64 s[26:27], s[28:29]
	s_cbranch_execz .LBB8_2181
; %bb.2163:                             ;   in Loop: Header=BB8_1944 Depth=3
	s_and_saveexec_b64 s[28:29], s[44:45]
	s_xor_b64 s[28:29], exec, s[28:29]
	s_cbranch_execz .LBB8_2178
; %bb.2164:                             ;   in Loop: Header=BB8_1944 Depth=3
	s_and_saveexec_b64 s[30:31], s[16:17]
	s_cbranch_execz .LBB8_2177
; %bb.2165:                             ;   in Loop: Header=BB8_1944 Depth=3
	s_mov_b64 s[56:57], exec
	v_mbcnt_lo_u32_b32 v1, s56, 0
	v_mbcnt_hi_u32_b32 v1, s57, v1
	v_cmp_eq_u32_e32 vcc, 0, v1
	;;#ASMSTART
	s_waitcnt lgkmcnt(0) vmcnt(0)
	;;#ASMEND
	s_and_saveexec_b64 s[54:55], vcc
	s_cbranch_execz .LBB8_2167
; %bb.2166:                             ;   in Loop: Header=BB8_1944 Depth=3
	s_bcnt1_i32_b64 vcc_lo, s[56:57]
	s_waitcnt lgkmcnt(0)
	v_mov_b32_e32 v2, vcc_lo
	v_mov_b32_e32 v3, v42
	ds_add_u64 v0, v[2:3]
	s_trap 2
.LBB8_2167:                             ;   in Loop: Header=BB8_1944 Depth=3
	s_or_b64 exec, exec, s[54:55]
	s_trap 2
	s_waitcnt lgkmcnt(0)
	ds_read_b64 v[2:3], v0
	v_accvgpr_read_b32 v8, a12
	v_accvgpr_read_b32 v10, a20
	;; [unrolled: 1-line block ×3, first 2 shown]
	v_add_co_u32_e32 v8, vcc, v8, v10
	v_addc_co_u32_e32 v9, vcc, 0, v9, vcc
	v_accvgpr_write_b32 a13, v9
	v_accvgpr_write_b32 a12, v8
	s_waitcnt lgkmcnt(0)
	v_cmp_lt_u64_e32 vcc, v[2:3], v[8:9]
	s_and_saveexec_b64 s[54:55], vcc
	s_cbranch_execz .LBB8_2176
; %bb.2168:                             ;   in Loop: Header=BB8_1944 Depth=3
	s_mov_b32 s66, 0
	s_mov_b64 s[56:57], 0
                                        ; implicit-def: $sgpr58_sgpr59
                                        ; implicit-def: $sgpr60_sgpr61
	s_branch .LBB8_2170
.LBB8_2169:                             ;   in Loop: Header=BB8_2170 Depth=4
	s_or_b64 exec, exec, s[64:65]
	s_and_b64 vcc, exec, vcc
	s_or_b64 s[56:57], vcc, s[56:57]
	s_andn2_b64 vcc, s[58:59], exec
	s_and_b64 s[58:59], s[60:61], exec
	s_or_b64 s[58:59], vcc, s[58:59]
	s_andn2_b64 exec, exec, s[56:57]
	s_cbranch_execz .LBB8_2174
.LBB8_2170:                             ;   Parent Loop BB8_47 Depth=1
                                        ;     Parent Loop BB8_1941 Depth=2
                                        ;       Parent Loop BB8_1944 Depth=3
                                        ; =>      This Inner Loop Header: Depth=4
	s_add_i32 s66, s66, 1
	s_cmpk_lg_i32 s66, 0x2710
	s_cselect_b64 s[62:63], -1, 0
	s_and_b64 vcc, exec, s[62:63]
                                        ; implicit-def: $sgpr64_sgpr65
	s_cbranch_vccnz .LBB8_2172
; %bb.2171:                             ;   in Loop: Header=BB8_2170 Depth=4
	s_trap 2
	ds_read_b64 v[2:3], v0
	s_andn2_b64 s[62:63], s[62:63], exec
	s_mov_b32 s66, 0
	s_mov_b64 s[64:65], -1
	s_waitcnt vmcnt(0) lgkmcnt(0)
	flat_load_dword v1, v[2:3] glc
	s_waitcnt vmcnt(0) lgkmcnt(0)
	buffer_invl2
	buffer_wbinvl1_vol
	v_cmp_eq_u32_e32 vcc, 0, v1
	s_and_b64 vcc, vcc, exec
	s_or_b64 s[62:63], s[62:63], vcc
.LBB8_2172:                             ;   in Loop: Header=BB8_2170 Depth=4
	s_andn2_b64 s[60:61], s[60:61], exec
	s_and_b64 s[64:65], s[64:65], exec
	s_mov_b64 vcc, -1
	s_or_b64 s[60:61], s[60:61], s[64:65]
	s_and_saveexec_b64 s[64:65], s[62:63]
	s_cbranch_execz .LBB8_2169
; %bb.2173:                             ;   in Loop: Header=BB8_2170 Depth=4
	s_sleep 1
	s_trap 2
	ds_read_b64 v[2:3], v0
	v_accvgpr_read_b32 v8, a12
	v_accvgpr_read_b32 v9, a13
	s_andn2_b64 s[60:61], s[60:61], exec
	s_waitcnt lgkmcnt(0)
	v_cmp_ge_u64_e32 vcc, v[2:3], v[8:9]
	s_orn2_b64 vcc, vcc, exec
	s_branch .LBB8_2169
.LBB8_2174:                             ;   in Loop: Header=BB8_1944 Depth=3
	s_or_b64 exec, exec, s[56:57]
	s_and_saveexec_b64 vcc, s[58:59]
	s_xor_b64 vcc, exec, vcc
	s_cbranch_execz .LBB8_2176
; %bb.2175:                             ;   in Loop: Header=BB8_1944 Depth=3
	v_mov_b32_e32 v1, 1
	ds_write_b32 v0, v1
	s_trap 2
.LBB8_2176:                             ;   in Loop: Header=BB8_1944 Depth=3
	s_or_b64 exec, exec, s[54:55]
	;;#ASMSTART
	s_wakeup
	;;#ASMEND
.LBB8_2177:                             ;   in Loop: Header=BB8_1944 Depth=3
	s_or_b64 exec, exec, s[30:31]
.LBB8_2178:                             ;   in Loop: Header=BB8_1944 Depth=3
	s_andn2_saveexec_b64 s[28:29], s[28:29]
	s_cbranch_execz .LBB8_2180
; %bb.2179:                             ;   in Loop: Header=BB8_1944 Depth=3
	;;#ASMSTART
	s_waitcnt lgkmcnt(0) vmcnt(0)
	;;#ASMEND
	s_barrier
.LBB8_2180:                             ;   in Loop: Header=BB8_1944 Depth=3
	s_or_b64 exec, exec, s[28:29]
.LBB8_2181:                             ;   in Loop: Header=BB8_1944 Depth=3
	s_or_b64 exec, exec, s[26:27]
	v_cmp_ne_u32_e32 vcc, 0, v0
	s_xor_b64 s[26:27], s[12:13], -1
	s_and_b64 s[28:29], vcc, s[26:27]
	s_and_saveexec_b64 s[26:27], s[28:29]
	s_cbranch_execz .LBB8_2183
; %bb.2182:                             ;   in Loop: Header=BB8_1944 Depth=3
	v_accvgpr_read_b32 v0, a18
	v_accvgpr_read_b32 v1, a19
	s_waitcnt lgkmcnt(0)
	v_mov_b32_e32 v2, 1
	flat_store_dword v[0:1], v2
.LBB8_2183:                             ;   in Loop: Header=BB8_1944 Depth=3
	s_or_b64 exec, exec, s[26:27]
	v_and_b32_e32 v0, 48, v62
	v_cmp_ne_u32_e32 vcc, 0, v0
	s_and_saveexec_b64 s[26:27], vcc
	s_cbranch_execz .LBB8_1943
; %bb.2184:                             ;   in Loop: Header=BB8_1944 Depth=3
	v_add_co_u32_e32 v44, vcc, 2, v44
	v_addc_co_u32_e32 v45, vcc, 0, v45, vcc
	flat_store_dwordx2 v[46:47], v[44:45]
	s_branch .LBB8_1943
.LBB8_2185:                             ;   in Loop: Header=BB8_1941 Depth=2
	s_or_b64 exec, exec, s[34:35]
	v_cmp_gt_i32_e32 vcc, 2, v2
	s_and_saveexec_b64 s[28:29], vcc
	s_cbranch_execz .LBB8_2261
.LBB8_2186:                             ;   in Loop: Header=BB8_1941 Depth=2
	v_cmp_eq_u32_e64 s[26:27], 0, v2
	s_mov_b64 s[30:31], 0
	s_branch .LBB8_2188
.LBB8_2187:                             ;   in Loop: Header=BB8_2188 Depth=3
	s_or_b64 exec, exec, s[26:27]
	v_add_u32_e32 v34, v32, v34
	s_mov_b64 s[26:27], 0
	s_andn2_b64 exec, exec, s[30:31]
	s_cbranch_execz .LBB8_2262
.LBB8_2188:                             ;   Parent Loop BB8_47 Depth=1
                                        ;     Parent Loop BB8_1941 Depth=2
                                        ; =>    This Loop Header: Depth=3
                                        ;         Child Loop BB8_2194 Depth 4
                                        ;         Child Loop BB8_2222 Depth 4
	;; [unrolled: 1-line block ×3, first 2 shown]
	v_and_b32_e32 v0, 12, v62
	s_mov_b64 s[36:37], -1
	v_cmp_ne_u32_e32 vcc, 0, v0
	s_and_saveexec_b64 s[34:35], vcc
	s_cbranch_execz .LBB8_2200
; %bb.2189:                             ;   in Loop: Header=BB8_2188 Depth=3
	v_and_b32_e32 v0, 8, v62
	v_add_co_u32_e32 v8, vcc, v60, v0
	v_addc_co_u32_e32 v9, vcc, 0, v61, vcc
	v_add_co_u32_e32 v2, vcc, 2, v44
	v_addc_co_u32_e32 v3, vcc, 0, v45, vcc
	v_cmp_lt_u64_e32 vcc, v[8:9], v[2:3]
	v_mov_b32_e32 v1, 1
	s_and_saveexec_b64 s[36:37], vcc
	s_cbranch_execz .LBB8_2199
; %bb.2190:                             ;   in Loop: Header=BB8_2188 Depth=3
	s_mov_b64 s[52:53], 0
	v_mov_b32_e32 v1, 0
                                        ; implicit-def: $sgpr54_sgpr55
	s_branch .LBB8_2194
.LBB8_2191:                             ;   in Loop: Header=BB8_2194 Depth=4
	s_or_b64 exec, exec, s[62:63]
	v_mov_b32_e32 v5, 0
	s_orn2_b64 s[60:61], s[60:61], exec
.LBB8_2192:                             ;   in Loop: Header=BB8_2194 Depth=4
	s_or_b64 exec, exec, s[58:59]
	s_andn2_b64 vcc, s[54:55], exec
	s_and_b64 s[54:55], s[60:61], exec
	s_or_b64 s[54:55], vcc, s[54:55]
	v_mov_b32_e32 v1, v5
.LBB8_2193:                             ;   in Loop: Header=BB8_2194 Depth=4
	s_or_b64 exec, exec, s[56:57]
	s_waitcnt vmcnt(0) lgkmcnt(0)
	v_add_co_u32_e32 v8, vcc, v60, v0
	v_addc_co_u32_e32 v9, vcc, 0, v61, vcc
	v_cmp_ge_u64_e32 vcc, v[8:9], v[2:3]
	s_xor_b64 s[56:57], s[54:55], -1
	s_or_b64 vcc, s[56:57], vcc
	s_and_b64 vcc, exec, vcc
	s_or_b64 s[52:53], vcc, s[52:53]
	s_andn2_b64 exec, exec, s[52:53]
	s_cbranch_execz .LBB8_2198
.LBB8_2194:                             ;   Parent Loop BB8_47 Depth=1
                                        ;     Parent Loop BB8_1941 Depth=2
                                        ;       Parent Loop BB8_2188 Depth=3
                                        ; =>      This Inner Loop Header: Depth=4
	s_sleep 1
	flat_load_dwordx2 v[60:61], v[46:47] glc
	v_and_b32_e32 v5, 64, v62
	v_cmp_eq_u32_e32 vcc, 0, v5
	s_andn2_b64 s[54:55], s[54:55], exec
	s_and_saveexec_b64 s[56:57], vcc
	s_cbranch_execz .LBB8_2193
; %bb.2195:                             ;   in Loop: Header=BB8_2194 Depth=4
	v_add_u32_e32 v5, 1, v1
	v_cmp_lt_i32_e32 vcc, s89, v1
	s_mov_b64 s[60:61], -1
	s_and_saveexec_b64 s[58:59], vcc
	s_cbranch_execz .LBB8_2192
; %bb.2196:                             ;   in Loop: Header=BB8_2194 Depth=4
	s_trap 2
	ds_read_b64 v[8:9], v0
	s_waitcnt vmcnt(0) lgkmcnt(0)
	flat_load_dword v1, v[8:9] glc
	s_waitcnt vmcnt(0) lgkmcnt(0)
	buffer_invl2
	buffer_wbinvl1_vol
	v_cmp_ne_u32_e32 vcc, 0, v1
	s_and_saveexec_b64 s[62:63], vcc
	s_cbranch_execz .LBB8_2191
; %bb.2197:                             ;   in Loop: Header=BB8_2194 Depth=4
	v_or_b32_e32 v62, 64, v62
	s_xor_b64 s[60:61], exec, -1
	ds_write_b32 v0, v1
	s_trap 2
	s_branch .LBB8_2191
.LBB8_2198:                             ;   in Loop: Header=BB8_2188 Depth=3
	s_or_b64 exec, exec, s[52:53]
	v_and_b32_e32 v1, 12, v62
.LBB8_2199:                             ;   in Loop: Header=BB8_2188 Depth=3
	s_or_b64 exec, exec, s[36:37]
	v_cmp_eq_u32_e32 vcc, 0, v1
	s_orn2_b64 s[36:37], vcc, exec
	;;#ASMSTART
	s_wakeup
	;;#ASMEND
.LBB8_2200:                             ;   in Loop: Header=BB8_2188 Depth=3
	s_or_b64 exec, exec, s[34:35]
	s_xor_b64 s[26:27], s[26:27], -1
	s_and_b64 s[26:27], exec, s[26:27]
	s_or_b64 s[30:31], s[26:27], s[30:31]
	v_sub_u32_e32 v0, v48, v34
	s_xor_b64 s[26:27], s[36:37], -1
	v_min_i32_e32 v32, v32, v0
	s_and_saveexec_b64 s[34:35], s[26:27]
	s_cbranch_execz .LBB8_2214
; %bb.2201:                             ;   in Loop: Header=BB8_2188 Depth=3
	v_and_b32_e32 v0, 0x108, v62
	v_cmp_ne_u32_e32 vcc, s90, v0
	v_and_b32_e32 v0, 7, v44
	s_and_saveexec_b64 s[26:27], vcc
	s_xor_b64 s[26:27], exec, s[26:27]
                                        ; implicit-def: $vgpr2_vgpr3
; %bb.2202:                             ;   in Loop: Header=BB8_2188 Depth=3
	v_mov_b32_e32 v3, v42
; %bb.2203:                             ;   in Loop: Header=BB8_2188 Depth=3
	s_andn2_saveexec_b64 s[26:27], s[26:27]
	s_cbranch_execz .LBB8_2205
; %bb.2204:                             ;   in Loop: Header=BB8_2188 Depth=3
	v_accvgpr_read_b32 v8, a10
	v_accvgpr_read_b32 v9, a11
	v_ashrrev_i32_e32 v33, 31, v32
	v_mov_b32_e32 v3, v42
	v_mad_u64_u32 v[8:9], vcc, v0, 24, v[8:9]
	v_lshlrev_b64 v[10:11], 1, v[32:33]
	flat_store_dwordx2 v[8:9], v[10:11] offset:8
.LBB8_2205:                             ;   in Loop: Header=BB8_2188 Depth=3
	s_or_b64 exec, exec, s[26:27]
	v_and_b32_e32 v1, 0x100, v62
	v_cmp_ne_u32_e32 vcc, 0, v1
	s_mov_b64 s[26:27], -1
                                        ; implicit-def: $vgpr8_vgpr9
	s_and_saveexec_b64 s[36:37], vcc
	s_cbranch_execz .LBB8_2209
; %bb.2206:                             ;   in Loop: Header=BB8_2188 Depth=3
	v_accvgpr_read_b32 v8, a10
	v_accvgpr_read_b32 v9, a11
	v_mad_u64_u32 v[10:11], s[26:27], v0, 24, v[8:9]
	v_mov_b32_e32 v2, v11
	v_mad_u64_u32 v[8:9], s[26:27], v3, 24, v[2:3]
	v_mov_b32_e32 v11, v8
	flat_load_dword v1, v[10:11]
                                        ; implicit-def: $vgpr8_vgpr9
	s_waitcnt vmcnt(0) lgkmcnt(0)
	v_cmp_ne_u32_e32 vcc, 1, v1
	v_cmp_eq_u32_e64 s[26:27], 1, v1
	s_and_saveexec_b64 s[52:53], s[26:27]
	s_cbranch_execz .LBB8_2208
; %bb.2207:                             ;   in Loop: Header=BB8_2188 Depth=3
	flat_load_dword v8, v[10:11] offset:4 glc
	s_waitcnt vmcnt(0) lgkmcnt(0)
	v_ashrrev_i32_e32 v9, 31, v8
	v_lshrrev_b64 v[8:9], 1, v[8:9]
.LBB8_2208:                             ;   in Loop: Header=BB8_2188 Depth=3
	s_or_b64 exec, exec, s[52:53]
	s_orn2_b64 s[26:27], vcc, exec
.LBB8_2209:                             ;   in Loop: Header=BB8_2188 Depth=3
	s_or_b64 exec, exec, s[36:37]
	s_and_saveexec_b64 vcc, s[26:27]
; %bb.2210:                             ;   in Loop: Header=BB8_2188 Depth=3
	v_accvgpr_read_b32 v8, a14
	v_mul_lo_u32 v1, v3, v8
	v_accvgpr_read_b32 v3, a15
	v_mul_lo_u32 v2, v0, v3
	v_mad_u64_u32 v[8:9], s[26:27], v0, v8, 0
	v_add3_u32 v9, v9, v2, v1
; %bb.2211:                             ;   in Loop: Header=BB8_2188 Depth=3
	s_or_b64 exec, exec, vcc
	v_lshlrev_b64 v[0:1], 1, v[8:9]
	v_accvgpr_read_b32 v2, a16
	v_accvgpr_read_b32 v3, a17
	v_add_co_u32_e32 v0, vcc, v2, v0
	v_addc_co_u32_e32 v1, vcc, v3, v1, vcc
	s_trap 2
	ds_write_b64 v0, v[0:1]
	v_and_b32_e32 v0, 0x2000, v62
	v_cmp_ne_u32_e32 vcc, 0, v0
	s_and_saveexec_b64 s[26:27], vcc
	s_cbranch_execz .LBB8_2213
; %bb.2212:                             ;   in Loop: Header=BB8_2188 Depth=3
	ds_read_b64 v[0:1], v0 offset:584
	s_waitcnt lgkmcnt(0)
	v_add_co_u32_e32 v0, vcc, 1, v0
	v_addc_co_u32_e32 v1, vcc, 0, v1, vcc
	ds_write_b64 v0, v[0:1] offset:584
.LBB8_2213:                             ;   in Loop: Header=BB8_2188 Depth=3
	s_or_b64 exec, exec, s[26:27]
	v_add_co_u32_e32 v44, vcc, 2, v44
	v_addc_co_u32_e32 v45, vcc, 0, v45, vcc
.LBB8_2214:                             ;   in Loop: Header=BB8_2188 Depth=3
	s_or_b64 exec, exec, s[34:35]
	s_and_saveexec_b64 s[26:27], s[10:11]
	s_cbranch_execz .LBB8_2233
; %bb.2215:                             ;   in Loop: Header=BB8_2188 Depth=3
	s_and_saveexec_b64 vcc, s[44:45]
	s_xor_b64 s[34:35], exec, vcc
	s_cbranch_execz .LBB8_2230
; %bb.2216:                             ;   in Loop: Header=BB8_2188 Depth=3
	s_and_saveexec_b64 s[36:37], s[16:17]
	s_cbranch_execz .LBB8_2229
; %bb.2217:                             ;   in Loop: Header=BB8_2188 Depth=3
	s_mov_b64 s[54:55], exec
	v_mbcnt_lo_u32_b32 v0, s54, 0
	v_mbcnt_hi_u32_b32 v0, s55, v0
	v_cmp_eq_u32_e32 vcc, 0, v0
	s_waitcnt vmcnt(0) lgkmcnt(0)
	buffer_wbinvl1_vol
	s_and_saveexec_b64 s[52:53], vcc
	s_cbranch_execz .LBB8_2219
; %bb.2218:                             ;   in Loop: Header=BB8_2188 Depth=3
	s_bcnt1_i32_b64 vcc_lo, s[54:55]
	v_mov_b32_e32 v0, vcc_lo
	v_mov_b32_e32 v1, v42
	ds_add_u64 v0, v[0:1]
	s_trap 2
.LBB8_2219:                             ;   in Loop: Header=BB8_2188 Depth=3
	s_or_b64 exec, exec, s[52:53]
	s_trap 2
	ds_read_b64 v[0:1], v0
	v_accvgpr_read_b32 v2, a12
	v_accvgpr_read_b32 v8, a20
	;; [unrolled: 1-line block ×3, first 2 shown]
	v_add_co_u32_e32 v2, vcc, v2, v8
	v_addc_co_u32_e32 v3, vcc, 0, v3, vcc
	v_accvgpr_write_b32 a13, v3
	v_accvgpr_write_b32 a12, v2
	s_waitcnt lgkmcnt(0)
	v_cmp_lt_u64_e32 vcc, v[0:1], v[2:3]
	s_and_saveexec_b64 s[52:53], vcc
	s_cbranch_execz .LBB8_2228
; %bb.2220:                             ;   in Loop: Header=BB8_2188 Depth=3
	s_mov_b32 s64, 0
	s_mov_b64 s[54:55], 0
                                        ; implicit-def: $sgpr56_sgpr57
                                        ; implicit-def: $sgpr58_sgpr59
	s_branch .LBB8_2222
.LBB8_2221:                             ;   in Loop: Header=BB8_2222 Depth=4
	s_or_b64 exec, exec, s[62:63]
	s_and_b64 vcc, exec, vcc
	s_or_b64 s[54:55], vcc, s[54:55]
	s_andn2_b64 vcc, s[56:57], exec
	s_and_b64 s[56:57], s[58:59], exec
	s_or_b64 s[56:57], vcc, s[56:57]
	s_andn2_b64 exec, exec, s[54:55]
	s_cbranch_execz .LBB8_2226
.LBB8_2222:                             ;   Parent Loop BB8_47 Depth=1
                                        ;     Parent Loop BB8_1941 Depth=2
                                        ;       Parent Loop BB8_2188 Depth=3
                                        ; =>      This Inner Loop Header: Depth=4
	s_add_i32 s64, s64, 1
	s_cmpk_lg_i32 s64, 0x2710
	s_cselect_b64 s[60:61], -1, 0
	s_and_b64 vcc, exec, s[60:61]
                                        ; implicit-def: $sgpr62_sgpr63
	s_cbranch_vccnz .LBB8_2224
; %bb.2223:                             ;   in Loop: Header=BB8_2222 Depth=4
	s_trap 2
	ds_read_b64 v[0:1], v0
	s_andn2_b64 s[60:61], s[60:61], exec
	s_mov_b32 s64, 0
	s_mov_b64 s[62:63], -1
	s_waitcnt lgkmcnt(0)
	flat_load_dword v0, v[0:1] glc
	s_waitcnt vmcnt(0) lgkmcnt(0)
	buffer_invl2
	buffer_wbinvl1_vol
	v_cmp_eq_u32_e32 vcc, 0, v0
	s_and_b64 vcc, vcc, exec
	s_or_b64 s[60:61], s[60:61], vcc
.LBB8_2224:                             ;   in Loop: Header=BB8_2222 Depth=4
	s_andn2_b64 s[58:59], s[58:59], exec
	s_and_b64 s[62:63], s[62:63], exec
	s_mov_b64 vcc, -1
	s_or_b64 s[58:59], s[58:59], s[62:63]
	s_and_saveexec_b64 s[62:63], s[60:61]
	s_cbranch_execz .LBB8_2221
; %bb.2225:                             ;   in Loop: Header=BB8_2222 Depth=4
	s_sleep 1
	s_trap 2
	ds_read_b64 v[0:1], v0
	v_accvgpr_read_b32 v2, a12
	v_accvgpr_read_b32 v3, a13
	s_andn2_b64 s[58:59], s[58:59], exec
	s_waitcnt lgkmcnt(0)
	v_cmp_ge_u64_e32 vcc, v[0:1], v[2:3]
	s_orn2_b64 vcc, vcc, exec
	s_branch .LBB8_2221
.LBB8_2226:                             ;   in Loop: Header=BB8_2188 Depth=3
	s_or_b64 exec, exec, s[54:55]
	s_and_saveexec_b64 vcc, s[56:57]
	s_xor_b64 vcc, exec, vcc
	s_cbranch_execz .LBB8_2228
; %bb.2227:                             ;   in Loop: Header=BB8_2188 Depth=3
	v_mov_b32_e32 v0, 1
	ds_write_b32 v0, v0
	s_trap 2
.LBB8_2228:                             ;   in Loop: Header=BB8_2188 Depth=3
	s_or_b64 exec, exec, s[52:53]
	;;#ASMSTART
	s_wakeup
	;;#ASMEND
.LBB8_2229:                             ;   in Loop: Header=BB8_2188 Depth=3
	s_or_b64 exec, exec, s[36:37]
.LBB8_2230:                             ;   in Loop: Header=BB8_2188 Depth=3
	s_andn2_saveexec_b64 vcc, s[34:35]
	s_cbranch_execz .LBB8_2232
; %bb.2231:                             ;   in Loop: Header=BB8_2188 Depth=3
	s_waitcnt vmcnt(0) lgkmcnt(0)
	buffer_wbinvl1_vol
	s_barrier
.LBB8_2232:                             ;   in Loop: Header=BB8_2188 Depth=3
	s_or_b64 exec, exec, vcc
.LBB8_2233:                             ;   in Loop: Header=BB8_2188 Depth=3
	s_or_b64 exec, exec, s[26:27]
	v_and_b32_e32 v0, 16, v62
	s_and_saveexec_b64 s[26:27], s[24:25]
	s_xor_b64 s[26:27], exec, s[26:27]
	s_cbranch_execz .LBB8_2237
; %bb.2234:                             ;   in Loop: Header=BB8_2188 Depth=3
	s_trap 2
	ds_read_b32 v1, v0
	v_cmp_lt_i32_e32 vcc, 0, v32
	v_and_b32_e32 v2, 16, v62
	v_and_b32_e32 v0, 16, v62
	s_waitcnt lgkmcnt(0)
	v_readfirstlane_b32 s34, v1
	s_cmp_eq_u32 s34, 0
	s_cselect_b64 s[34:35], -1, 0
	s_and_b64 s[34:35], vcc, s[34:35]
	v_cmp_ne_u32_e32 vcc, 0, v2
	s_and_b64 s[34:35], vcc, s[34:35]
	s_and_saveexec_b64 vcc, s[34:35]
	s_cbranch_execz .LBB8_2236
; %bb.2235:                             ;   in Loop: Header=BB8_2188 Depth=3
	v_mov_b32_e32 v0, 1
	s_waitcnt vmcnt(0)
	buffer_wbinvl1_vol
.LBB8_2236:                             ;   in Loop: Header=BB8_2188 Depth=3
	s_or_b64 exec, exec, vcc
.LBB8_2237:                             ;   in Loop: Header=BB8_2188 Depth=3
	s_andn2_saveexec_b64 s[26:27], s[26:27]
	s_cbranch_execz .LBB8_2256
; %bb.2238:                             ;   in Loop: Header=BB8_2188 Depth=3
	s_and_saveexec_b64 vcc, s[44:45]
	s_xor_b64 s[34:35], exec, vcc
	s_cbranch_execz .LBB8_2253
; %bb.2239:                             ;   in Loop: Header=BB8_2188 Depth=3
	s_and_saveexec_b64 s[36:37], s[16:17]
	s_cbranch_execz .LBB8_2252
; %bb.2240:                             ;   in Loop: Header=BB8_2188 Depth=3
	s_mov_b64 s[54:55], exec
	v_mbcnt_lo_u32_b32 v1, s54, 0
	v_mbcnt_hi_u32_b32 v1, s55, v1
	v_cmp_eq_u32_e32 vcc, 0, v1
	;;#ASMSTART
	s_waitcnt lgkmcnt(0) vmcnt(0)
	;;#ASMEND
	s_and_saveexec_b64 s[52:53], vcc
	s_cbranch_execz .LBB8_2242
; %bb.2241:                             ;   in Loop: Header=BB8_2188 Depth=3
	s_bcnt1_i32_b64 vcc_lo, s[54:55]
	v_mov_b32_e32 v2, vcc_lo
	v_mov_b32_e32 v3, v42
	ds_add_u64 v0, v[2:3]
	s_trap 2
.LBB8_2242:                             ;   in Loop: Header=BB8_2188 Depth=3
	s_or_b64 exec, exec, s[52:53]
	s_trap 2
	ds_read_b64 v[2:3], v0
	v_accvgpr_read_b32 v8, a12
	v_accvgpr_read_b32 v10, a20
	;; [unrolled: 1-line block ×3, first 2 shown]
	v_add_co_u32_e32 v8, vcc, v8, v10
	v_addc_co_u32_e32 v9, vcc, 0, v9, vcc
	v_accvgpr_write_b32 a13, v9
	v_accvgpr_write_b32 a12, v8
	s_waitcnt lgkmcnt(0)
	v_cmp_lt_u64_e32 vcc, v[2:3], v[8:9]
	s_and_saveexec_b64 s[52:53], vcc
	s_cbranch_execz .LBB8_2251
; %bb.2243:                             ;   in Loop: Header=BB8_2188 Depth=3
	s_mov_b32 s64, 0
	s_mov_b64 s[54:55], 0
                                        ; implicit-def: $sgpr56_sgpr57
                                        ; implicit-def: $sgpr58_sgpr59
	s_branch .LBB8_2245
.LBB8_2244:                             ;   in Loop: Header=BB8_2245 Depth=4
	s_or_b64 exec, exec, s[62:63]
	s_and_b64 vcc, exec, vcc
	s_or_b64 s[54:55], vcc, s[54:55]
	s_andn2_b64 vcc, s[56:57], exec
	s_and_b64 s[56:57], s[58:59], exec
	s_or_b64 s[56:57], vcc, s[56:57]
	s_andn2_b64 exec, exec, s[54:55]
	s_cbranch_execz .LBB8_2249
.LBB8_2245:                             ;   Parent Loop BB8_47 Depth=1
                                        ;     Parent Loop BB8_1941 Depth=2
                                        ;       Parent Loop BB8_2188 Depth=3
                                        ; =>      This Inner Loop Header: Depth=4
	s_add_i32 s64, s64, 1
	s_cmpk_lg_i32 s64, 0x2710
	s_cselect_b64 s[60:61], -1, 0
	s_and_b64 vcc, exec, s[60:61]
                                        ; implicit-def: $sgpr62_sgpr63
	s_cbranch_vccnz .LBB8_2247
; %bb.2246:                             ;   in Loop: Header=BB8_2245 Depth=4
	s_trap 2
	ds_read_b64 v[2:3], v0
	s_andn2_b64 s[60:61], s[60:61], exec
	s_mov_b32 s64, 0
	s_mov_b64 s[62:63], -1
	s_waitcnt vmcnt(0) lgkmcnt(0)
	flat_load_dword v1, v[2:3] glc
	s_waitcnt vmcnt(0) lgkmcnt(0)
	buffer_invl2
	buffer_wbinvl1_vol
	v_cmp_eq_u32_e32 vcc, 0, v1
	s_and_b64 vcc, vcc, exec
	s_or_b64 s[60:61], s[60:61], vcc
.LBB8_2247:                             ;   in Loop: Header=BB8_2245 Depth=4
	s_andn2_b64 s[58:59], s[58:59], exec
	s_and_b64 s[62:63], s[62:63], exec
	s_mov_b64 vcc, -1
	s_or_b64 s[58:59], s[58:59], s[62:63]
	s_and_saveexec_b64 s[62:63], s[60:61]
	s_cbranch_execz .LBB8_2244
; %bb.2248:                             ;   in Loop: Header=BB8_2245 Depth=4
	s_sleep 1
	s_trap 2
	ds_read_b64 v[2:3], v0
	v_accvgpr_read_b32 v8, a12
	v_accvgpr_read_b32 v9, a13
	s_andn2_b64 s[58:59], s[58:59], exec
	s_waitcnt lgkmcnt(0)
	v_cmp_ge_u64_e32 vcc, v[2:3], v[8:9]
	s_orn2_b64 vcc, vcc, exec
	s_branch .LBB8_2244
.LBB8_2249:                             ;   in Loop: Header=BB8_2188 Depth=3
	s_or_b64 exec, exec, s[54:55]
	s_and_saveexec_b64 vcc, s[56:57]
	s_xor_b64 vcc, exec, vcc
	s_cbranch_execz .LBB8_2251
; %bb.2250:                             ;   in Loop: Header=BB8_2188 Depth=3
	v_mov_b32_e32 v1, 1
	ds_write_b32 v0, v1
	s_trap 2
.LBB8_2251:                             ;   in Loop: Header=BB8_2188 Depth=3
	s_or_b64 exec, exec, s[52:53]
	;;#ASMSTART
	s_wakeup
	;;#ASMEND
.LBB8_2252:                             ;   in Loop: Header=BB8_2188 Depth=3
	s_or_b64 exec, exec, s[36:37]
.LBB8_2253:                             ;   in Loop: Header=BB8_2188 Depth=3
	s_andn2_saveexec_b64 vcc, s[34:35]
	s_cbranch_execz .LBB8_2255
; %bb.2254:                             ;   in Loop: Header=BB8_2188 Depth=3
	;;#ASMSTART
	s_waitcnt lgkmcnt(0) vmcnt(0)
	;;#ASMEND
	s_barrier
.LBB8_2255:                             ;   in Loop: Header=BB8_2188 Depth=3
	s_or_b64 exec, exec, vcc
.LBB8_2256:                             ;   in Loop: Header=BB8_2188 Depth=3
	s_or_b64 exec, exec, s[26:27]
	v_cmp_ne_u32_e32 vcc, 0, v0
	s_xor_b64 s[26:27], s[12:13], -1
	s_and_b64 vcc, vcc, s[26:27]
	s_and_saveexec_b64 s[26:27], vcc
	s_cbranch_execz .LBB8_2258
; %bb.2257:                             ;   in Loop: Header=BB8_2188 Depth=3
	v_accvgpr_read_b32 v0, a18
	v_accvgpr_read_b32 v1, a19
	v_mov_b32_e32 v2, 1
	flat_store_dword v[0:1], v2
.LBB8_2258:                             ;   in Loop: Header=BB8_2188 Depth=3
	s_or_b64 exec, exec, s[26:27]
	v_and_b32_e32 v0, 48, v62
	v_cmp_ne_u32_e32 vcc, 0, v0
	s_and_saveexec_b64 s[26:27], vcc
	s_cbranch_execz .LBB8_2187
; %bb.2259:                             ;   in Loop: Header=BB8_2188 Depth=3
	v_add_co_u32_e32 v44, vcc, 2, v44
	v_addc_co_u32_e32 v45, vcc, 0, v45, vcc
	flat_store_dwordx2 v[46:47], v[44:45]
	s_branch .LBB8_2187
.LBB8_2260:                             ;   in Loop: Header=BB8_1941 Depth=2
	s_or_b64 exec, exec, s[36:37]
	s_or_b64 exec, exec, s[34:35]
	v_cmp_gt_i32_e32 vcc, 2, v2
	s_and_saveexec_b64 s[28:29], vcc
	s_cbranch_execnz .LBB8_2186
.LBB8_2261:                             ;   in Loop: Header=BB8_1941 Depth=2
	s_or_b64 exec, exec, s[28:29]
	s_add_i32 s26, s70, 1
	s_cmp_eq_u32 s70, s88
	s_cbranch_scc0 .LBB8_2263
	s_branch .LBB8_2264
.LBB8_2262:                             ;   in Loop: Header=BB8_1941 Depth=2
	s_or_b64 exec, exec, s[30:31]
	s_or_b64 exec, exec, s[28:29]
	s_add_i32 s26, s70, 1
	s_cmp_eq_u32 s70, s88
	s_cbranch_scc1 .LBB8_2264
.LBB8_2263:                             ;   in Loop: Header=BB8_1941 Depth=2
	s_mov_b32 s70, s26
	s_branch .LBB8_1941
.LBB8_2264:                             ;   in Loop: Header=BB8_47 Depth=1
	v_accvgpr_read_b32 v8, a50
	v_accvgpr_read_b32 v9, a51
	v_mul_lo_u32 v2, v9, s86
	v_mul_lo_u32 v3, v8, s87
	v_mad_u64_u32 v[0:1], s[26:27], v8, s86, 0
	v_add3_u32 v1, v1, v3, v2
	v_accvgpr_read_b32 v2, a52
	v_accvgpr_read_b32 v3, a53
	v_sub_co_u32_e32 v2, vcc, v2, v0
	v_subb_co_u32_e32 v3, vcc, v3, v1, vcc
	v_cmp_lt_i64_e32 vcc, v[8:9], v[2:3]
	v_cndmask_b32_e32 v2, v2, v8, vcc
	v_max_i32_e32 v34, 0, v2
	v_add_u32_e32 v3, 31, v34
	v_lshrrev_b32_e32 v3, 1, v3
	v_and_b32_e32 v3, 0x3ffffff0, v3
	v_cmp_lt_i32_e32 vcc, 0, v2
	v_max_i32_e32 v35, s85, v3
	s_and_b64 s[26:27], s[50:51], vcc
	v_mov_b32_e32 v3, 0
	v_mov_b32_e32 v2, 0
	s_and_saveexec_b64 s[28:29], s[26:27]
	s_cbranch_execz .LBB8_2433
; %bb.2265:                             ;   in Loop: Header=BB8_47 Depth=1
	v_accvgpr_read_b32 v2, a54
	v_accvgpr_read_b32 v3, a55
	v_add_co_u32_e32 v0, vcc, v0, v2
	v_addc_co_u32_e32 v1, vcc, v1, v3, vcc
	s_mov_b32 s66, 1
	s_mov_b64 s[34:35], -1
	s_mov_b64 s[30:31], 0
	v_mov_b32_e32 v2, 0
	v_lshlrev_b64 v[24:25], 1, v[0:1]
	s_branch .LBB8_2267
.LBB8_2266:                             ;   in Loop: Header=BB8_2267 Depth=2
	s_or_b64 exec, exec, s[26:27]
	v_add_u32_e32 v2, v35, v2
	v_cmp_ge_i32_e32 vcc, v2, v34
	s_xor_b64 s[26:27], s[34:35], -1
	s_or_b64 s[26:27], s[26:27], vcc
	s_and_b64 s[26:27], exec, s[26:27]
	s_or_b64 s[30:31], s[26:27], s[30:31]
	s_mov_b64 s[34:35], 0
	v_mov_b32_e32 v3, s66
	s_mov_b32 s66, 2
	s_andn2_b64 exec, exec, s[30:31]
	s_cbranch_execz .LBB8_2432
.LBB8_2267:                             ;   Parent Loop BB8_47 Depth=1
                                        ; =>  This Loop Header: Depth=2
                                        ;       Child Loop BB8_2275 Depth 3
                                        ;       Child Loop BB8_2299 Depth 3
	;; [unrolled: 1-line block ×9, first 2 shown]
	s_and_saveexec_b64 s[26:27], s[4:5]
	s_cbranch_execz .LBB8_2269
; %bb.2268:                             ;   in Loop: Header=BB8_2267 Depth=2
	s_trap 2
	ds_read_b128 v[8:11], v0
	v_ashrrev_i32_e32 v3, 31, v2
	v_lshlrev_b64 v[0:1], 1, v[2:3]
	s_waitcnt lgkmcnt(0)
	v_add_co_u32_e32 v5, vcc, v8, v24
	v_addc_co_u32_e32 v9, vcc, v9, v25, vcc
	v_add_co_u32_e32 v8, vcc, v5, v0
	v_addc_co_u32_e32 v9, vcc, v9, v1, vcc
	;; [unrolled: 2-line block ×3, first 2 shown]
	ds_write_b64 v0, v[8:9]
	v_add_co_u32_e32 v0, vcc, v3, v0
	v_addc_co_u32_e32 v1, vcc, v5, v1, vcc
	v_cmp_ne_u64_e32 vcc, 0, v[10:11]
	v_cndmask_b32_e32 v1, 0, v1, vcc
	v_cndmask_b32_e32 v0, 0, v0, vcc
	ds_write_b64 v0, v[0:1]
.LBB8_2269:                             ;   in Loop: Header=BB8_2267 Depth=2
	s_or_b64 exec, exec, s[26:27]
	v_and_b32_e32 v0, 4, v62
	v_cmp_ne_u32_e32 vcc, 0, v0
	s_mov_b64 s[36:37], -1
	s_and_saveexec_b64 s[26:27], vcc
	s_cbranch_execz .LBB8_2279
; %bb.2270:                             ;   in Loop: Header=BB8_2267 Depth=2
	v_add_co_u32_e32 v0, vcc, 2, v44
	v_addc_co_u32_e32 v1, vcc, 0, v45, vcc
	v_cmp_lt_u64_e32 vcc, v[60:61], v[0:1]
	v_mov_b32_e32 v3, 1
	s_and_saveexec_b64 s[36:37], vcc
	s_cbranch_execz .LBB8_2290
; %bb.2271:                             ;   in Loop: Header=BB8_2267 Depth=2
	s_mov_b64 s[52:53], 0
	v_mov_b32_e32 v3, 0
                                        ; implicit-def: $sgpr54_sgpr55
	s_branch .LBB8_2275
.LBB8_2272:                             ;   in Loop: Header=BB8_2275 Depth=3
	s_or_b64 exec, exec, s[62:63]
	v_mov_b32_e32 v5, 0
	s_orn2_b64 s[60:61], s[60:61], exec
.LBB8_2273:                             ;   in Loop: Header=BB8_2275 Depth=3
	s_or_b64 exec, exec, s[58:59]
	s_andn2_b64 vcc, s[54:55], exec
	s_and_b64 s[54:55], s[60:61], exec
	s_or_b64 s[54:55], vcc, s[54:55]
	v_mov_b32_e32 v3, v5
.LBB8_2274:                             ;   in Loop: Header=BB8_2275 Depth=3
	s_or_b64 exec, exec, s[56:57]
	s_waitcnt vmcnt(0) lgkmcnt(0)
	v_cmp_ge_u64_e32 vcc, v[60:61], v[0:1]
	s_xor_b64 s[56:57], s[54:55], -1
	s_or_b64 vcc, s[56:57], vcc
	s_and_b64 vcc, exec, vcc
	s_or_b64 s[52:53], vcc, s[52:53]
	s_andn2_b64 exec, exec, s[52:53]
	s_cbranch_execz .LBB8_2289
.LBB8_2275:                             ;   Parent Loop BB8_47 Depth=1
                                        ;     Parent Loop BB8_2267 Depth=2
                                        ; =>    This Inner Loop Header: Depth=3
	s_sleep 1
	flat_load_dwordx2 v[60:61], v[46:47] glc
	v_and_b32_e32 v5, 64, v62
	v_cmp_eq_u32_e32 vcc, 0, v5
	s_andn2_b64 s[54:55], s[54:55], exec
	s_and_saveexec_b64 s[56:57], vcc
	s_cbranch_execz .LBB8_2274
; %bb.2276:                             ;   in Loop: Header=BB8_2275 Depth=3
	v_add_u32_e32 v5, 1, v3
	v_cmp_lt_i32_e32 vcc, s89, v3
	s_mov_b64 s[60:61], -1
	s_and_saveexec_b64 s[58:59], vcc
	s_cbranch_execz .LBB8_2273
; %bb.2277:                             ;   in Loop: Header=BB8_2275 Depth=3
	s_trap 2
	ds_read_b64 v[8:9], v0
	s_waitcnt vmcnt(0) lgkmcnt(0)
	flat_load_dword v3, v[8:9] glc
	s_waitcnt vmcnt(0) lgkmcnt(0)
	buffer_invl2
	buffer_wbinvl1_vol
	v_cmp_ne_u32_e32 vcc, 0, v3
	s_and_saveexec_b64 s[62:63], vcc
	s_cbranch_execz .LBB8_2272
; %bb.2278:                             ;   in Loop: Header=BB8_2275 Depth=3
	v_or_b32_e32 v62, 64, v62
	s_xor_b64 s[60:61], exec, -1
	ds_write_b32 v0, v3
	s_trap 2
	s_branch .LBB8_2272
.LBB8_2279:                             ;   in Loop: Header=BB8_2267 Depth=2
	s_or_b64 exec, exec, s[26:27]
	s_xor_b64 s[26:27], s[36:37], -1
	s_and_saveexec_b64 s[36:37], s[26:27]
	s_cbranch_execz .LBB8_2291
.LBB8_2280:                             ;   in Loop: Header=BB8_2267 Depth=2
	v_and_b32_e32 v0, 0x100, v62
	v_cmp_ne_u32_e32 vcc, 0, v0
	v_and_b32_e32 v3, 7, v44
	s_mov_b64 s[26:27], -1
                                        ; implicit-def: $vgpr0_vgpr1
	s_and_saveexec_b64 s[52:53], vcc
	s_cbranch_execz .LBB8_2284
; %bb.2281:                             ;   in Loop: Header=BB8_2267 Depth=2
	v_accvgpr_read_b32 v0, a10
	v_accvgpr_read_b32 v1, a11
	v_mad_u64_u32 v[8:9], s[26:27], v3, 24, v[0:1]
	flat_load_dword v0, v[8:9]
	s_waitcnt vmcnt(0) lgkmcnt(0)
	v_cmp_ne_u32_e32 vcc, 1, v0
	v_cmp_eq_u32_e64 s[26:27], 1, v0
                                        ; implicit-def: $vgpr0_vgpr1
	s_and_saveexec_b64 s[54:55], s[26:27]
	s_cbranch_execz .LBB8_2283
; %bb.2282:                             ;   in Loop: Header=BB8_2267 Depth=2
	flat_load_dword v0, v[8:9] offset:4 glc
	s_waitcnt vmcnt(0) lgkmcnt(0)
	v_ashrrev_i32_e32 v1, 31, v0
	v_lshrrev_b64 v[0:1], 1, v[0:1]
.LBB8_2283:                             ;   in Loop: Header=BB8_2267 Depth=2
	s_or_b64 exec, exec, s[54:55]
	s_orn2_b64 s[26:27], vcc, exec
.LBB8_2284:                             ;   in Loop: Header=BB8_2267 Depth=2
	s_or_b64 exec, exec, s[52:53]
	s_and_saveexec_b64 vcc, s[26:27]
; %bb.2285:                             ;   in Loop: Header=BB8_2267 Depth=2
	v_accvgpr_read_b32 v0, a14
	v_mad_i64_i32 v[0:1], s[26:27], v3, v0, 0
; %bb.2286:                             ;   in Loop: Header=BB8_2267 Depth=2
	s_or_b64 exec, exec, vcc
	v_lshlrev_b64 v[0:1], 1, v[0:1]
	v_accvgpr_read_b32 v8, a16
	v_accvgpr_read_b32 v9, a17
	v_add_co_u32_e32 v0, vcc, v8, v0
	v_addc_co_u32_e32 v1, vcc, v9, v1, vcc
	ds_write_b64 v0, v[0:1] offset:720
	v_and_b32_e32 v0, 0x2000, v62
	v_cmp_ne_u32_e32 vcc, 0, v0
	s_and_saveexec_b64 s[26:27], vcc
	s_cbranch_execz .LBB8_2288
; %bb.2287:                             ;   in Loop: Header=BB8_2267 Depth=2
	ds_read_b64 v[0:1], v0 offset:584
	s_waitcnt lgkmcnt(0)
	v_add_co_u32_e32 v0, vcc, 1, v0
	v_addc_co_u32_e32 v1, vcc, 0, v1, vcc
	ds_write_b64 v0, v[0:1] offset:584
.LBB8_2288:                             ;   in Loop: Header=BB8_2267 Depth=2
	s_or_b64 exec, exec, s[26:27]
	v_add_co_u32_e32 v44, vcc, 2, v44
	v_addc_co_u32_e32 v45, vcc, 0, v45, vcc
	s_or_b64 exec, exec, s[36:37]
	s_and_saveexec_b64 s[26:27], s[10:11]
	s_cbranch_execz .LBB8_2310
	s_branch .LBB8_2292
.LBB8_2289:                             ;   in Loop: Header=BB8_2267 Depth=2
	s_or_b64 exec, exec, s[52:53]
	v_and_b32_e32 v3, 4, v62
.LBB8_2290:                             ;   in Loop: Header=BB8_2267 Depth=2
	s_or_b64 exec, exec, s[36:37]
	v_cmp_eq_u32_e32 vcc, 0, v3
	s_orn2_b64 s[36:37], vcc, exec
	;;#ASMSTART
	s_wakeup
	;;#ASMEND
	s_or_b64 exec, exec, s[26:27]
	s_xor_b64 s[26:27], s[36:37], -1
	s_and_saveexec_b64 s[36:37], s[26:27]
	s_cbranch_execnz .LBB8_2280
.LBB8_2291:                             ;   in Loop: Header=BB8_2267 Depth=2
	s_or_b64 exec, exec, s[36:37]
	s_and_saveexec_b64 s[26:27], s[10:11]
	s_cbranch_execz .LBB8_2310
.LBB8_2292:                             ;   in Loop: Header=BB8_2267 Depth=2
	s_and_saveexec_b64 vcc, s[44:45]
	s_xor_b64 s[36:37], exec, vcc
	s_cbranch_execz .LBB8_2307
; %bb.2293:                             ;   in Loop: Header=BB8_2267 Depth=2
	s_and_saveexec_b64 s[52:53], s[16:17]
	s_cbranch_execz .LBB8_2306
; %bb.2294:                             ;   in Loop: Header=BB8_2267 Depth=2
	s_mov_b64 s[56:57], exec
	v_mbcnt_lo_u32_b32 v0, s56, 0
	v_mbcnt_hi_u32_b32 v0, s57, v0
	v_cmp_eq_u32_e32 vcc, 0, v0
	s_waitcnt vmcnt(0) lgkmcnt(0)
	buffer_wbinvl1_vol
	s_and_saveexec_b64 s[54:55], vcc
	s_cbranch_execz .LBB8_2296
; %bb.2295:                             ;   in Loop: Header=BB8_2267 Depth=2
	s_bcnt1_i32_b64 vcc_lo, s[56:57]
	v_mov_b32_e32 v0, vcc_lo
	v_mov_b32_e32 v1, v42
	ds_add_u64 v0, v[0:1]
	s_trap 2
.LBB8_2296:                             ;   in Loop: Header=BB8_2267 Depth=2
	s_or_b64 exec, exec, s[54:55]
	s_trap 2
	ds_read_b64 v[0:1], v0
	v_accvgpr_read_b32 v8, a12
	v_accvgpr_read_b32 v10, a20
	;; [unrolled: 1-line block ×3, first 2 shown]
	v_add_co_u32_e32 v8, vcc, v8, v10
	v_addc_co_u32_e32 v9, vcc, 0, v9, vcc
	v_accvgpr_write_b32 a13, v9
	v_accvgpr_write_b32 a12, v8
	s_waitcnt lgkmcnt(0)
	v_cmp_lt_u64_e32 vcc, v[0:1], v[8:9]
	s_and_saveexec_b64 s[54:55], vcc
	s_cbranch_execz .LBB8_2305
; %bb.2297:                             ;   in Loop: Header=BB8_2267 Depth=2
	s_mov_b32 s67, 0
	s_mov_b64 s[56:57], 0
                                        ; implicit-def: $sgpr58_sgpr59
                                        ; implicit-def: $sgpr60_sgpr61
	s_branch .LBB8_2299
.LBB8_2298:                             ;   in Loop: Header=BB8_2299 Depth=3
	s_or_b64 exec, exec, s[64:65]
	s_and_b64 vcc, exec, vcc
	s_or_b64 s[56:57], vcc, s[56:57]
	s_andn2_b64 vcc, s[58:59], exec
	s_and_b64 s[58:59], s[60:61], exec
	s_or_b64 s[58:59], vcc, s[58:59]
	s_andn2_b64 exec, exec, s[56:57]
	s_cbranch_execz .LBB8_2303
.LBB8_2299:                             ;   Parent Loop BB8_47 Depth=1
                                        ;     Parent Loop BB8_2267 Depth=2
                                        ; =>    This Inner Loop Header: Depth=3
	s_add_i32 s67, s67, 1
	s_cmpk_lg_i32 s67, 0x2710
	s_cselect_b64 s[62:63], -1, 0
	s_and_b64 vcc, exec, s[62:63]
                                        ; implicit-def: $sgpr64_sgpr65
	s_cbranch_vccnz .LBB8_2301
; %bb.2300:                             ;   in Loop: Header=BB8_2299 Depth=3
	s_trap 2
	ds_read_b64 v[0:1], v0
	s_andn2_b64 s[62:63], s[62:63], exec
	s_mov_b32 s67, 0
	s_mov_b64 s[64:65], -1
	s_waitcnt lgkmcnt(0)
	flat_load_dword v0, v[0:1] glc
	s_waitcnt vmcnt(0) lgkmcnt(0)
	buffer_invl2
	buffer_wbinvl1_vol
	v_cmp_eq_u32_e32 vcc, 0, v0
	s_and_b64 vcc, vcc, exec
	s_or_b64 s[62:63], s[62:63], vcc
.LBB8_2301:                             ;   in Loop: Header=BB8_2299 Depth=3
	s_andn2_b64 s[60:61], s[60:61], exec
	s_and_b64 s[64:65], s[64:65], exec
	s_mov_b64 vcc, -1
	s_or_b64 s[60:61], s[60:61], s[64:65]
	s_and_saveexec_b64 s[64:65], s[62:63]
	s_cbranch_execz .LBB8_2298
; %bb.2302:                             ;   in Loop: Header=BB8_2299 Depth=3
	s_sleep 1
	s_trap 2
	ds_read_b64 v[0:1], v0
	v_accvgpr_read_b32 v8, a12
	v_accvgpr_read_b32 v9, a13
	s_andn2_b64 s[60:61], s[60:61], exec
	s_waitcnt lgkmcnt(0)
	v_cmp_ge_u64_e32 vcc, v[0:1], v[8:9]
	s_orn2_b64 vcc, vcc, exec
	s_branch .LBB8_2298
.LBB8_2303:                             ;   in Loop: Header=BB8_2267 Depth=2
	s_or_b64 exec, exec, s[56:57]
	s_and_saveexec_b64 vcc, s[58:59]
	s_xor_b64 vcc, exec, vcc
	s_cbranch_execz .LBB8_2305
; %bb.2304:                             ;   in Loop: Header=BB8_2267 Depth=2
	v_mov_b32_e32 v0, 1
	ds_write_b32 v0, v0
	s_trap 2
.LBB8_2305:                             ;   in Loop: Header=BB8_2267 Depth=2
	s_or_b64 exec, exec, s[54:55]
	;;#ASMSTART
	s_wakeup
	;;#ASMEND
.LBB8_2306:                             ;   in Loop: Header=BB8_2267 Depth=2
	s_or_b64 exec, exec, s[52:53]
.LBB8_2307:                             ;   in Loop: Header=BB8_2267 Depth=2
	s_andn2_saveexec_b64 vcc, s[36:37]
	s_cbranch_execz .LBB8_2309
; %bb.2308:                             ;   in Loop: Header=BB8_2267 Depth=2
	s_waitcnt vmcnt(0) lgkmcnt(0)
	buffer_wbinvl1_vol
	s_barrier
.LBB8_2309:                             ;   in Loop: Header=BB8_2267 Depth=2
	s_or_b64 exec, exec, vcc
.LBB8_2310:                             ;   in Loop: Header=BB8_2267 Depth=2
	s_or_b64 exec, exec, s[26:27]
	s_trap 2
	ds_read_b32 v0, v0
	v_and_b32_e32 v1, 0x4000, v62
	v_cmp_ne_u32_e32 vcc, 0, v1
	s_xor_b64 s[26:27], s[6:7], -1
	s_and_b64 vcc, s[26:27], vcc
	s_and_saveexec_b64 s[26:27], vcc
	s_cbranch_execz .LBB8_2329
; %bb.2311:                             ;   in Loop: Header=BB8_2267 Depth=2
	s_and_saveexec_b64 vcc, s[44:45]
	s_xor_b64 s[36:37], exec, vcc
	s_cbranch_execz .LBB8_2326
; %bb.2312:                             ;   in Loop: Header=BB8_2267 Depth=2
	s_and_saveexec_b64 s[52:53], s[16:17]
	s_cbranch_execz .LBB8_2325
; %bb.2313:                             ;   in Loop: Header=BB8_2267 Depth=2
	s_mov_b64 s[56:57], exec
	v_mbcnt_lo_u32_b32 v1, s56, 0
	v_mbcnt_hi_u32_b32 v1, s57, v1
	v_cmp_eq_u32_e32 vcc, 0, v1
	s_waitcnt vmcnt(0) lgkmcnt(0)
	buffer_wbinvl1_vol
	s_and_saveexec_b64 s[54:55], vcc
	s_cbranch_execz .LBB8_2315
; %bb.2314:                             ;   in Loop: Header=BB8_2267 Depth=2
	s_bcnt1_i32_b64 vcc_lo, s[56:57]
	v_mov_b32_e32 v8, vcc_lo
	v_mov_b32_e32 v9, v42
	ds_add_u64 v0, v[8:9]
	s_trap 2
.LBB8_2315:                             ;   in Loop: Header=BB8_2267 Depth=2
	s_or_b64 exec, exec, s[54:55]
	s_trap 2
	ds_read_b64 v[8:9], v0
	v_accvgpr_read_b32 v10, a12
	v_accvgpr_read_b32 v12, a20
	v_accvgpr_read_b32 v11, a13
	v_add_co_u32_e32 v10, vcc, v10, v12
	v_addc_co_u32_e32 v11, vcc, 0, v11, vcc
	v_accvgpr_write_b32 a13, v11
	v_accvgpr_write_b32 a12, v10
	s_waitcnt lgkmcnt(0)
	v_cmp_lt_u64_e32 vcc, v[8:9], v[10:11]
	s_and_saveexec_b64 s[54:55], vcc
	s_cbranch_execz .LBB8_2324
; %bb.2316:                             ;   in Loop: Header=BB8_2267 Depth=2
	s_mov_b32 s67, 0
	s_mov_b64 s[56:57], 0
                                        ; implicit-def: $sgpr58_sgpr59
                                        ; implicit-def: $sgpr60_sgpr61
	s_branch .LBB8_2318
.LBB8_2317:                             ;   in Loop: Header=BB8_2318 Depth=3
	s_or_b64 exec, exec, s[64:65]
	s_and_b64 vcc, exec, vcc
	s_or_b64 s[56:57], vcc, s[56:57]
	s_andn2_b64 vcc, s[58:59], exec
	s_and_b64 s[58:59], s[60:61], exec
	s_or_b64 s[58:59], vcc, s[58:59]
	s_andn2_b64 exec, exec, s[56:57]
	s_cbranch_execz .LBB8_2322
.LBB8_2318:                             ;   Parent Loop BB8_47 Depth=1
                                        ;     Parent Loop BB8_2267 Depth=2
                                        ; =>    This Inner Loop Header: Depth=3
	s_add_i32 s67, s67, 1
	s_cmpk_lg_i32 s67, 0x2710
	s_cselect_b64 s[62:63], -1, 0
	s_and_b64 vcc, exec, s[62:63]
                                        ; implicit-def: $sgpr64_sgpr65
	s_cbranch_vccnz .LBB8_2320
; %bb.2319:                             ;   in Loop: Header=BB8_2318 Depth=3
	s_trap 2
	ds_read_b64 v[8:9], v0
	s_andn2_b64 s[62:63], s[62:63], exec
	s_mov_b32 s67, 0
	s_mov_b64 s[64:65], -1
	s_waitcnt lgkmcnt(0)
	flat_load_dword v1, v[8:9] glc
	s_waitcnt vmcnt(0) lgkmcnt(0)
	buffer_invl2
	buffer_wbinvl1_vol
	v_cmp_eq_u32_e32 vcc, 0, v1
	s_and_b64 vcc, vcc, exec
	s_or_b64 s[62:63], s[62:63], vcc
.LBB8_2320:                             ;   in Loop: Header=BB8_2318 Depth=3
	s_andn2_b64 s[60:61], s[60:61], exec
	s_and_b64 s[64:65], s[64:65], exec
	s_mov_b64 vcc, -1
	s_or_b64 s[60:61], s[60:61], s[64:65]
	s_and_saveexec_b64 s[64:65], s[62:63]
	s_cbranch_execz .LBB8_2317
; %bb.2321:                             ;   in Loop: Header=BB8_2318 Depth=3
	s_sleep 1
	s_trap 2
	ds_read_b64 v[8:9], v0
	v_accvgpr_read_b32 v10, a12
	v_accvgpr_read_b32 v11, a13
	s_andn2_b64 s[60:61], s[60:61], exec
	s_waitcnt lgkmcnt(0)
	v_cmp_ge_u64_e32 vcc, v[8:9], v[10:11]
	s_orn2_b64 vcc, vcc, exec
	s_branch .LBB8_2317
.LBB8_2322:                             ;   in Loop: Header=BB8_2267 Depth=2
	s_or_b64 exec, exec, s[56:57]
	s_and_saveexec_b64 vcc, s[58:59]
	s_xor_b64 vcc, exec, vcc
	s_cbranch_execz .LBB8_2324
; %bb.2323:                             ;   in Loop: Header=BB8_2267 Depth=2
	v_mov_b32_e32 v1, 1
	ds_write_b32 v0, v1
	s_trap 2
.LBB8_2324:                             ;   in Loop: Header=BB8_2267 Depth=2
	s_or_b64 exec, exec, s[54:55]
	;;#ASMSTART
	s_wakeup
	;;#ASMEND
.LBB8_2325:                             ;   in Loop: Header=BB8_2267 Depth=2
	s_or_b64 exec, exec, s[52:53]
.LBB8_2326:                             ;   in Loop: Header=BB8_2267 Depth=2
	s_andn2_saveexec_b64 vcc, s[36:37]
	s_cbranch_execz .LBB8_2328
; %bb.2327:                             ;   in Loop: Header=BB8_2267 Depth=2
	s_waitcnt vmcnt(0) lgkmcnt(0)
	buffer_wbinvl1_vol
	s_barrier
.LBB8_2328:                             ;   in Loop: Header=BB8_2267 Depth=2
	s_or_b64 exec, exec, vcc
.LBB8_2329:                             ;   in Loop: Header=BB8_2267 Depth=2
	s_or_b64 exec, exec, s[26:27]
	s_trap 2
	s_waitcnt lgkmcnt(0)
	ds_read_b64 v[8:9], v0
	v_sub_u32_e32 v1, v34, v2
	v_min_i32_e32 v35, v35, v1
	v_mov_b32_e32 v36, 0
	s_waitcnt lgkmcnt(0)
	v_readfirstlane_b32 s26, v8
	v_readfirstlane_b32 s27, v9
	s_cmp_eq_u64 s[26:27], 0
	s_cselect_b64 s[26:27], -1, 0
	s_or_b64 s[26:27], s[26:27], s[26:27]
	s_and_b64 vcc, exec, s[26:27]
	s_cbranch_vccnz .LBB8_2343
; %bb.2330:                             ;   in Loop: Header=BB8_2267 Depth=2
	s_mov_b64 s[26:27], -1
	s_and_saveexec_b64 s[36:37], s[20:21]
	s_cbranch_execz .LBB8_2332
; %bb.2331:                             ;   in Loop: Header=BB8_2267 Depth=2
	ds_read_b32 v1, v0 offset:720
	s_waitcnt lgkmcnt(0)
	v_and_b32_e32 v1, 15, v1
	v_cmp_eq_u32_e32 vcc, 0, v1
	s_orn2_b64 s[26:27], vcc, exec
.LBB8_2332:                             ;   in Loop: Header=BB8_2267 Depth=2
	s_or_b64 exec, exec, s[36:37]
	s_and_saveexec_b64 s[36:37], s[18:19]
	s_cbranch_execz .LBB8_2334
; %bb.2333:                             ;   in Loop: Header=BB8_2267 Depth=2
	ds_read_b32 v1, v0 offset:784
	s_waitcnt lgkmcnt(0)
	v_and_b32_e32 v1, 15, v1
	v_cmp_eq_u32_e32 vcc, 0, v1
	s_and_b64 vcc, s[26:27], vcc
	s_andn2_b64 s[26:27], s[26:27], exec
	s_and_b64 vcc, vcc, exec
	s_or_b64 s[26:27], s[26:27], vcc
.LBB8_2334:                             ;   in Loop: Header=BB8_2267 Depth=2
	s_or_b64 exec, exec, s[36:37]
	s_xor_b64 s[26:27], s[26:27], -1
	v_cmp_eq_u32_e32 vcc, 0, v0
	v_cndmask_b32_e64 v0, 0, 1, s[26:27]
	;;#ASMSTART
	;;#ASMEND
	s_trap 2
	ds_read_b64 v[26:27], v0
	v_cndmask_b32_e32 v36, 0, v35, vcc
	v_lshlrev_b32_e32 v37, 1, v36
	s_mov_b64 s[26:27], -1
	v_cmp_ne_u32_e32 vcc, 0, v0
	s_cbranch_vccz .LBB8_2355
; %bb.2335:                             ;   in Loop: Header=BB8_2267 Depth=2
	s_mov_b64 s[36:37], -1
	s_mov_b32 s52, 0
	s_cbranch_execnz .LBB8_2356
.LBB8_2336:                             ;   in Loop: Header=BB8_2267 Depth=2
	v_ashrrev_i32_e32 v0, 31, v37
	v_lshrrev_b32_e32 v0, 21, v0
	v_add_u32_e32 v0, v37, v0
	v_ashrrev_i32_e32 v3, 11, v0
	v_accvgpr_read_b32 v0, a36
	v_sub_u32_e32 v29, v3, v0
	v_accvgpr_read_b32 v0, a40
	s_waitcnt lgkmcnt(0)
	v_add_co_u32_e32 v0, vcc, v26, v0
	v_accvgpr_read_b32 v1, a41
	v_addc_co_u32_e32 v1, vcc, v27, v1, vcc
	v_cmp_lt_i32_e32 vcc, 0, v29
	s_mov_b64 s[52:53], 0
                                        ; implicit-def: $vgpr8_vgpr9
                                        ; implicit-def: $vgpr12_vgpr13
	s_and_saveexec_b64 s[26:27], vcc
	s_cbranch_execz .LBB8_2358
; %bb.2337:                             ;   in Loop: Header=BB8_2267 Depth=2
	s_trap 2
	ds_read_b64 v[8:9], v0
	v_accvgpr_read_b32 v10, a40
	v_accvgpr_read_b32 v5, a41
	s_mov_b64 s[56:57], 0
                                        ; implicit-def: $sgpr54_sgpr55
                                        ; implicit-def: $vgpr12_vgpr13
	s_waitcnt lgkmcnt(0)
	v_add_co_u32_e32 v30, vcc, v8, v10
	v_addc_co_u32_e32 v31, vcc, v9, v5, vcc
                                        ; implicit-def: $vgpr8_vgpr9
	s_branch .LBB8_2339
.LBB8_2338:                             ;   in Loop: Header=BB8_2339 Depth=3
	s_or_b64 exec, exec, s[58:59]
	s_waitcnt vmcnt(0)
	global_store_dwordx4 v[0:1], v[16:19], off glc slc
	global_store_dwordx4 v[0:1], v[20:23], off offset:1024 glc slc
	v_add_co_u32_e32 v0, vcc, v0, v32
	v_addc_co_u32_e32 v1, vcc, v1, v33, vcc
	v_add_co_u32_e32 v0, vcc, 0x800, v0
	v_addc_co_u32_e32 v1, vcc, 0, v1, vcc
	;; [unrolled: 2-line block ×3, first 2 shown]
	v_sub_u32_e32 v29, v5, v29
	v_cmp_gt_i32_e32 vcc, 1, v29
	s_or_b64 s[52:53], vcc, s[52:53]
	s_andn2_b64 vcc, s[54:55], exec
	s_and_b64 s[54:55], s[56:57], exec
	s_or_b64 s[54:55], vcc, s[54:55]
	s_andn2_b64 exec, exec, s[52:53]
	s_cbranch_execz .LBB8_2357
.LBB8_2339:                             ;   Parent Loop BB8_47 Depth=1
                                        ;     Parent Loop BB8_2267 Depth=2
                                        ; =>    This Inner Loop Header: Depth=3
	global_load_dwordx4 v[16:19], v[30:31], off glc slc
	global_load_dwordx4 v[20:23], v[30:31], off offset:1024 glc slc
	s_and_saveexec_b64 s[58:59], s[56:57]
	s_cbranch_execz .LBB8_2341
; %bb.2340:                             ;   in Loop: Header=BB8_2339 Depth=3
	v_add_co_u32_e32 v32, vcc, v0, v7
	v_addc_co_u32_e32 v33, vcc, v1, v4, vcc
	global_store_dwordx4 v[0:1], v[8:11], off glc slc
	global_store_dwordx4 v[0:1], v[12:15], off offset:1024 glc slc
	v_pk_mov_b32 v[0:1], v[32:33], v[32:33] op_sel:[0,1]
.LBB8_2341:                             ;   in Loop: Header=BB8_2339 Depth=3
	s_or_b64 exec, exec, s[58:59]
	v_accvgpr_read_b32 v28, a20
	v_add_co_u32_e32 v30, vcc, v30, v7
	v_sub_u32_e32 v5, v29, v28
	v_addc_co_u32_e32 v31, vcc, v31, v4, vcc
	v_cmp_lt_i32_e64 s[56:57], 0, v5
	v_mov_b32_e32 v29, 0
	v_pk_mov_b32 v[32:33], 0, 0
	s_and_saveexec_b64 s[58:59], s[56:57]
	s_cbranch_execz .LBB8_2338
; %bb.2342:                             ;   in Loop: Header=BB8_2339 Depth=3
	global_load_dwordx4 v[8:11], v[30:31], off glc slc
	global_load_dwordx4 v[12:15], v[30:31], off offset:1024 glc slc
	v_add_co_u32_e32 v30, vcc, 0x800, v30
	v_accvgpr_read_b32 v33, a25
	v_addc_co_u32_e32 v31, vcc, 0, v31, vcc
	v_accvgpr_read_b32 v29, a20
	v_accvgpr_read_b32 v32, a24
	s_branch .LBB8_2338
.LBB8_2343:                             ;   in Loop: Header=BB8_2267 Depth=2
	s_and_saveexec_b64 s[26:27], s[10:11]
	s_cbranch_execz .LBB8_2408
.LBB8_2344:                             ;   in Loop: Header=BB8_2267 Depth=2
	s_and_saveexec_b64 vcc, s[44:45]
	s_xor_b64 s[36:37], exec, vcc
	s_cbranch_execz .LBB8_2374
; %bb.2345:                             ;   in Loop: Header=BB8_2267 Depth=2
	s_and_saveexec_b64 s[52:53], s[16:17]
	s_cbranch_execz .LBB8_2373
; %bb.2346:                             ;   in Loop: Header=BB8_2267 Depth=2
	s_mov_b64 s[56:57], exec
	v_mbcnt_lo_u32_b32 v0, s56, 0
	v_mbcnt_hi_u32_b32 v0, s57, v0
	v_cmp_eq_u32_e32 vcc, 0, v0
	s_waitcnt vmcnt(0) lgkmcnt(0)
	buffer_wbinvl1_vol
	s_and_saveexec_b64 s[54:55], vcc
	s_cbranch_execz .LBB8_2348
; %bb.2347:                             ;   in Loop: Header=BB8_2267 Depth=2
	s_bcnt1_i32_b64 vcc_lo, s[56:57]
	v_mov_b32_e32 v0, vcc_lo
	v_mov_b32_e32 v1, v42
	ds_add_u64 v0, v[0:1]
	s_trap 2
.LBB8_2348:                             ;   in Loop: Header=BB8_2267 Depth=2
	s_or_b64 exec, exec, s[54:55]
	s_trap 2
	ds_read_b64 v[0:1], v0
	v_accvgpr_read_b32 v8, a12
	v_accvgpr_read_b32 v10, a20
	;; [unrolled: 1-line block ×3, first 2 shown]
	v_add_co_u32_e32 v8, vcc, v8, v10
	v_addc_co_u32_e32 v9, vcc, 0, v9, vcc
	v_accvgpr_write_b32 a13, v9
	v_accvgpr_write_b32 a12, v8
	s_waitcnt lgkmcnt(0)
	v_cmp_lt_u64_e32 vcc, v[0:1], v[8:9]
	s_and_saveexec_b64 s[54:55], vcc
	s_cbranch_execz .LBB8_2372
; %bb.2349:                             ;   in Loop: Header=BB8_2267 Depth=2
	s_mov_b32 s67, 0
	s_mov_b64 s[56:57], 0
                                        ; implicit-def: $sgpr58_sgpr59
                                        ; implicit-def: $sgpr60_sgpr61
	s_branch .LBB8_2351
.LBB8_2350:                             ;   in Loop: Header=BB8_2351 Depth=3
	s_or_b64 exec, exec, s[64:65]
	s_and_b64 vcc, exec, vcc
	s_or_b64 s[56:57], vcc, s[56:57]
	s_andn2_b64 vcc, s[58:59], exec
	s_and_b64 s[58:59], s[60:61], exec
	s_or_b64 s[58:59], vcc, s[58:59]
	s_andn2_b64 exec, exec, s[56:57]
	s_cbranch_execz .LBB8_2370
.LBB8_2351:                             ;   Parent Loop BB8_47 Depth=1
                                        ;     Parent Loop BB8_2267 Depth=2
                                        ; =>    This Inner Loop Header: Depth=3
	s_add_i32 s67, s67, 1
	s_cmpk_lg_i32 s67, 0x2710
	s_cselect_b64 s[62:63], -1, 0
	s_and_b64 vcc, exec, s[62:63]
                                        ; implicit-def: $sgpr64_sgpr65
	s_cbranch_vccnz .LBB8_2353
; %bb.2352:                             ;   in Loop: Header=BB8_2351 Depth=3
	s_trap 2
	ds_read_b64 v[0:1], v0
	s_andn2_b64 s[62:63], s[62:63], exec
	s_mov_b32 s67, 0
	s_mov_b64 s[64:65], -1
	s_waitcnt lgkmcnt(0)
	flat_load_dword v0, v[0:1] glc
	s_waitcnt vmcnt(0) lgkmcnt(0)
	buffer_invl2
	buffer_wbinvl1_vol
	v_cmp_eq_u32_e32 vcc, 0, v0
	s_and_b64 vcc, vcc, exec
	s_or_b64 s[62:63], s[62:63], vcc
.LBB8_2353:                             ;   in Loop: Header=BB8_2351 Depth=3
	s_andn2_b64 s[60:61], s[60:61], exec
	s_and_b64 s[64:65], s[64:65], exec
	s_mov_b64 vcc, -1
	s_or_b64 s[60:61], s[60:61], s[64:65]
	s_and_saveexec_b64 s[64:65], s[62:63]
	s_cbranch_execz .LBB8_2350
; %bb.2354:                             ;   in Loop: Header=BB8_2351 Depth=3
	s_sleep 1
	s_trap 2
	ds_read_b64 v[0:1], v0
	v_accvgpr_read_b32 v8, a12
	v_accvgpr_read_b32 v9, a13
	s_andn2_b64 s[60:61], s[60:61], exec
	s_waitcnt lgkmcnt(0)
	v_cmp_ge_u64_e32 vcc, v[0:1], v[8:9]
	s_orn2_b64 vcc, vcc, exec
	s_branch .LBB8_2350
.LBB8_2355:                             ;   in Loop: Header=BB8_2267 Depth=2
	s_mov_b64 s[36:37], 0
                                        ; implicit-def: $sgpr52
	s_andn2_b64 vcc, exec, s[26:27]
	s_cbranch_vccz .LBB8_2336
.LBB8_2356:                             ;   in Loop: Header=BB8_2267 Depth=2
	v_mov_b32_e32 v5, s52
	v_accvgpr_read_b32 v12, a37
	v_accvgpr_read_b32 v0, a36
	s_and_saveexec_b64 s[26:27], s[36:37]
	s_cbranch_execnz .LBB8_2385
	s_branch .LBB8_2407
.LBB8_2357:                             ;   in Loop: Header=BB8_2267 Depth=2
	s_or_b64 exec, exec, s[52:53]
	s_and_b64 s[52:53], s[54:55], exec
.LBB8_2358:                             ;   in Loop: Header=BB8_2267 Depth=2
	s_or_b64 exec, exec, s[26:27]
	s_and_saveexec_b64 s[26:27], s[52:53]
	s_cbranch_execz .LBB8_2360
; %bb.2359:                             ;   in Loop: Header=BB8_2267 Depth=2
	global_store_dwordx4 v[0:1], v[8:11], off glc slc
	global_store_dwordx4 v[0:1], v[12:15], off offset:1024 glc slc
.LBB8_2360:                             ;   in Loop: Header=BB8_2267 Depth=2
	s_or_b64 exec, exec, s[26:27]
	v_lshlrev_b32_e32 v18, 11, v3
	v_cmp_ne_u32_e32 vcc, v37, v18
                                        ; implicit-def: $vgpr5
                                        ; implicit-def: $vgpr12
                                        ; implicit-def: $vgpr0
	s_and_saveexec_b64 s[52:53], vcc
	s_cbranch_execz .LBB8_2384
; %bb.2361:                             ;   in Loop: Header=BB8_2267 Depth=2
	v_lshlrev_b32_e32 v1, 6, v29
	v_accvgpr_read_b32 v3, a37
	v_sub_u32_e32 v1, v3, v1
	v_ashrrev_i32_e32 v3, 31, v1
	v_lshrrev_b32_e32 v3, 26, v3
	v_add_u32_e32 v3, v1, v3
	v_ashrrev_i32_e32 v8, 6, v3
	v_and_b32_e32 v3, 0xffffffc0, v3
	v_sub_u32_e32 v19, v1, v3
	v_lshlrev_b32_e32 v1, 4, v19
	v_sub_u32_e32 v0, v37, v18
	v_lshl_add_u32 v1, v8, 10, v1
	v_add_u32_e32 v10, v1, v18
	v_sub_u32_e32 v5, v0, v1
	v_ashrrev_i32_e32 v1, 31, v0
	v_lshrrev_b32_e32 v1, 22, v1
	v_add_u32_e32 v1, v0, v1
	v_and_b32_e32 v20, 0xfffffc00, v1
	v_sub_u32_e32 v22, v0, v20
	v_ashrrev_i32_e32 v3, 10, v1
	v_cmp_lt_i32_e64 s[26:27], 15, v22
	v_addc_co_u32_e64 v0, vcc, 0, v3, s[26:27]
	v_sub_u32_e32 v21, v0, v8
	v_ashrrev_i32_e32 v3, 31, v10
	v_add_co_u32_e32 v0, vcc, v10, v26
	v_addc_co_u32_e32 v1, vcc, v3, v27, vcc
	v_cmp_lt_i32_e32 vcc, 15, v5
	s_mov_b64 s[56:57], 0
                                        ; implicit-def: $vgpr8_vgpr9
	s_and_saveexec_b64 s[54:55], vcc
	s_cbranch_execz .LBB8_2379
; %bb.2362:                             ;   in Loop: Header=BB8_2267 Depth=2
	s_trap 2
	ds_read_b64 v[8:9], v0
	s_mov_b64 s[60:61], 0
                                        ; implicit-def: $sgpr58_sgpr59
	s_waitcnt lgkmcnt(0)
	v_add_co_u32_e32 v16, vcc, v8, v10
	v_addc_co_u32_e32 v17, vcc, v9, v3, vcc
                                        ; implicit-def: $vgpr8_vgpr9
	s_branch .LBB8_2364
.LBB8_2363:                             ;   in Loop: Header=BB8_2364 Depth=3
	s_or_b64 exec, exec, s[62:63]
	v_cmp_gt_i32_e32 vcc, 16, v5
	s_or_b64 s[56:57], vcc, s[56:57]
	s_andn2_b64 vcc, s[58:59], exec
	s_and_b64 s[58:59], s[60:61], exec
	s_or_b64 s[58:59], vcc, s[58:59]
	s_andn2_b64 exec, exec, s[56:57]
	s_cbranch_execz .LBB8_2378
.LBB8_2364:                             ;   Parent Loop BB8_47 Depth=1
                                        ;     Parent Loop BB8_2267 Depth=2
                                        ; =>    This Inner Loop Header: Depth=3
	global_load_dwordx4 v[12:15], v[16:17], off glc slc
	s_and_saveexec_b64 s[62:63], s[60:61]
	s_cbranch_execz .LBB8_2366
; %bb.2365:                             ;   in Loop: Header=BB8_2364 Depth=3
	v_accvgpr_read_b32 v3, a38
	v_add_co_u32_e32 v28, vcc, v0, v3
	v_accvgpr_read_b32 v3, a39
	v_addc_co_u32_e32 v29, vcc, v1, v3, vcc
	global_store_dwordx4 v[0:1], v[8:11], off glc slc
	v_pk_mov_b32 v[0:1], v[28:29], v[28:29] op_sel:[0,1]
.LBB8_2366:                             ;   in Loop: Header=BB8_2364 Depth=3
	s_or_b64 exec, exec, s[62:63]
	v_accvgpr_read_b32 v3, a38
	v_add_co_u32_e32 v16, vcc, v16, v3
	v_accvgpr_read_b32 v3, a39
	v_addc_co_u32_e32 v17, vcc, v17, v3, vcc
	v_accvgpr_read_b32 v3, a21
	v_sub_u32_e32 v5, v5, v3
	v_cmp_lt_i32_e64 s[60:61], 15, v5
	s_and_saveexec_b64 s[62:63], s[60:61]
	s_cbranch_execz .LBB8_2368
; %bb.2367:                             ;   in Loop: Header=BB8_2364 Depth=3
	global_load_dwordx4 v[8:11], v[16:17], off glc slc
	v_add_co_u32_e32 v16, vcc, 0x400, v16
	v_addc_co_u32_e32 v17, vcc, 0, v17, vcc
.LBB8_2368:                             ;   in Loop: Header=BB8_2364 Depth=3
	s_or_b64 exec, exec, s[62:63]
	v_accvgpr_read_b32 v28, a20
	s_waitcnt vmcnt(0)
	global_store_dwordx4 v[0:1], v[12:15], off glc slc
	v_add_co_u32_e32 v0, vcc, 0x400, v0
	v_sub_u32_e32 v21, v21, v28
	v_addc_co_u32_e32 v1, vcc, 0, v1, vcc
	s_and_saveexec_b64 s[62:63], s[60:61]
	s_cbranch_execz .LBB8_2363
; %bb.2369:                             ;   in Loop: Header=BB8_2364 Depth=3
	v_accvgpr_read_b32 v12, a32
	v_accvgpr_read_b32 v13, a33
	v_add_co_u32_e32 v0, vcc, v0, v12
	v_addc_co_u32_e32 v1, vcc, v1, v13, vcc
	v_add_co_u32_e32 v16, vcc, v16, v12
	v_accvgpr_read_b32 v3, a21
	v_accvgpr_read_b32 v12, a20
	v_addc_co_u32_e32 v17, vcc, v17, v13, vcc
	v_sub_u32_e32 v5, v5, v3
	v_sub_u32_e32 v21, v21, v12
	s_branch .LBB8_2363
.LBB8_2370:                             ;   in Loop: Header=BB8_2267 Depth=2
	s_or_b64 exec, exec, s[56:57]
	s_and_saveexec_b64 vcc, s[58:59]
	s_xor_b64 vcc, exec, vcc
	s_cbranch_execz .LBB8_2372
; %bb.2371:                             ;   in Loop: Header=BB8_2267 Depth=2
	v_mov_b32_e32 v0, 1
	ds_write_b32 v0, v0
	s_trap 2
.LBB8_2372:                             ;   in Loop: Header=BB8_2267 Depth=2
	s_or_b64 exec, exec, s[54:55]
	;;#ASMSTART
	s_wakeup
	;;#ASMEND
.LBB8_2373:                             ;   in Loop: Header=BB8_2267 Depth=2
	s_or_b64 exec, exec, s[52:53]
.LBB8_2374:                             ;   in Loop: Header=BB8_2267 Depth=2
	s_andn2_saveexec_b64 vcc, s[36:37]
	s_cbranch_execz .LBB8_2376
; %bb.2375:                             ;   in Loop: Header=BB8_2267 Depth=2
	s_waitcnt vmcnt(0) lgkmcnt(0)
	buffer_wbinvl1_vol
	s_barrier
.LBB8_2376:                             ;   in Loop: Header=BB8_2267 Depth=2
	s_or_b64 exec, exec, vcc
	s_or_b64 exec, exec, s[26:27]
	s_and_saveexec_b64 s[26:27], s[24:25]
	s_xor_b64 s[36:37], exec, s[26:27]
	s_cbranch_execnz .LBB8_2409
.LBB8_2377:                             ;   in Loop: Header=BB8_2267 Depth=2
	s_andn2_saveexec_b64 s[26:27], s[36:37]
	s_cbranch_execnz .LBB8_2412
	s_branch .LBB8_2430
.LBB8_2378:                             ;   in Loop: Header=BB8_2267 Depth=2
	s_or_b64 exec, exec, s[56:57]
	s_and_b64 s[56:57], s[58:59], exec
.LBB8_2379:                             ;   in Loop: Header=BB8_2267 Depth=2
	s_or_b64 exec, exec, s[54:55]
	s_and_saveexec_b64 vcc, s[56:57]
	s_cbranch_execz .LBB8_2381
; %bb.2380:                             ;   in Loop: Header=BB8_2267 Depth=2
	global_store_dwordx4 v[0:1], v[8:11], off glc slc
.LBB8_2381:                             ;   in Loop: Header=BB8_2267 Depth=2
	s_or_b64 exec, exec, vcc
	v_and_b32_e32 v1, 14, v37
	v_cndmask_b32_e64 v37, v22, v1, s[26:27]
	v_cmp_ne_u32_e32 vcc, 0, v37
	s_mov_b64 s[54:55], s[36:37]
                                        ; implicit-def: $vgpr5
                                        ; implicit-def: $vgpr12
                                        ; implicit-def: $vgpr0
	s_and_saveexec_b64 s[56:57], vcc
	s_cbranch_execz .LBB8_2383
; %bb.2382:                             ;   in Loop: Header=BB8_2267 Depth=2
	v_sub_u32_e32 v0, v22, v1
	v_cndmask_b32_e64 v0, 0, v0, s[26:27]
	v_add3_u32 v5, v20, v18, v0
	v_cmp_lt_i32_e32 vcc, 0, v21
	v_accvgpr_read_b32 v0, a20
	v_cndmask_b32_e32 v0, 0, v0, vcc
	v_sub_u32_e32 v0, v0, v21
	v_lshl_add_u32 v1, v0, 6, v19
	v_ashrrev_i32_e32 v0, 31, v1
	v_lshrrev_b32_e32 v0, 26, v0
	v_add_u32_e32 v3, v1, v0
	v_ashrrev_i32_e32 v0, 6, v3
	v_and_b32_e32 v3, 0xffffffc0, v3
	v_sub_u32_e32 v12, v1, v3
	s_or_b64 s[54:55], s[36:37], exec
.LBB8_2383:                             ;   in Loop: Header=BB8_2267 Depth=2
	s_or_b64 exec, exec, s[56:57]
	s_andn2_b64 s[26:27], s[36:37], exec
	s_and_b64 vcc, s[54:55], exec
	s_or_b64 s[36:37], s[26:27], vcc
.LBB8_2384:                             ;   in Loop: Header=BB8_2267 Depth=2
	s_or_b64 exec, exec, s[52:53]
	s_and_saveexec_b64 s[26:27], s[36:37]
	s_cbranch_execz .LBB8_2407
.LBB8_2385:                             ;   in Loop: Header=BB8_2267 Depth=2
	v_lshlrev_b32_e32 v1, 10, v0
	v_lshlrev_b32_e32 v3, 1, v12
	v_add3_u32 v8, v5, v3, v1
	v_ashrrev_i32_e32 v1, 31, v37
	v_lshrrev_b32_e32 v1, 22, v1
	v_add_u32_e32 v1, v37, v1
	v_ashrrev_i32_e32 v13, 10, v1
	v_sub_u32_e32 v10, v13, v0
	v_ashrrev_i32_e32 v3, 31, v8
	s_waitcnt lgkmcnt(0)
	v_add_co_u32_e32 v0, vcc, v26, v8
	v_addc_co_u32_e32 v1, vcc, v27, v3, vcc
	v_cmp_lt_i32_e32 vcc, 0, v10
	s_mov_b64 s[52:53], 0
                                        ; implicit-def: $vgpr14
                                        ; implicit-def: $vgpr15
                                        ; implicit-def: $vgpr16
                                        ; implicit-def: $vgpr17
                                        ; implicit-def: $vgpr18
                                        ; implicit-def: $vgpr19
                                        ; implicit-def: $vgpr20
                                        ; implicit-def: $vgpr21
	s_and_saveexec_b64 s[36:37], vcc
	s_cbranch_execz .LBB8_2393
; %bb.2386:                             ;   in Loop: Header=BB8_2267 Depth=2
	s_trap 2
	ds_read_b64 v[14:15], v0
	s_mov_b64 s[56:57], 0
                                        ; implicit-def: $sgpr54_sgpr55
                                        ; implicit-def: $vgpr16
                                        ; implicit-def: $vgpr17
                                        ; implicit-def: $vgpr18
                                        ; implicit-def: $vgpr19
                                        ; implicit-def: $vgpr20
                                        ; implicit-def: $vgpr21
	s_waitcnt lgkmcnt(0)
	v_add_co_u32_e32 v8, vcc, v14, v8
	v_addc_co_u32_e32 v9, vcc, v15, v3, vcc
                                        ; implicit-def: $vgpr14
                                        ; implicit-def: $vgpr15
	s_branch .LBB8_2388
.LBB8_2387:                             ;   in Loop: Header=BB8_2388 Depth=3
	s_or_b64 exec, exec, s[58:59]
	s_waitcnt vmcnt(0) lgkmcnt(0)
	flat_store_short v[0:1], v3 glc slc
	flat_store_short v[0:1], v22 offset:128 glc slc
	flat_store_short v[0:1], v23 offset:256 glc slc
	;; [unrolled: 1-line block ×7, first 2 shown]
	v_add_co_u32_e32 v0, vcc, v0, v10
	v_addc_co_u32_e32 v1, vcc, v1, v11, vcc
	v_add_co_u32_e32 v0, vcc, s79, v0
	v_addc_co_u32_e32 v1, vcc, 0, v1, vcc
	;; [unrolled: 2-line block ×3, first 2 shown]
	v_sub_u32_e32 v10, v38, v39
	v_cmp_gt_i32_e32 vcc, 1, v10
	s_or_b64 s[52:53], vcc, s[52:53]
	s_andn2_b64 vcc, s[54:55], exec
	s_and_b64 s[54:55], s[56:57], exec
	s_or_b64 s[54:55], vcc, s[54:55]
	s_andn2_b64 exec, exec, s[52:53]
	s_cbranch_execz .LBB8_2392
.LBB8_2388:                             ;   Parent Loop BB8_47 Depth=1
                                        ;     Parent Loop BB8_2267 Depth=2
                                        ; =>    This Inner Loop Header: Depth=3
	flat_load_ushort v3, v[8:9] glc slc
	flat_load_ushort v22, v[8:9] offset:128 glc slc
	flat_load_ushort v23, v[8:9] offset:256 glc slc
	;; [unrolled: 1-line block ×7, first 2 shown]
	s_and_saveexec_b64 s[58:59], s[56:57]
	s_cbranch_execz .LBB8_2390
; %bb.2389:                             ;   in Loop: Header=BB8_2388 Depth=3
	v_accvgpr_read_b32 v11, a38
	flat_store_short v[0:1], v14 glc slc
	flat_store_short v[0:1], v15 offset:128 glc slc
	flat_store_short v[0:1], v16 offset:256 glc slc
	;; [unrolled: 1-line block ×7, first 2 shown]
	v_add_co_u32_e32 v0, vcc, v0, v11
	v_accvgpr_read_b32 v11, a39
	v_addc_co_u32_e32 v1, vcc, v1, v11, vcc
.LBB8_2390:                             ;   in Loop: Header=BB8_2388 Depth=3
	s_or_b64 exec, exec, s[58:59]
	v_accvgpr_read_b32 v11, a38
	v_accvgpr_read_b32 v28, a20
	v_add_co_u32_e32 v8, vcc, v8, v11
	v_accvgpr_read_b32 v11, a39
	v_sub_u32_e32 v38, v10, v28
	v_addc_co_u32_e32 v9, vcc, v9, v11, vcc
	v_cmp_lt_i32_e64 s[56:57], 0, v38
	v_mov_b32_e32 v39, 0
	v_pk_mov_b32 v[10:11], 0, 0
	s_and_saveexec_b64 s[58:59], s[56:57]
	s_cbranch_execz .LBB8_2387
; %bb.2391:                             ;   in Loop: Header=BB8_2388 Depth=3
	flat_load_ushort v14, v[8:9] glc slc
	flat_load_ushort v15, v[8:9] offset:128 glc slc
	flat_load_ushort v16, v[8:9] offset:256 glc slc
	;; [unrolled: 1-line block ×7, first 2 shown]
	v_add_co_u32_e32 v8, vcc, 0x400, v8
	v_accvgpr_read_b32 v10, a32
	v_addc_co_u32_e32 v9, vcc, 0, v9, vcc
	v_accvgpr_read_b32 v39, a20
	v_accvgpr_read_b32 v11, a33
	s_branch .LBB8_2387
.LBB8_2392:                             ;   in Loop: Header=BB8_2267 Depth=2
	s_or_b64 exec, exec, s[52:53]
	s_and_b64 s[52:53], s[54:55], exec
.LBB8_2393:                             ;   in Loop: Header=BB8_2267 Depth=2
	s_or_b64 exec, exec, s[36:37]
	s_and_saveexec_b64 vcc, s[52:53]
	s_cbranch_execz .LBB8_2395
; %bb.2394:                             ;   in Loop: Header=BB8_2267 Depth=2
	flat_store_short v[0:1], v14 glc slc
	flat_store_short v[0:1], v15 offset:128 glc slc
	flat_store_short v[0:1], v16 offset:256 glc slc
	;; [unrolled: 1-line block ×7, first 2 shown]
.LBB8_2395:                             ;   in Loop: Header=BB8_2267 Depth=2
	s_or_b64 exec, exec, vcc
	v_lshlrev_b32_e32 v0, 10, v13
	v_cmp_ne_u32_e32 vcc, v37, v0
	s_and_saveexec_b64 s[36:37], vcc
	s_cbranch_execz .LBB8_2406
; %bb.2396:                             ;   in Loop: Header=BB8_2267 Depth=2
	v_lshlrev_b32_e32 v1, 6, v10
	v_sub_u32_e32 v1, v12, v1
	v_ashrrev_i32_e32 v3, 31, v1
	v_lshrrev_b32_e32 v3, 26, v3
	v_add_u32_e32 v3, v1, v3
	v_and_b32_e32 v8, 0x7fffffc0, v3
	v_sub_u32_e32 v1, v1, v8
	v_lshlrev_b32_e32 v3, 1, v3
	v_and_b32_e32 v3, 0xffffff80, v3
	v_lshlrev_b32_e32 v1, 1, v1
	v_add3_u32 v0, v3, v1, v0
	v_add_u32_e32 v8, v0, v5
	v_sub_u32_e32 v10, v37, v0
	v_ashrrev_i32_e32 v3, 31, v8
	v_add_co_u32_e32 v0, vcc, v26, v8
	v_addc_co_u32_e32 v1, vcc, v27, v3, vcc
	v_cmp_lt_i32_e32 vcc, 1, v10
	s_mov_b64 s[54:55], 0
                                        ; implicit-def: $vgpr5
	s_and_saveexec_b64 s[52:53], vcc
	s_cbranch_execz .LBB8_2404
; %bb.2397:                             ;   in Loop: Header=BB8_2267 Depth=2
	s_trap 2
	ds_read_b64 v[12:13], v0
	s_mov_b64 s[58:59], 0
                                        ; implicit-def: $sgpr56_sgpr57
                                        ; implicit-def: $vgpr5
	s_waitcnt lgkmcnt(0)
	v_add_co_u32_e32 v8, vcc, v12, v8
	v_addc_co_u32_e32 v9, vcc, v13, v3, vcc
	s_branch .LBB8_2399
.LBB8_2398:                             ;   in Loop: Header=BB8_2399 Depth=3
	s_or_b64 exec, exec, s[60:61]
	s_waitcnt vmcnt(0) lgkmcnt(0)
	flat_store_short v[0:1], v3 glc slc
	v_add_co_u32_e32 v0, vcc, v0, v10
	v_addc_co_u32_e32 v1, vcc, v1, v11, vcc
	v_add_co_u32_e32 v8, vcc, v8, v10
	v_addc_co_u32_e32 v9, vcc, v9, v11, vcc
	;; [unrolled: 2-line block ×3, first 2 shown]
	v_sub_u32_e32 v10, v12, v13
	v_cmp_gt_i32_e32 vcc, 2, v10
	s_or_b64 s[54:55], vcc, s[54:55]
	s_andn2_b64 vcc, s[56:57], exec
	s_and_b64 s[56:57], s[58:59], exec
	s_or_b64 s[56:57], vcc, s[56:57]
	s_andn2_b64 exec, exec, s[54:55]
	s_cbranch_execz .LBB8_2403
.LBB8_2399:                             ;   Parent Loop BB8_47 Depth=1
                                        ;     Parent Loop BB8_2267 Depth=2
                                        ; =>    This Inner Loop Header: Depth=3
	flat_load_ushort v3, v[8:9] glc slc
	s_and_saveexec_b64 s[60:61], s[58:59]
	s_cbranch_execz .LBB8_2401
; %bb.2400:                             ;   in Loop: Header=BB8_2399 Depth=3
	v_accvgpr_read_b32 v11, a42
	v_add_co_u32_e32 v12, vcc, v0, v11
	v_accvgpr_read_b32 v11, a43
	v_addc_co_u32_e32 v13, vcc, v1, v11, vcc
	flat_store_short v[0:1], v5 glc slc
	v_pk_mov_b32 v[0:1], v[12:13], v[12:13] op_sel:[0,1]
.LBB8_2401:                             ;   in Loop: Header=BB8_2399 Depth=3
	s_or_b64 exec, exec, s[60:61]
	v_accvgpr_read_b32 v11, a42
	v_add_co_u32_e32 v8, vcc, v8, v11
	v_accvgpr_read_b32 v11, a43
	v_addc_co_u32_e32 v9, vcc, v9, v11, vcc
	v_accvgpr_read_b32 v11, a31
	v_sub_u32_e32 v12, v10, v11
	v_cmp_lt_i32_e64 s[58:59], 1, v12
	v_mov_b32_e32 v13, 0
	v_pk_mov_b32 v[10:11], 0, 0
	s_and_saveexec_b64 s[60:61], s[58:59]
	s_cbranch_execz .LBB8_2398
; %bb.2402:                             ;   in Loop: Header=BB8_2399 Depth=3
	flat_load_ushort v5, v[8:9] glc slc
	v_add_co_u32_e32 v8, vcc, 0x80, v8
	v_accvgpr_read_b32 v10, a34
	v_addc_co_u32_e32 v9, vcc, 0, v9, vcc
	v_accvgpr_read_b32 v13, a31
	v_accvgpr_read_b32 v11, a35
	s_branch .LBB8_2398
.LBB8_2403:                             ;   in Loop: Header=BB8_2267 Depth=2
	s_or_b64 exec, exec, s[54:55]
	s_and_b64 s[54:55], s[56:57], exec
.LBB8_2404:                             ;   in Loop: Header=BB8_2267 Depth=2
	s_or_b64 exec, exec, s[52:53]
	s_and_b64 exec, exec, s[54:55]
	s_cbranch_execz .LBB8_2406
; %bb.2405:                             ;   in Loop: Header=BB8_2267 Depth=2
	flat_store_short v[0:1], v5 glc slc
.LBB8_2406:                             ;   in Loop: Header=BB8_2267 Depth=2
	s_or_b64 exec, exec, s[36:37]
.LBB8_2407:                             ;   in Loop: Header=BB8_2267 Depth=2
	s_or_b64 exec, exec, s[26:27]
	s_and_saveexec_b64 s[26:27], s[10:11]
	s_cbranch_execnz .LBB8_2344
.LBB8_2408:                             ;   in Loop: Header=BB8_2267 Depth=2
	s_or_b64 exec, exec, s[26:27]
	s_and_saveexec_b64 s[26:27], s[24:25]
	s_xor_b64 s[36:37], exec, s[26:27]
	s_cbranch_execz .LBB8_2377
.LBB8_2409:                             ;   in Loop: Header=BB8_2267 Depth=2
	v_and_b32_e32 v0, 16, v62
	v_cmp_lt_i32_e32 vcc, 0, v36
	v_cmp_ne_u32_e64 s[26:27], 0, v0
	s_and_b64 vcc, s[26:27], vcc
	s_and_saveexec_b64 s[26:27], vcc
	s_cbranch_execz .LBB8_2411
; %bb.2410:                             ;   in Loop: Header=BB8_2267 Depth=2
	s_waitcnt vmcnt(0) lgkmcnt(0)
	buffer_wbinvl1_vol
.LBB8_2411:                             ;   in Loop: Header=BB8_2267 Depth=2
	s_or_b64 exec, exec, s[26:27]
	s_andn2_saveexec_b64 s[26:27], s[36:37]
	s_cbranch_execz .LBB8_2430
.LBB8_2412:                             ;   in Loop: Header=BB8_2267 Depth=2
	s_and_saveexec_b64 vcc, s[44:45]
	s_xor_b64 s[36:37], exec, vcc
	s_cbranch_execz .LBB8_2427
; %bb.2413:                             ;   in Loop: Header=BB8_2267 Depth=2
	s_and_saveexec_b64 s[52:53], s[16:17]
	s_cbranch_execz .LBB8_2426
; %bb.2414:                             ;   in Loop: Header=BB8_2267 Depth=2
	s_mov_b64 s[56:57], exec
	v_mbcnt_lo_u32_b32 v0, s56, 0
	v_mbcnt_hi_u32_b32 v0, s57, v0
	v_cmp_eq_u32_e32 vcc, 0, v0
	;;#ASMSTART
	s_waitcnt lgkmcnt(0) vmcnt(0)
	;;#ASMEND
	s_and_saveexec_b64 s[54:55], vcc
	s_cbranch_execz .LBB8_2416
; %bb.2415:                             ;   in Loop: Header=BB8_2267 Depth=2
	s_bcnt1_i32_b64 vcc_lo, s[56:57]
	v_mov_b32_e32 v0, vcc_lo
	v_mov_b32_e32 v1, v42
	ds_add_u64 v0, v[0:1]
	s_trap 2
.LBB8_2416:                             ;   in Loop: Header=BB8_2267 Depth=2
	s_or_b64 exec, exec, s[54:55]
	s_trap 2
	ds_read_b64 v[0:1], v0
	v_accvgpr_read_b32 v8, a12
	v_accvgpr_read_b32 v10, a20
	;; [unrolled: 1-line block ×3, first 2 shown]
	v_add_co_u32_e32 v8, vcc, v8, v10
	v_addc_co_u32_e32 v9, vcc, 0, v9, vcc
	v_accvgpr_write_b32 a13, v9
	v_accvgpr_write_b32 a12, v8
	s_waitcnt lgkmcnt(0)
	v_cmp_lt_u64_e32 vcc, v[0:1], v[8:9]
	s_and_saveexec_b64 s[54:55], vcc
	s_cbranch_execz .LBB8_2425
; %bb.2417:                             ;   in Loop: Header=BB8_2267 Depth=2
	s_mov_b32 s67, 0
	s_mov_b64 s[56:57], 0
                                        ; implicit-def: $sgpr58_sgpr59
                                        ; implicit-def: $sgpr60_sgpr61
	s_branch .LBB8_2419
.LBB8_2418:                             ;   in Loop: Header=BB8_2419 Depth=3
	s_or_b64 exec, exec, s[64:65]
	s_and_b64 vcc, exec, vcc
	s_or_b64 s[56:57], vcc, s[56:57]
	s_andn2_b64 vcc, s[58:59], exec
	s_and_b64 s[58:59], s[60:61], exec
	s_or_b64 s[58:59], vcc, s[58:59]
	s_andn2_b64 exec, exec, s[56:57]
	s_cbranch_execz .LBB8_2423
.LBB8_2419:                             ;   Parent Loop BB8_47 Depth=1
                                        ;     Parent Loop BB8_2267 Depth=2
                                        ; =>    This Inner Loop Header: Depth=3
	s_add_i32 s67, s67, 1
	s_cmpk_lg_i32 s67, 0x2710
	s_cselect_b64 s[62:63], -1, 0
	s_and_b64 vcc, exec, s[62:63]
                                        ; implicit-def: $sgpr64_sgpr65
	s_cbranch_vccnz .LBB8_2421
; %bb.2420:                             ;   in Loop: Header=BB8_2419 Depth=3
	s_trap 2
	ds_read_b64 v[0:1], v0
	s_andn2_b64 s[62:63], s[62:63], exec
	s_mov_b32 s67, 0
	s_mov_b64 s[64:65], -1
	s_waitcnt vmcnt(0) lgkmcnt(0)
	flat_load_dword v0, v[0:1] glc
	s_waitcnt vmcnt(0) lgkmcnt(0)
	buffer_invl2
	buffer_wbinvl1_vol
	v_cmp_eq_u32_e32 vcc, 0, v0
	s_and_b64 vcc, vcc, exec
	s_or_b64 s[62:63], s[62:63], vcc
.LBB8_2421:                             ;   in Loop: Header=BB8_2419 Depth=3
	s_andn2_b64 s[60:61], s[60:61], exec
	s_and_b64 s[64:65], s[64:65], exec
	s_mov_b64 vcc, -1
	s_or_b64 s[60:61], s[60:61], s[64:65]
	s_and_saveexec_b64 s[64:65], s[62:63]
	s_cbranch_execz .LBB8_2418
; %bb.2422:                             ;   in Loop: Header=BB8_2419 Depth=3
	s_sleep 1
	s_trap 2
	ds_read_b64 v[0:1], v0
	v_accvgpr_read_b32 v8, a12
	v_accvgpr_read_b32 v9, a13
	s_andn2_b64 s[60:61], s[60:61], exec
	s_waitcnt lgkmcnt(0)
	v_cmp_ge_u64_e32 vcc, v[0:1], v[8:9]
	s_orn2_b64 vcc, vcc, exec
	s_branch .LBB8_2418
.LBB8_2423:                             ;   in Loop: Header=BB8_2267 Depth=2
	s_or_b64 exec, exec, s[56:57]
	s_and_saveexec_b64 vcc, s[58:59]
	s_xor_b64 vcc, exec, vcc
	s_cbranch_execz .LBB8_2425
; %bb.2424:                             ;   in Loop: Header=BB8_2267 Depth=2
	v_mov_b32_e32 v0, 1
	ds_write_b32 v0, v0
	s_trap 2
.LBB8_2425:                             ;   in Loop: Header=BB8_2267 Depth=2
	s_or_b64 exec, exec, s[54:55]
	;;#ASMSTART
	s_wakeup
	;;#ASMEND
.LBB8_2426:                             ;   in Loop: Header=BB8_2267 Depth=2
	s_or_b64 exec, exec, s[52:53]
.LBB8_2427:                             ;   in Loop: Header=BB8_2267 Depth=2
	s_andn2_saveexec_b64 vcc, s[36:37]
	s_cbranch_execz .LBB8_2429
; %bb.2428:                             ;   in Loop: Header=BB8_2267 Depth=2
	;;#ASMSTART
	s_waitcnt lgkmcnt(0) vmcnt(0)
	;;#ASMEND
	s_barrier
.LBB8_2429:                             ;   in Loop: Header=BB8_2267 Depth=2
	s_or_b64 exec, exec, vcc
.LBB8_2430:                             ;   in Loop: Header=BB8_2267 Depth=2
	s_or_b64 exec, exec, s[26:27]
	v_and_b32_e32 v0, 32, v62
	v_cmp_ne_u32_e32 vcc, 0, v0
	s_and_saveexec_b64 s[26:27], vcc
	s_cbranch_execz .LBB8_2266
; %bb.2431:                             ;   in Loop: Header=BB8_2267 Depth=2
	v_add_co_u32_e32 v44, vcc, 2, v44
	v_addc_co_u32_e32 v45, vcc, 0, v45, vcc
	flat_store_dwordx2 v[46:47], v[44:45]
	s_branch .LBB8_2266
.LBB8_2432:                             ;   in Loop: Header=BB8_47 Depth=1
	s_or_b64 exec, exec, s[30:31]
.LBB8_2433:                             ;   in Loop: Header=BB8_47 Depth=1
	s_or_b64 exec, exec, s[28:29]
	v_accvgpr_read_b32 v19, a5
	v_accvgpr_read_b32 v18, a4
	v_cmp_gt_i32_e32 vcc, 2, v3
	s_and_saveexec_b64 s[28:29], vcc
	s_cbranch_execz .LBB8_46
; %bb.2434:                             ;   in Loop: Header=BB8_47 Depth=1
	v_cmp_eq_u32_e64 s[26:27], 0, v3
	s_mov_b64 s[30:31], 0
	s_branch .LBB8_2436
.LBB8_2435:                             ;   in Loop: Header=BB8_2436 Depth=2
	s_or_b64 exec, exec, s[26:27]
	v_add_u32_e32 v2, v35, v2
	s_mov_b64 s[26:27], 0
	s_andn2_b64 exec, exec, s[30:31]
	s_cbranch_execz .LBB8_45
.LBB8_2436:                             ;   Parent Loop BB8_47 Depth=1
                                        ; =>  This Loop Header: Depth=2
                                        ;       Child Loop BB8_2442 Depth 3
                                        ;       Child Loop BB8_2466 Depth 3
	;; [unrolled: 1-line block ×3, first 2 shown]
	v_and_b32_e32 v0, 4, v62
	s_mov_b64 s[36:37], -1
	v_cmp_ne_u32_e32 vcc, 0, v0
	s_and_saveexec_b64 s[34:35], vcc
	s_cbranch_execz .LBB8_2448
; %bb.2437:                             ;   in Loop: Header=BB8_2436 Depth=2
	v_add_co_u32_e32 v0, vcc, 2, v44
	v_addc_co_u32_e32 v1, vcc, 0, v45, vcc
	v_cmp_lt_u64_e32 vcc, v[60:61], v[0:1]
	v_mov_b32_e32 v3, 1
	s_and_saveexec_b64 s[36:37], vcc
	s_cbranch_execz .LBB8_2447
; %bb.2438:                             ;   in Loop: Header=BB8_2436 Depth=2
	s_mov_b64 s[52:53], 0
	v_mov_b32_e32 v3, 0
                                        ; implicit-def: $sgpr54_sgpr55
	s_branch .LBB8_2442
.LBB8_2439:                             ;   in Loop: Header=BB8_2442 Depth=3
	s_or_b64 exec, exec, s[62:63]
	v_mov_b32_e32 v5, 0
	s_orn2_b64 s[60:61], s[60:61], exec
.LBB8_2440:                             ;   in Loop: Header=BB8_2442 Depth=3
	s_or_b64 exec, exec, s[58:59]
	s_andn2_b64 vcc, s[54:55], exec
	s_and_b64 s[54:55], s[60:61], exec
	s_or_b64 s[54:55], vcc, s[54:55]
	v_mov_b32_e32 v3, v5
.LBB8_2441:                             ;   in Loop: Header=BB8_2442 Depth=3
	s_or_b64 exec, exec, s[56:57]
	s_waitcnt vmcnt(0) lgkmcnt(0)
	v_cmp_ge_u64_e32 vcc, v[60:61], v[0:1]
	s_xor_b64 s[56:57], s[54:55], -1
	s_or_b64 vcc, s[56:57], vcc
	s_and_b64 vcc, exec, vcc
	s_or_b64 s[52:53], vcc, s[52:53]
	s_andn2_b64 exec, exec, s[52:53]
	s_cbranch_execz .LBB8_2446
.LBB8_2442:                             ;   Parent Loop BB8_47 Depth=1
                                        ;     Parent Loop BB8_2436 Depth=2
                                        ; =>    This Inner Loop Header: Depth=3
	s_sleep 1
	flat_load_dwordx2 v[60:61], v[46:47] glc
	v_and_b32_e32 v5, 64, v62
	v_cmp_eq_u32_e32 vcc, 0, v5
	s_andn2_b64 s[54:55], s[54:55], exec
	s_and_saveexec_b64 s[56:57], vcc
	s_cbranch_execz .LBB8_2441
; %bb.2443:                             ;   in Loop: Header=BB8_2442 Depth=3
	v_add_u32_e32 v5, 1, v3
	v_cmp_lt_i32_e32 vcc, s89, v3
	s_mov_b64 s[60:61], -1
	s_and_saveexec_b64 s[58:59], vcc
	s_cbranch_execz .LBB8_2440
; %bb.2444:                             ;   in Loop: Header=BB8_2442 Depth=3
	s_trap 2
	ds_read_b64 v[8:9], v0
	s_waitcnt vmcnt(0) lgkmcnt(0)
	flat_load_dword v3, v[8:9] glc
	s_waitcnt vmcnt(0) lgkmcnt(0)
	buffer_invl2
	buffer_wbinvl1_vol
	v_cmp_ne_u32_e32 vcc, 0, v3
	s_and_saveexec_b64 s[62:63], vcc
	s_cbranch_execz .LBB8_2439
; %bb.2445:                             ;   in Loop: Header=BB8_2442 Depth=3
	v_or_b32_e32 v62, 64, v62
	s_xor_b64 s[60:61], exec, -1
	ds_write_b32 v0, v3
	s_trap 2
	s_branch .LBB8_2439
.LBB8_2446:                             ;   in Loop: Header=BB8_2436 Depth=2
	s_or_b64 exec, exec, s[52:53]
	v_and_b32_e32 v3, 4, v62
.LBB8_2447:                             ;   in Loop: Header=BB8_2436 Depth=2
	s_or_b64 exec, exec, s[36:37]
	v_cmp_eq_u32_e32 vcc, 0, v3
	s_orn2_b64 s[36:37], vcc, exec
	;;#ASMSTART
	s_wakeup
	;;#ASMEND
.LBB8_2448:                             ;   in Loop: Header=BB8_2436 Depth=2
	s_or_b64 exec, exec, s[34:35]
	s_xor_b64 s[26:27], s[26:27], -1
	s_and_b64 s[26:27], exec, s[26:27]
	s_or_b64 s[30:31], s[26:27], s[30:31]
	s_xor_b64 s[26:27], s[36:37], -1
	s_and_saveexec_b64 s[34:35], s[26:27]
	s_cbranch_execz .LBB8_2458
; %bb.2449:                             ;   in Loop: Header=BB8_2436 Depth=2
	v_and_b32_e32 v0, 0x100, v62
	v_cmp_ne_u32_e32 vcc, 0, v0
	v_and_b32_e32 v3, 7, v44
	s_mov_b64 s[26:27], -1
                                        ; implicit-def: $vgpr0_vgpr1
	s_and_saveexec_b64 s[36:37], vcc
	s_cbranch_execz .LBB8_2453
; %bb.2450:                             ;   in Loop: Header=BB8_2436 Depth=2
	v_accvgpr_read_b32 v0, a10
	v_accvgpr_read_b32 v1, a11
	v_mad_u64_u32 v[8:9], s[26:27], v3, 24, v[0:1]
	flat_load_dword v0, v[8:9]
	s_waitcnt vmcnt(0) lgkmcnt(0)
	v_cmp_ne_u32_e32 vcc, 1, v0
	v_cmp_eq_u32_e64 s[26:27], 1, v0
                                        ; implicit-def: $vgpr0_vgpr1
	s_and_saveexec_b64 s[52:53], s[26:27]
	s_cbranch_execz .LBB8_2452
; %bb.2451:                             ;   in Loop: Header=BB8_2436 Depth=2
	flat_load_dword v0, v[8:9] offset:4 glc
	s_waitcnt vmcnt(0) lgkmcnt(0)
	v_ashrrev_i32_e32 v1, 31, v0
	v_lshrrev_b64 v[0:1], 1, v[0:1]
.LBB8_2452:                             ;   in Loop: Header=BB8_2436 Depth=2
	s_or_b64 exec, exec, s[52:53]
	s_orn2_b64 s[26:27], vcc, exec
.LBB8_2453:                             ;   in Loop: Header=BB8_2436 Depth=2
	s_or_b64 exec, exec, s[36:37]
	s_and_saveexec_b64 vcc, s[26:27]
; %bb.2454:                             ;   in Loop: Header=BB8_2436 Depth=2
	v_accvgpr_read_b32 v0, a14
	v_mad_i64_i32 v[0:1], s[26:27], v3, v0, 0
; %bb.2455:                             ;   in Loop: Header=BB8_2436 Depth=2
	s_or_b64 exec, exec, vcc
	v_lshlrev_b64 v[0:1], 1, v[0:1]
	v_accvgpr_read_b32 v8, a16
	v_accvgpr_read_b32 v9, a17
	v_add_co_u32_e32 v0, vcc, v8, v0
	v_addc_co_u32_e32 v1, vcc, v9, v1, vcc
	ds_write_b64 v0, v[0:1] offset:720
	v_and_b32_e32 v0, 0x2000, v62
	v_cmp_ne_u32_e32 vcc, 0, v0
	s_and_saveexec_b64 s[26:27], vcc
	s_cbranch_execz .LBB8_2457
; %bb.2456:                             ;   in Loop: Header=BB8_2436 Depth=2
	ds_read_b64 v[0:1], v0 offset:584
	s_waitcnt lgkmcnt(0)
	v_add_co_u32_e32 v0, vcc, 1, v0
	v_addc_co_u32_e32 v1, vcc, 0, v1, vcc
	ds_write_b64 v0, v[0:1] offset:584
.LBB8_2457:                             ;   in Loop: Header=BB8_2436 Depth=2
	s_or_b64 exec, exec, s[26:27]
	v_add_co_u32_e32 v44, vcc, 2, v44
	v_addc_co_u32_e32 v45, vcc, 0, v45, vcc
.LBB8_2458:                             ;   in Loop: Header=BB8_2436 Depth=2
	s_or_b64 exec, exec, s[34:35]
	s_and_saveexec_b64 s[26:27], s[10:11]
	s_cbranch_execz .LBB8_2477
; %bb.2459:                             ;   in Loop: Header=BB8_2436 Depth=2
	s_and_saveexec_b64 vcc, s[44:45]
	s_xor_b64 s[34:35], exec, vcc
	s_cbranch_execz .LBB8_2474
; %bb.2460:                             ;   in Loop: Header=BB8_2436 Depth=2
	s_and_saveexec_b64 s[36:37], s[16:17]
	s_cbranch_execz .LBB8_2473
; %bb.2461:                             ;   in Loop: Header=BB8_2436 Depth=2
	s_mov_b64 s[54:55], exec
	v_mbcnt_lo_u32_b32 v0, s54, 0
	v_mbcnt_hi_u32_b32 v0, s55, v0
	v_cmp_eq_u32_e32 vcc, 0, v0
	s_waitcnt vmcnt(0) lgkmcnt(0)
	buffer_wbinvl1_vol
	s_and_saveexec_b64 s[52:53], vcc
	s_cbranch_execz .LBB8_2463
; %bb.2462:                             ;   in Loop: Header=BB8_2436 Depth=2
	s_bcnt1_i32_b64 vcc_lo, s[54:55]
	v_mov_b32_e32 v0, vcc_lo
	v_mov_b32_e32 v1, v42
	ds_add_u64 v0, v[0:1]
	s_trap 2
.LBB8_2463:                             ;   in Loop: Header=BB8_2436 Depth=2
	s_or_b64 exec, exec, s[52:53]
	s_trap 2
	ds_read_b64 v[0:1], v0
	v_accvgpr_read_b32 v8, a12
	v_accvgpr_read_b32 v10, a20
	;; [unrolled: 1-line block ×3, first 2 shown]
	v_add_co_u32_e32 v8, vcc, v8, v10
	v_addc_co_u32_e32 v9, vcc, 0, v9, vcc
	v_accvgpr_write_b32 a13, v9
	v_accvgpr_write_b32 a12, v8
	s_waitcnt lgkmcnt(0)
	v_cmp_lt_u64_e32 vcc, v[0:1], v[8:9]
	s_and_saveexec_b64 s[52:53], vcc
	s_cbranch_execz .LBB8_2472
; %bb.2464:                             ;   in Loop: Header=BB8_2436 Depth=2
	s_mov_b32 s64, 0
	s_mov_b64 s[54:55], 0
                                        ; implicit-def: $sgpr56_sgpr57
                                        ; implicit-def: $sgpr58_sgpr59
	s_branch .LBB8_2466
.LBB8_2465:                             ;   in Loop: Header=BB8_2466 Depth=3
	s_or_b64 exec, exec, s[62:63]
	s_and_b64 vcc, exec, vcc
	s_or_b64 s[54:55], vcc, s[54:55]
	s_andn2_b64 vcc, s[56:57], exec
	s_and_b64 s[56:57], s[58:59], exec
	s_or_b64 s[56:57], vcc, s[56:57]
	s_andn2_b64 exec, exec, s[54:55]
	s_cbranch_execz .LBB8_2470
.LBB8_2466:                             ;   Parent Loop BB8_47 Depth=1
                                        ;     Parent Loop BB8_2436 Depth=2
                                        ; =>    This Inner Loop Header: Depth=3
	s_add_i32 s64, s64, 1
	s_cmpk_lg_i32 s64, 0x2710
	s_cselect_b64 s[60:61], -1, 0
	s_and_b64 vcc, exec, s[60:61]
                                        ; implicit-def: $sgpr62_sgpr63
	s_cbranch_vccnz .LBB8_2468
; %bb.2467:                             ;   in Loop: Header=BB8_2466 Depth=3
	s_trap 2
	ds_read_b64 v[0:1], v0
	s_andn2_b64 s[60:61], s[60:61], exec
	s_mov_b32 s64, 0
	s_mov_b64 s[62:63], -1
	s_waitcnt lgkmcnt(0)
	flat_load_dword v0, v[0:1] glc
	s_waitcnt vmcnt(0) lgkmcnt(0)
	buffer_invl2
	buffer_wbinvl1_vol
	v_cmp_eq_u32_e32 vcc, 0, v0
	s_and_b64 vcc, vcc, exec
	s_or_b64 s[60:61], s[60:61], vcc
.LBB8_2468:                             ;   in Loop: Header=BB8_2466 Depth=3
	s_andn2_b64 s[58:59], s[58:59], exec
	s_and_b64 s[62:63], s[62:63], exec
	s_mov_b64 vcc, -1
	s_or_b64 s[58:59], s[58:59], s[62:63]
	s_and_saveexec_b64 s[62:63], s[60:61]
	s_cbranch_execz .LBB8_2465
; %bb.2469:                             ;   in Loop: Header=BB8_2466 Depth=3
	s_sleep 1
	s_trap 2
	ds_read_b64 v[0:1], v0
	v_accvgpr_read_b32 v8, a12
	v_accvgpr_read_b32 v9, a13
	s_andn2_b64 s[58:59], s[58:59], exec
	s_waitcnt lgkmcnt(0)
	v_cmp_ge_u64_e32 vcc, v[0:1], v[8:9]
	s_orn2_b64 vcc, vcc, exec
	s_branch .LBB8_2465
.LBB8_2470:                             ;   in Loop: Header=BB8_2436 Depth=2
	s_or_b64 exec, exec, s[54:55]
	s_and_saveexec_b64 vcc, s[56:57]
	s_xor_b64 vcc, exec, vcc
	s_cbranch_execz .LBB8_2472
; %bb.2471:                             ;   in Loop: Header=BB8_2436 Depth=2
	v_mov_b32_e32 v0, 1
	ds_write_b32 v0, v0
	s_trap 2
.LBB8_2472:                             ;   in Loop: Header=BB8_2436 Depth=2
	s_or_b64 exec, exec, s[52:53]
	;;#ASMSTART
	s_wakeup
	;;#ASMEND
.LBB8_2473:                             ;   in Loop: Header=BB8_2436 Depth=2
	s_or_b64 exec, exec, s[36:37]
.LBB8_2474:                             ;   in Loop: Header=BB8_2436 Depth=2
	s_andn2_saveexec_b64 vcc, s[34:35]
	s_cbranch_execz .LBB8_2476
; %bb.2475:                             ;   in Loop: Header=BB8_2436 Depth=2
	s_waitcnt vmcnt(0) lgkmcnt(0)
	buffer_wbinvl1_vol
	s_barrier
.LBB8_2476:                             ;   in Loop: Header=BB8_2436 Depth=2
	s_or_b64 exec, exec, vcc
.LBB8_2477:                             ;   in Loop: Header=BB8_2436 Depth=2
	s_or_b64 exec, exec, s[26:27]
	v_sub_u32_e32 v0, v34, v2
	v_min_i32_e32 v35, v35, v0
	s_and_saveexec_b64 s[26:27], s[24:25]
	s_xor_b64 s[26:27], exec, s[26:27]
	s_cbranch_execz .LBB8_2481
; %bb.2478:                             ;   in Loop: Header=BB8_2436 Depth=2
	s_trap 2
	ds_read_b32 v0, v0
	v_cmp_lt_i32_e32 vcc, 0, v35
	v_and_b32_e32 v1, 16, v62
	s_waitcnt lgkmcnt(0)
	v_readfirstlane_b32 s34, v0
	s_cmp_eq_u32 s34, 0
	s_cselect_b64 s[34:35], -1, 0
	s_and_b64 s[34:35], vcc, s[34:35]
	v_cmp_ne_u32_e32 vcc, 0, v1
	s_and_b64 s[34:35], vcc, s[34:35]
	s_and_saveexec_b64 vcc, s[34:35]
	s_cbranch_execz .LBB8_2480
; %bb.2479:                             ;   in Loop: Header=BB8_2436 Depth=2
	s_waitcnt vmcnt(0)
	buffer_wbinvl1_vol
.LBB8_2480:                             ;   in Loop: Header=BB8_2436 Depth=2
	s_or_b64 exec, exec, vcc
.LBB8_2481:                             ;   in Loop: Header=BB8_2436 Depth=2
	s_andn2_saveexec_b64 s[26:27], s[26:27]
	s_cbranch_execz .LBB8_2500
; %bb.2482:                             ;   in Loop: Header=BB8_2436 Depth=2
	s_and_saveexec_b64 vcc, s[44:45]
	s_xor_b64 s[34:35], exec, vcc
	s_cbranch_execz .LBB8_2497
; %bb.2483:                             ;   in Loop: Header=BB8_2436 Depth=2
	s_and_saveexec_b64 s[36:37], s[16:17]
	s_cbranch_execz .LBB8_2496
; %bb.2484:                             ;   in Loop: Header=BB8_2436 Depth=2
	s_mov_b64 s[54:55], exec
	v_mbcnt_lo_u32_b32 v0, s54, 0
	v_mbcnt_hi_u32_b32 v0, s55, v0
	v_cmp_eq_u32_e32 vcc, 0, v0
	;;#ASMSTART
	s_waitcnt lgkmcnt(0) vmcnt(0)
	;;#ASMEND
	s_and_saveexec_b64 s[52:53], vcc
	s_cbranch_execz .LBB8_2486
; %bb.2485:                             ;   in Loop: Header=BB8_2436 Depth=2
	s_bcnt1_i32_b64 vcc_lo, s[54:55]
	v_mov_b32_e32 v0, vcc_lo
	v_mov_b32_e32 v1, v42
	ds_add_u64 v0, v[0:1]
	s_trap 2
.LBB8_2486:                             ;   in Loop: Header=BB8_2436 Depth=2
	s_or_b64 exec, exec, s[52:53]
	s_trap 2
	ds_read_b64 v[0:1], v0
	v_accvgpr_read_b32 v8, a12
	v_accvgpr_read_b32 v10, a20
	;; [unrolled: 1-line block ×3, first 2 shown]
	v_add_co_u32_e32 v8, vcc, v8, v10
	v_addc_co_u32_e32 v9, vcc, 0, v9, vcc
	v_accvgpr_write_b32 a13, v9
	v_accvgpr_write_b32 a12, v8
	s_waitcnt lgkmcnt(0)
	v_cmp_lt_u64_e32 vcc, v[0:1], v[8:9]
	s_and_saveexec_b64 s[52:53], vcc
	s_cbranch_execz .LBB8_2495
; %bb.2487:                             ;   in Loop: Header=BB8_2436 Depth=2
	s_mov_b32 s64, 0
	s_mov_b64 s[54:55], 0
                                        ; implicit-def: $sgpr56_sgpr57
                                        ; implicit-def: $sgpr58_sgpr59
	s_branch .LBB8_2489
.LBB8_2488:                             ;   in Loop: Header=BB8_2489 Depth=3
	s_or_b64 exec, exec, s[62:63]
	s_and_b64 vcc, exec, vcc
	s_or_b64 s[54:55], vcc, s[54:55]
	s_andn2_b64 vcc, s[56:57], exec
	s_and_b64 s[56:57], s[58:59], exec
	s_or_b64 s[56:57], vcc, s[56:57]
	s_andn2_b64 exec, exec, s[54:55]
	s_cbranch_execz .LBB8_2493
.LBB8_2489:                             ;   Parent Loop BB8_47 Depth=1
                                        ;     Parent Loop BB8_2436 Depth=2
                                        ; =>    This Inner Loop Header: Depth=3
	s_add_i32 s64, s64, 1
	s_cmpk_lg_i32 s64, 0x2710
	s_cselect_b64 s[60:61], -1, 0
	s_and_b64 vcc, exec, s[60:61]
                                        ; implicit-def: $sgpr62_sgpr63
	s_cbranch_vccnz .LBB8_2491
; %bb.2490:                             ;   in Loop: Header=BB8_2489 Depth=3
	s_trap 2
	ds_read_b64 v[0:1], v0
	s_andn2_b64 s[60:61], s[60:61], exec
	s_mov_b32 s64, 0
	s_mov_b64 s[62:63], -1
	s_waitcnt vmcnt(0) lgkmcnt(0)
	flat_load_dword v0, v[0:1] glc
	s_waitcnt vmcnt(0) lgkmcnt(0)
	buffer_invl2
	buffer_wbinvl1_vol
	v_cmp_eq_u32_e32 vcc, 0, v0
	s_and_b64 vcc, vcc, exec
	s_or_b64 s[60:61], s[60:61], vcc
.LBB8_2491:                             ;   in Loop: Header=BB8_2489 Depth=3
	s_andn2_b64 s[58:59], s[58:59], exec
	s_and_b64 s[62:63], s[62:63], exec
	s_mov_b64 vcc, -1
	s_or_b64 s[58:59], s[58:59], s[62:63]
	s_and_saveexec_b64 s[62:63], s[60:61]
	s_cbranch_execz .LBB8_2488
; %bb.2492:                             ;   in Loop: Header=BB8_2489 Depth=3
	s_sleep 1
	s_trap 2
	ds_read_b64 v[0:1], v0
	v_accvgpr_read_b32 v8, a12
	v_accvgpr_read_b32 v9, a13
	s_andn2_b64 s[58:59], s[58:59], exec
	s_waitcnt lgkmcnt(0)
	v_cmp_ge_u64_e32 vcc, v[0:1], v[8:9]
	s_orn2_b64 vcc, vcc, exec
	s_branch .LBB8_2488
.LBB8_2493:                             ;   in Loop: Header=BB8_2436 Depth=2
	s_or_b64 exec, exec, s[54:55]
	s_and_saveexec_b64 vcc, s[56:57]
	s_xor_b64 vcc, exec, vcc
	s_cbranch_execz .LBB8_2495
; %bb.2494:                             ;   in Loop: Header=BB8_2436 Depth=2
	v_mov_b32_e32 v0, 1
	ds_write_b32 v0, v0
	s_trap 2
.LBB8_2495:                             ;   in Loop: Header=BB8_2436 Depth=2
	s_or_b64 exec, exec, s[52:53]
	;;#ASMSTART
	s_wakeup
	;;#ASMEND
.LBB8_2496:                             ;   in Loop: Header=BB8_2436 Depth=2
	s_or_b64 exec, exec, s[36:37]
.LBB8_2497:                             ;   in Loop: Header=BB8_2436 Depth=2
	s_andn2_saveexec_b64 vcc, s[34:35]
	s_cbranch_execz .LBB8_2499
; %bb.2498:                             ;   in Loop: Header=BB8_2436 Depth=2
	;;#ASMSTART
	s_waitcnt lgkmcnt(0) vmcnt(0)
	;;#ASMEND
	s_barrier
.LBB8_2499:                             ;   in Loop: Header=BB8_2436 Depth=2
	s_or_b64 exec, exec, vcc
.LBB8_2500:                             ;   in Loop: Header=BB8_2436 Depth=2
	s_or_b64 exec, exec, s[26:27]
	v_and_b32_e32 v0, 32, v62
	v_cmp_ne_u32_e32 vcc, 0, v0
	s_and_saveexec_b64 s[26:27], vcc
	s_cbranch_execz .LBB8_2435
; %bb.2501:                             ;   in Loop: Header=BB8_2436 Depth=2
	v_add_co_u32_e32 v44, vcc, 2, v44
	v_addc_co_u32_e32 v45, vcc, 0, v45, vcc
	flat_store_dwordx2 v[46:47], v[44:45]
	s_branch .LBB8_2435
.LBB8_2502:
	s_or_b64 exec, exec, s[42:43]
	s_waitcnt lgkmcnt(0)
	buffer_load_dword v31, off, s[0:3], s33 offset:264 ; 4-byte Folded Reload
	buffer_load_dword v20, off, s[0:3], s33 offset:256 ; 4-byte Folded Reload
	;; [unrolled: 1-line block ×4, first 2 shown]
.LBB8_2503:
	s_or_b64 exec, exec, s[40:41]
	v_and_b32_e32 v0, 0x800, v62
	v_cmp_eq_u32_e32 vcc, 0, v0
	s_and_saveexec_b64 s[4:5], vcc
	s_cbranch_execz .LBB8_2538
; %bb.2504:
	v_and_b32_e32 v0, 48, v62
	v_cmp_ne_u32_e32 vcc, 0, v0
	s_and_saveexec_b64 s[6:7], vcc
	s_cbranch_execz .LBB8_2506
; %bb.2505:
	s_waitcnt vmcnt(0)
	flat_store_dwordx2 v[20:21], v[44:45] offset:104
.LBB8_2506:
	s_or_b64 exec, exec, s[6:7]
	s_movk_i32 s6, 0x88
	v_and_b32_e32 v0, 0x88, v62
	v_cmp_eq_u32_e32 vcc, s6, v0
	s_and_saveexec_b64 s[6:7], vcc
	s_cbranch_execz .LBB8_2518
; %bb.2507:
	v_add_u32_e32 v0, 6, v44
	v_accvgpr_read_b32 v2, a10
	v_and_b32_e32 v0, 7, v0
	v_accvgpr_read_b32 v3, a11
	v_mad_u64_u32 v[0:1], s[10:11], v0, 24, v[2:3]
	v_add_co_u32_e32 v0, vcc, 8, v0
	v_addc_co_u32_e32 v1, vcc, 0, v1, vcc
	s_mov_b64 s[10:11], 0
	v_mov_b32_e32 v2, 0
	s_movk_i32 s24, 0x270e
                                        ; implicit-def: $sgpr12_sgpr13
	s_branch .LBB8_2512
.LBB8_2508:                             ;   in Loop: Header=BB8_2512 Depth=1
	s_or_b64 exec, exec, s[22:23]
	v_mov_b32_e32 v3, 0
	s_orn2_b64 s[20:21], s[20:21], exec
.LBB8_2509:                             ;   in Loop: Header=BB8_2512 Depth=1
	s_or_b64 exec, exec, s[18:19]
	s_and_b64 s[18:19], s[20:21], exec
	v_mov_b32_e32 v2, v3
.LBB8_2510:                             ;   in Loop: Header=BB8_2512 Depth=1
	s_or_b64 exec, exec, s[16:17]
	s_xor_b64 s[16:17], s[18:19], -1
	s_andn2_b64 s[12:13], s[12:13], exec
	s_and_b64 s[16:17], s[16:17], exec
	s_or_b64 s[12:13], s[12:13], s[16:17]
.LBB8_2511:                             ;   in Loop: Header=BB8_2512 Depth=1
	s_or_b64 exec, exec, s[14:15]
	s_and_b64 s[14:15], exec, s[12:13]
	s_or_b64 s[10:11], s[14:15], s[10:11]
	s_andn2_b64 exec, exec, s[10:11]
	s_cbranch_execz .LBB8_2517
.LBB8_2512:                             ; =>This Inner Loop Header: Depth=1
	flat_load_dwordx2 v[4:5], v[0:1] glc
	s_waitcnt vmcnt(0)
	s_or_b64 s[12:13], s[12:13], exec
	s_waitcnt lgkmcnt(0)
	v_cmp_ne_u64_e32 vcc, -1, v[4:5]
	s_and_saveexec_b64 s[14:15], vcc
	s_cbranch_execz .LBB8_2511
; %bb.2513:                             ;   in Loop: Header=BB8_2512 Depth=1
	v_and_b32_e32 v3, 64, v62
	v_cmp_eq_u32_e32 vcc, 0, v3
	s_mov_b64 s[18:19], 0
	s_and_saveexec_b64 s[16:17], vcc
	s_cbranch_execz .LBB8_2510
; %bb.2514:                             ;   in Loop: Header=BB8_2512 Depth=1
	v_add_u32_e32 v3, 1, v2
	v_cmp_lt_i32_e32 vcc, s24, v2
	s_mov_b64 s[20:21], -1
	s_and_saveexec_b64 s[18:19], vcc
	s_cbranch_execz .LBB8_2509
; %bb.2515:                             ;   in Loop: Header=BB8_2512 Depth=1
	s_trap 2
	ds_read_b64 v[2:3], v0
	s_waitcnt lgkmcnt(0)
	flat_load_dword v2, v[2:3] glc
	s_waitcnt vmcnt(0) lgkmcnt(0)
	buffer_invl2
	buffer_wbinvl1_vol
	v_cmp_ne_u32_e32 vcc, 0, v2
	s_and_saveexec_b64 s[22:23], vcc
	s_cbranch_execz .LBB8_2508
; %bb.2516:                             ;   in Loop: Header=BB8_2512 Depth=1
	v_or_b32_e32 v62, 64, v62
	s_xor_b64 s[20:21], exec, -1
	ds_write_b32 v0, v2
	s_trap 2
	s_branch .LBB8_2508
.LBB8_2517:
	s_or_b64 exec, exec, s[10:11]
.LBB8_2518:
	s_or_b64 exec, exec, s[6:7]
	v_and_b32_e32 v0, 0x2000, v62
	v_cmp_ne_u32_e32 vcc, 0, v0
	s_and_saveexec_b64 s[6:7], vcc
	s_cbranch_execz .LBB8_2520
; %bb.2519:
	s_trap 2
	ds_read_b64 v[0:1], v0
	buffer_load_dword v2, off, s[0:3], s33 offset:272 ; 4-byte Folded Reload
	buffer_load_dword v3, off, s[0:3], s33 offset:276 ; 4-byte Folded Reload
	s_waitcnt vmcnt(0) lgkmcnt(0)
	flat_store_dwordx2 v[2:3], v[0:1] offset:16
.LBB8_2520:
	s_or_b64 exec, exec, s[6:7]
	s_waitcnt vmcnt(0)
	v_cmp_ne_u32_e32 vcc, 64, v22
	s_and_b64 exec, exec, vcc
	s_cbranch_execz .LBB8_2538
; %bb.2521:
	v_accvgpr_read_b32 v0, a1
	v_cmp_ne_u32_sdwa s[6:7], v0, v22 src0_sel:WORD_0 src1_sel:DWORD
	s_and_saveexec_b64 s[10:11], s[6:7]
	s_xor_b64 s[6:7], exec, s[10:11]
	s_cbranch_execz .LBB8_2536
; %bb.2522:
	v_and_b32_e32 v0, 63, v31
	v_cmp_eq_u32_e32 vcc, 0, v0
	s_and_saveexec_b64 s[10:11], vcc
	s_cbranch_execz .LBB8_2535
; %bb.2523:
	s_mov_b64 s[14:15], exec
	v_mbcnt_lo_u32_b32 v0, s14, 0
	v_mbcnt_hi_u32_b32 v0, s15, v0
	v_cmp_eq_u32_e32 vcc, 0, v0
	s_waitcnt lgkmcnt(0)
	buffer_wbinvl1_vol
	s_and_saveexec_b64 s[12:13], vcc
	s_cbranch_execz .LBB8_2525
; %bb.2524:
	s_bcnt1_i32_b64 s14, s[14:15]
	v_mov_b32_e32 v0, s14
	v_mov_b32_e32 v1, 0
	ds_add_u64 v0, v[0:1]
	s_trap 2
.LBB8_2525:
	s_or_b64 exec, exec, s[12:13]
	v_ashrrev_i32_e32 v0, 31, v22
	v_lshrrev_b32_e32 v0, 26, v0
	v_add_u32_e32 v0, v22, v0
	v_ashrrev_i32_e32 v0, 6, v0
	s_trap 2
	ds_read_b64 v[2:3], v0
	v_accvgpr_read_b32 v4, a12
	v_ashrrev_i32_e32 v1, 31, v0
	v_accvgpr_read_b32 v5, a13
	v_add_co_u32_e32 v0, vcc, v4, v0
	v_addc_co_u32_e32 v1, vcc, v5, v1, vcc
	s_waitcnt lgkmcnt(0)
	v_cmp_lt_u64_e32 vcc, v[2:3], v[0:1]
	s_and_saveexec_b64 s[12:13], vcc
	s_cbranch_execz .LBB8_2534
; %bb.2526:
	s_mov_b32 s26, 0
	s_mov_b64 s[14:15], 0
                                        ; implicit-def: $sgpr16_sgpr17
                                        ; implicit-def: $sgpr18_sgpr19
	s_branch .LBB8_2528
.LBB8_2527:                             ;   in Loop: Header=BB8_2528 Depth=1
	s_or_b64 exec, exec, s[24:25]
	s_and_b64 s[20:21], exec, s[22:23]
	s_or_b64 s[14:15], s[20:21], s[14:15]
	s_andn2_b64 s[16:17], s[16:17], exec
	s_and_b64 s[20:21], s[18:19], exec
	s_or_b64 s[16:17], s[16:17], s[20:21]
	s_andn2_b64 exec, exec, s[14:15]
	s_cbranch_execz .LBB8_2532
.LBB8_2528:                             ; =>This Inner Loop Header: Depth=1
	s_add_i32 s26, s26, 1
	s_cmpk_lg_i32 s26, 0x2710
	s_cselect_b64 s[20:21], -1, 0
	s_and_b64 vcc, exec, s[20:21]
                                        ; implicit-def: $sgpr24_sgpr25
	s_cbranch_vccnz .LBB8_2530
; %bb.2529:                             ;   in Loop: Header=BB8_2528 Depth=1
	s_trap 2
	ds_read_b64 v[2:3], v0
	s_andn2_b64 s[20:21], s[20:21], exec
	s_mov_b32 s26, 0
	s_mov_b64 s[24:25], -1
	s_waitcnt lgkmcnt(0)
	flat_load_dword v2, v[2:3] glc
	s_waitcnt vmcnt(0) lgkmcnt(0)
	buffer_invl2
	buffer_wbinvl1_vol
	v_cmp_eq_u32_e32 vcc, 0, v2
	s_and_b64 s[22:23], vcc, exec
	s_or_b64 s[20:21], s[20:21], s[22:23]
.LBB8_2530:                             ;   in Loop: Header=BB8_2528 Depth=1
	s_andn2_b64 s[18:19], s[18:19], exec
	s_and_b64 s[24:25], s[24:25], exec
	s_mov_b64 s[22:23], -1
	s_or_b64 s[18:19], s[18:19], s[24:25]
	s_and_saveexec_b64 s[24:25], s[20:21]
	s_cbranch_execz .LBB8_2527
; %bb.2531:                             ;   in Loop: Header=BB8_2528 Depth=1
	s_sleep 1
	s_trap 2
	ds_read_b64 v[2:3], v0
	s_andn2_b64 s[18:19], s[18:19], exec
	s_waitcnt lgkmcnt(0)
	v_cmp_ge_u64_e32 vcc, v[2:3], v[0:1]
	s_orn2_b64 s[22:23], vcc, exec
	s_branch .LBB8_2527
.LBB8_2532:
	s_or_b64 exec, exec, s[14:15]
	s_and_saveexec_b64 s[14:15], s[16:17]
	s_xor_b64 s[14:15], exec, s[14:15]
	s_cbranch_execz .LBB8_2534
; %bb.2533:
	v_mov_b32_e32 v0, 1
	ds_write_b32 v0, v0
	s_trap 2
.LBB8_2534:
	s_or_b64 exec, exec, s[12:13]
	;;#ASMSTART
	s_wakeup
	;;#ASMEND
.LBB8_2535:
	s_or_b64 exec, exec, s[10:11]
.LBB8_2536:
	s_andn2_saveexec_b64 s[6:7], s[6:7]
	s_cbranch_execz .LBB8_2538
; %bb.2537:
	s_waitcnt lgkmcnt(0)
	buffer_wbinvl1_vol
	s_barrier
.LBB8_2538:
	s_or_b64 exec, exec, s[4:5]
.LBB8_2539:
	s_andn2_saveexec_b64 s[26:27], s[38:39]
	s_cbranch_execz .LBB8_2541
; %bb.2540:
	s_getpc_b64 s[4:5]
	s_add_u32 s4, s4, __PRETTY_FUNCTION__._ZN10PrimitivesI12hip_bfloat1610FuncMinMaxIS0_E12FanSymmetricILi1EELi0E11ProtoSimpleILi2ELi2ELi0ELi2ELi0ELi0EELi0ELb0ELi0ELi1ELi0EEC2EiiPKiS9_PKvPvmhhhP15ncclDevWorkCollP14ncclDevWorkP2pii@rel32@lo+4
	s_addc_u32 s5, s5, __PRETTY_FUNCTION__._ZN10PrimitivesI12hip_bfloat1610FuncMinMaxIS0_E12FanSymmetricILi1EELi0E11ProtoSimpleILi2ELi2ELi0ELi2ELi0ELi0EELi0ELb0ELi0ELi1ELi0EEC2EiiPKiS9_PKvPvmhhhP15ncclDevWorkCollP14ncclDevWorkP2pii@rel32@hi+12
	v_mov_b32_e32 v0, s4
	v_mov_b32_e32 v1, s5
	s_getpc_b64 s[6:7]
	s_add_u32 s6, s6, __assert_fail@rel32@lo+4
	s_addc_u32 s7, s7, __assert_fail@rel32@hi+12
	s_swappc_b64 s[30:31], s[6:7]
	; divergent unreachable
.LBB8_2541:
	s_or_b64 exec, exec, s[26:27]
	buffer_load_dword a63, off, s[0:3], s33 ; 4-byte Folded Reload
	buffer_load_dword a62, off, s[0:3], s33 offset:4 ; 4-byte Folded Reload
	buffer_load_dword a61, off, s[0:3], s33 offset:8 ; 4-byte Folded Reload
	;; [unrolled: 1-line block ×38, first 2 shown]
	s_waitcnt lgkmcnt(0)
	buffer_load_dword v47, off, s[0:3], s33 offset:156 ; 4-byte Folded Reload
	buffer_load_dword v46, off, s[0:3], s33 offset:160 ; 4-byte Folded Reload
	;; [unrolled: 1-line block ×9, first 2 shown]
	v_readlane_b32 s30, v63, 62
	v_readlane_b32 s31, v63, 63
	;; [unrolled: 1-line block ×64, first 2 shown]
	s_waitcnt vmcnt(0)
	v_readfirstlane_b32 s4, v0
	s_or_saveexec_b64 s[6:7], -1
	buffer_load_dword v63, off, s[0:3], s33 offset:280 ; 4-byte Folded Reload
	s_mov_b64 exec, s[6:7]
	s_addk_i32 s32, 0xb400
	s_mov_b32 s33, s4
	s_waitcnt vmcnt(0)
	s_setpc_b64 s[30:31]
.Lfunc_end8:
	.size	_ZN12_GLOBAL__N_17runRingI12hip_bfloat1610FuncMinMaxIS1_E11ProtoSimpleILi2ELi2ELi0ELi2ELi0ELi0EELi0ELi0ELi2ELi1EEEviiP15ncclDevWorkColl, .Lfunc_end8-_ZN12_GLOBAL__N_17runRingI12hip_bfloat1610FuncMinMaxIS1_E11ProtoSimpleILi2ELi2ELi0ELi2ELi0ELi0EELi0ELi0ELi2ELi1EEEviiP15ncclDevWorkColl
                                        ; -- End function
	.section	.AMDGPU.csdata,"",@progbits
; Function info:
; codeLenInByte = 81068
; NumSgprs: 100
; NumVgprs: 64
; NumAgprs: 64
; TotalNumVgprs: 128
; ScratchSize: 368
; MemoryBound: 1
	.text
	.p2align	2                               ; -- Begin function _Z51ncclDevFunc_AllReduce_RING_SIMPLE_MinMax_bf16_0_1_2v
	.type	_Z51ncclDevFunc_AllReduce_RING_SIMPLE_MinMax_bf16_0_1_2v,@function
_Z51ncclDevFunc_AllReduce_RING_SIMPLE_MinMax_bf16_0_1_2v: ; @_Z51ncclDevFunc_AllReduce_RING_SIMPLE_MinMax_bf16_0_1_2v
; %bb.0:
	s_waitcnt vmcnt(0) expcnt(0) lgkmcnt(0)
	s_mov_b32 s4, s33
	s_mov_b32 s33, s32
	s_or_saveexec_b64 s[6:7], -1
	buffer_store_dword a32, off, s[0:3], s33 offset:12 ; 4-byte Folded Spill
	buffer_store_dword v63, off, s[0:3], s33 offset:16 ; 4-byte Folded Spill
	;; [unrolled: 1-line block ×5, first 2 shown]
	s_mov_b64 exec, s[6:7]
	v_writelane_b32 v45, s4, 6
	v_writelane_b32 v45, s100, 4
	;; [unrolled: 1-line block ×3, first 2 shown]
	s_addk_i32 s32, 0xc00
	buffer_store_dword v40, off, s[0:3], s33 offset:8 ; 4-byte Folded Spill
	buffer_store_dword v41, off, s[0:3], s33 offset:4 ; 4-byte Folded Spill
	buffer_store_dword v42, off, s[0:3], s33 ; 4-byte Folded Spill
	v_writelane_b32 v44, s34, 0
	v_writelane_b32 v44, s35, 1
	;; [unrolled: 1-line block ×68, first 2 shown]
                                        ; implicit-def: $vgpr43 : SGPR spill to VGPR lane
	v_mov_b32_e32 v40, v31
	s_mov_b32 s97, s12
	v_writelane_b32 v43, s8, 0
	v_writelane_b32 v43, s9, 1
	s_or_saveexec_b64 s[100:101], -1
	v_accvgpr_write_b32 a32, v43
	s_mov_b64 exec, s[100:101]
	s_trap 2
	ds_read_b32 v0, v0
	v_and_b32_e32 v41, 0x3ff, v40
	s_waitcnt lgkmcnt(0)
	v_cmp_lt_i32_e32 vcc, v41, v0
	s_and_saveexec_b64 s[4:5], vcc
	s_cbranch_execz .LBB9_5
; %bb.1:
	s_or_saveexec_b64 s[100:101], -1
	v_accvgpr_read_b32 v43, a32
	s_mov_b64 exec, s[100:101]
	v_readlane_b32 s8, v43, 0
	v_readlane_b32 s9, v43, 1
	s_load_dword s6, s[8:9], 0x0
	v_mov_b32_e32 v1, 0
	s_mov_b32 s10, 0
	v_mov_b32_e32 v4, v41
                                        ; implicit-def: $vgpr2
	s_waitcnt lgkmcnt(0)
	s_cmp_lt_u32 s97, s6
	s_cselect_b32 s6, 12, 18
	s_add_u32 s6, s8, s6
	s_addc_u32 s7, s9, 0
	global_load_ushort v1, v1, s[6:7]
	s_trap 2
	ds_read_b32 v3, v0
	s_mov_b64 s[6:7], 0
	s_waitcnt vmcnt(0) lgkmcnt(0)
	v_mul_lo_u32 v3, v3, v1
	s_branch .LBB9_3
.LBB9_2:                                ;   in Loop: Header=BB9_3 Depth=1
	s_or_b64 exec, exec, s[8:9]
	v_add_u32_e32 v4, v4, v1
	v_cmp_ge_i32_e32 vcc, v4, v0
	s_or_b64 s[6:7], vcc, s[6:7]
	v_add_u32_e32 v2, v2, v3
	s_andn2_b64 exec, exec, s[6:7]
	s_cbranch_execz .LBB9_5
.LBB9_3:                                ; =>This Inner Loop Header: Depth=1
	ds_read_b32 v5, v2
	s_waitcnt lgkmcnt(0)
	v_and_b32_e32 v5, 0x1000000, v5
	v_cmp_ne_u32_e32 vcc, 0, v5
	s_and_saveexec_b64 s[8:9], vcc
	s_cbranch_execz .LBB9_2
; %bb.4:                                ;   in Loop: Header=BB9_3 Depth=1
	ds_read_b64 v[6:7], v2 offset:104
	s_waitcnt lgkmcnt(0)
	flat_load_ushort v5, v[6:7]
	v_mov_b32_e32 v7, s10
	s_waitcnt vmcnt(0) lgkmcnt(0)
	v_and_b32_e32 v6, 0xffff, v5
	ds_write_b64 v2, v[6:7] offset:104
	s_branch .LBB9_2
.LBB9_5:
	s_or_b64 exec, exec, s[4:5]
	s_waitcnt lgkmcnt(0)
	s_barrier
	s_trap 2
	ds_read_b32 v0, v0
	s_waitcnt lgkmcnt(0)
	v_cmp_gt_i32_e32 vcc, 1, v0
	s_cbranch_vccnz .LBB9_13
; %bb.6:
	s_mov_b32 s96, 0
	v_mov_b32_e32 v42, 6
	s_branch .LBB9_8
.LBB9_7:                                ;   in Loop: Header=BB9_8 Depth=1
	s_or_b64 exec, exec, s[98:99]
	s_trap 2
	ds_read_b32 v0, v0
	s_add_i32 s96, s96, 1
	s_waitcnt lgkmcnt(0)
	v_cmp_lt_i32_e32 vcc, s96, v0
	s_cbranch_vccz .LBB9_13
.LBB9_8:                                ; =>This Inner Loop Header: Depth=1
	s_trap 2
	ds_read_b32 v0, v0
	s_cmp_eq_u32 s96, 0
	s_cbranch_scc1 .LBB9_11
; %bb.9:                                ;   in Loop: Header=BB9_8 Depth=1
	s_trap 2
	s_waitcnt lgkmcnt(0)
	ds_read_b32 v1, v0
	s_waitcnt lgkmcnt(0)
	v_xor_b32_e32 v1, v1, v0
	v_and_b32_e32 v1, 0xff0000, v1
	v_cmp_eq_u32_e32 vcc, 0, v1
	s_cbranch_vccnz .LBB9_11
; %bb.10:                               ;   in Loop: Header=BB9_8 Depth=1
	s_barrier
	ds_read_b32 v0, v0
.LBB9_11:                               ;   in Loop: Header=BB9_8 Depth=1
	s_waitcnt lgkmcnt(0)
	v_lshlrev_b32_sdwa v1, v42, v0 dst_sel:DWORD dst_unused:UNUSED_PAD src0_sel:DWORD src1_sel:BYTE_2
	v_cmp_lt_u32_e32 vcc, v41, v1
	s_and_saveexec_b64 s[98:99], vcc
	s_cbranch_execz .LBB9_7
; %bb.12:                               ;   in Loop: Header=BB9_8 Depth=1
	s_getpc_b64 s[4:5]
	s_add_u32 s4, s4, _ZN12_GLOBAL__N_17runRingI12hip_bfloat1610FuncMinMaxIS1_E11ProtoSimpleILi2ELi2ELi0ELi2ELi0ELi0EELi0ELi0ELi2ELi1EEEviiP15ncclDevWorkColl@rel32@lo+4
	s_addc_u32 s5, s5, _ZN12_GLOBAL__N_17runRingI12hip_bfloat1610FuncMinMaxIS1_E11ProtoSimpleILi2ELi2ELi0ELi2ELi0ELi0EELi0ELi0ELi2ELi1EEEviiP15ncclDevWorkColl@rel32@hi+12
	s_or_saveexec_b64 s[100:101], -1
	v_accvgpr_read_b32 v43, a32
	s_mov_b64 exec, s[100:101]
	v_readlane_b32 s8, v43, 0
	s_mov_b64 s[6:7], src_shared_base
	v_readlane_b32 s9, v43, 1
	s_mov_b32 s12, s97
	v_mov_b32_e32 v31, v40
	v_mov_b32_e32 v0, v41
	;; [unrolled: 1-line block ×3, first 2 shown]
	s_swappc_b64 s[30:31], s[4:5]
	s_branch .LBB9_7
.LBB9_13:
	buffer_load_dword v42, off, s[0:3], s33 ; 4-byte Folded Reload
	buffer_load_dword v41, off, s[0:3], s33 offset:4 ; 4-byte Folded Reload
	buffer_load_dword v40, off, s[0:3], s33 offset:8 ; 4-byte Folded Reload
	v_readlane_b32 s30, v45, 2
	v_readlane_b32 s31, v45, 3
	;; [unrolled: 1-line block ×71, first 2 shown]
	s_or_saveexec_b64 s[6:7], -1
	buffer_load_dword a32, off, s[0:3], s33 offset:12 ; 4-byte Folded Reload
	buffer_load_dword v63, off, s[0:3], s33 offset:16 ; 4-byte Folded Reload
	;; [unrolled: 1-line block ×5, first 2 shown]
	s_mov_b64 exec, s[6:7]
	s_addk_i32 s32, 0xf400
	s_mov_b32 s33, s4
	s_waitcnt vmcnt(0)
	s_setpc_b64 s[30:31]
.Lfunc_end9:
	.size	_Z51ncclDevFunc_AllReduce_RING_SIMPLE_MinMax_bf16_0_1_2v, .Lfunc_end9-_Z51ncclDevFunc_AllReduce_RING_SIMPLE_MinMax_bf16_0_1_2v
                                        ; -- End function
	.section	.AMDGPU.csdata,"",@progbits
; Function info:
; codeLenInByte = 1864
; NumSgprs: 106
; NumVgprs: 64
; NumAgprs: 64
; TotalNumVgprs: 128
; ScratchSize: 416
; MemoryBound: 0
	.text
	.p2align	2                               ; -- Begin function _ZN12_GLOBAL__N_17runRingI12hip_bfloat1610FuncMinMaxIS1_E11ProtoSimpleILi2ELi2ELi0ELi4ELi0ELi0EELi0ELi0ELi4ELi0EEEviiP15ncclDevWorkColl
	.type	_ZN12_GLOBAL__N_17runRingI12hip_bfloat1610FuncMinMaxIS1_E11ProtoSimpleILi2ELi2ELi0ELi4ELi0ELi0EELi0ELi0ELi4ELi0EEEviiP15ncclDevWorkColl,@function
_ZN12_GLOBAL__N_17runRingI12hip_bfloat1610FuncMinMaxIS1_E11ProtoSimpleILi2ELi2ELi0ELi4ELi0ELi0EELi0ELi0ELi4ELi0EEEviiP15ncclDevWorkColl: ; @_ZN12_GLOBAL__N_17runRingI12hip_bfloat1610FuncMinMaxIS1_E11ProtoSimpleILi2ELi2ELi0ELi4ELi0ELi0EELi0ELi0ELi4ELi0EEEviiP15ncclDevWorkColl
; %bb.0:
	s_waitcnt vmcnt(0) expcnt(0) lgkmcnt(0)
	s_mov_b32 s4, s33
	s_mov_b32 s33, s32
	s_or_saveexec_b64 s[6:7], -1
	buffer_store_dword v63, off, s[0:3], s33 offset:84 ; 4-byte Folded Spill
	buffer_store_dword v62, off, s[0:3], s33 offset:88 ; 4-byte Folded Spill
	s_mov_b64 exec, s[6:7]
	v_writelane_b32 v62, s4, 2
	s_addk_i32 s32, 0x1800
	buffer_store_dword v40, off, s[0:3], s33 offset:80 ; 4-byte Folded Spill
	buffer_store_dword v41, off, s[0:3], s33 offset:76 ; 4-byte Folded Spill
	;; [unrolled: 1-line block ×20, first 2 shown]
	buffer_store_dword a38, off, s[0:3], s33 ; 4-byte Folded Spill
	v_writelane_b32 v63, s34, 0
	v_writelane_b32 v63, s35, 1
	;; [unrolled: 1-line block ×66, first 2 shown]
	v_mov_b32_e32 v18, v1
	s_trap 2
	flat_load_dword v1, v[2:3]
	ds_read_b32 v6, v0
	v_mov_b32_e32 v47, v0
                                        ; implicit-def: $vgpr4_vgpr5
                                        ; implicit-def: $agpr4_agpr5
                                        ; implicit-def: $vgpr8_vgpr9
	s_waitcnt lgkmcnt(0)
	v_readfirstlane_b32 s72, v6
	s_waitcnt vmcnt(0)
	v_cmp_ne_u32_sdwa s[4:5], v1, v6 src0_sel:BYTE_0 src1_sel:DWORD
	s_and_saveexec_b64 s[6:7], s[4:5]
	s_xor_b64 s[4:5], exec, s[6:7]
	s_cbranch_execz .LBB10_6
; %bb.1:
	v_not_b32_sdwa v0, v1 dst_sel:DWORD dst_unused:UNUSED_PAD src0_sel:BYTE_0
	v_cmp_ne_u32_sdwa s[6:7], v1, v6 src0_sel:BYTE_1 src1_sel:DWORD
                                        ; implicit-def: $vgpr4_vgpr5
                                        ; implicit-def: $agpr4_agpr5
                                        ; implicit-def: $vgpr8_vgpr9
	s_and_saveexec_b64 s[10:11], s[6:7]
	s_xor_b64 s[6:7], exec, s[10:11]
	s_cbranch_execz .LBB10_3
; %bb.2:
	flat_load_dwordx4 v[8:11], v[2:3] offset:72
	flat_load_dwordx2 v[4:5], v[2:3] offset:96
	v_add_u32_e32 v0, v6, v0
	v_ashrrev_i32_e32 v1, 31, v0
	s_waitcnt vmcnt(0) lgkmcnt(0)
	v_mul_lo_u32 v1, v10, v1
	v_mad_u64_u32 v[6:7], s[10:11], v10, v0, v[8:9]
	v_mul_lo_u32 v0, v11, v0
	v_add3_u32 v7, v0, v7, v1
	v_accvgpr_write_b32 a4, v6
	v_lshrrev_b64 v[4:5], 13, v[4:5]
	v_accvgpr_write_b32 a5, v7
	v_pk_mov_b32 v[8:9], v[10:11], v[10:11] op_sel:[0,1]
                                        ; implicit-def: $vgpr1
                                        ; implicit-def: $vgpr0
.LBB10_3:
	s_andn2_saveexec_b64 s[6:7], s[6:7]
	s_cbranch_execz .LBB10_5
; %bb.4:
	flat_load_dwordx4 v[4:7], v[2:3] offset:72
	flat_load_dwordx4 v[8:11], v[2:3] offset:88
	v_add_u32_sdwa v0, v1, v0 dst_sel:DWORD dst_unused:UNUSED_PAD src0_sel:BYTE_1 src1_sel:DWORD
	v_ashrrev_i32_e32 v1, 31, v0
	s_waitcnt vmcnt(0) lgkmcnt(0)
	v_mul_lo_u32 v1, v6, v1
	v_mad_u64_u32 v[4:5], s[10:11], v6, v0, v[4:5]
	v_mul_lo_u32 v0, v7, v0
	v_add3_u32 v5, v0, v5, v1
	v_accvgpr_write_b32 a4, v4
	v_accvgpr_write_b32 a5, v5
	v_lshrrev_b32_e32 v4, 2, v11
.LBB10_5:
	s_or_b64 exec, exec, s[6:7]
.LBB10_6:
	s_andn2_saveexec_b64 s[4:5], s[4:5]
	s_cbranch_execz .LBB10_8
; %bb.7:
	flat_load_dwordx2 v[0:1], v[2:3] offset:96
	flat_load_dwordx2 v[8:9], v[2:3] offset:72
	s_waitcnt vmcnt(0) lgkmcnt(0)
	v_lshlrev_b64 v[4:5], 8, v[0:1]
	v_pk_mov_b32 v[0:1], 0, 0
	v_accvgpr_write_b32 a5, v1
	v_accvgpr_write_b32 a4, v0
.LBB10_8:
	s_or_b64 exec, exec, s[4:5]
	s_trap 2
	ds_read_b64 v[0:1], v0
	s_waitcnt lgkmcnt(0)
	v_cmp_ne_u32_e32 vcc, -1, v0
	v_cndmask_b32_e64 v0, 0, 1, vcc
	v_cmp_ne_u32_e32 vcc, -1, v1
	v_addc_co_u32_e64 v1, s[4:5], 0, v0, vcc
	v_lshlrev_b32_e32 v5, 1, v1
	v_cmp_le_i32_e64 s[4:5], v5, v18
	s_and_saveexec_b64 s[6:7], s[4:5]
	s_xor_b64 s[40:41], exec, s[6:7]
	s_cbranch_execz .LBB10_1653
; %bb.9:
	flat_load_dwordx2 v[14:15], v[2:3] offset:104
	flat_load_dwordx4 v[10:13], v[2:3] offset:16
	flat_load_ushort v7, v[2:3] offset:8
	flat_load_dword v6, v[2:3] offset:4
	s_trap 2
	s_load_dword s4, s[8:9], 0x0
	v_mov_b32_e32 v5, 0
	v_accvgpr_write_b32 a6, v8
	v_accvgpr_write_b32 a7, v9
	v_mov_b32_e32 v55, 4
	s_waitcnt lgkmcnt(0)
	s_cmp_lt_u32 s12, s4
	s_cselect_b32 s4, 12, 18
	s_add_u32 s4, s8, s4
	s_addc_u32 s5, s9, 0
	global_load_ushort v19, v5, s[4:5]
	ds_read_b32 v5, v0
	v_cmp_ge_i32_e64 s[4:5], v47, v0
	s_waitcnt lgkmcnt(0)
	v_readfirstlane_b32 s18, v5
	s_and_saveexec_b64 s[6:7], s[4:5]
	s_cbranch_execz .LBB10_19
; %bb.10:
	v_cmp_le_u32_e64 s[4:5], v1, v47
                                        ; implicit-def: $vgpr55
	s_and_saveexec_b64 s[10:11], s[4:5]
	s_xor_b64 s[4:5], exec, s[10:11]
	s_cbranch_execz .LBB10_16
; %bb.11:
	v_cndmask_b32_e64 v5, 0, 1, vcc
	v_sub_u32_e32 v5, v18, v5
	v_cmp_ge_u32_e32 vcc, v47, v5
                                        ; implicit-def: $sgpr12
	s_and_saveexec_b64 s[10:11], vcc
	s_xor_b64 s[10:11], exec, s[10:11]
; %bb.12:
	s_mov_b32 s12, 16
                                        ; implicit-def: $vgpr1
; %bb.13:
	s_or_saveexec_b64 s[10:11], s[10:11]
	v_mov_b32_e32 v55, s12
	s_xor_b64 exec, exec, s[10:11]
; %bb.14:
	v_sub_u32_e32 v1, v18, v1
	v_cmp_ge_i32_e32 vcc, v47, v1
	v_cndmask_b32_e64 v1, 0, 1, vcc
	v_lshlrev_b32_e32 v55, 5, v1
; %bb.15:
	s_or_b64 exec, exec, s[10:11]
.LBB10_16:
	s_andn2_saveexec_b64 s[4:5], s[4:5]
; %bb.17:
	v_mov_b32_e32 v55, 8
; %bb.18:
	s_or_b64 exec, exec, s[4:5]
.LBB10_19:
	s_or_b64 exec, exec, s[6:7]
	v_and_b32_e32 v1, 36, v55
	v_cmp_ne_u32_e32 vcc, 0, v1
	v_mov_b32_e32 v8, -1
	s_and_saveexec_b64 s[4:5], vcc
	s_cbranch_execz .LBB10_21
; %bb.20:
	s_trap 2
	ds_read_b32 v8, v0
.LBB10_21:
	s_or_b64 exec, exec, s[4:5]
	v_and_b32_e32 v1, 24, v55
	v_cmp_ne_u32_e64 s[4:5], 0, v1
	s_and_saveexec_b64 s[6:7], s[4:5]
	s_cbranch_execz .LBB10_23
; %bb.22:
	s_trap 2
	s_waitcnt lgkmcnt(0)
	ds_read_b32 v8, v0
.LBB10_23:
	s_or_b64 exec, exec, s[6:7]
	s_waitcnt vmcnt(0)
	v_lshrrev_b64 v[6:7], 31, v[6:7]
	v_pk_mov_b32 v[20:21], 0, 0
	v_and_b32_e32 v1, 3, v6
	v_pk_mov_b32 v[6:7], v[20:21], v[20:21] op_sel:[0,1]
                                        ; implicit-def: $agpr8_agpr9
                                        ; implicit-def: $vgpr30
                                        ; implicit-def: $vgpr32_vgpr33
                                        ; implicit-def: $vgpr36_vgpr37
                                        ; implicit-def: $vgpr50_vgpr51
                                        ; implicit-def: $vgpr34_vgpr35
	s_and_saveexec_b64 s[4:5], vcc
	s_cbranch_execz .LBB10_33
; %bb.24:
	s_trap 2
	ds_read_b64 v[6:7], v0
	s_waitcnt lgkmcnt(1)
	v_ashrrev_i32_e32 v9, 31, v8
	v_lshlrev_b64 v[16:17], 3, v[8:9]
	v_and_b32_e32 v5, 0xffff, v1
	s_movk_i32 s6, 0xa8
	s_waitcnt lgkmcnt(0)
	v_add_co_u32_e32 v6, vcc, v6, v16
	v_addc_co_u32_e32 v7, vcc, v7, v17, vcc
	flat_load_dwordx2 v[6:7], v[6:7]
                                        ; implicit-def: $agpr8_agpr9
	s_waitcnt vmcnt(0) lgkmcnt(0)
	v_mad_u64_u32 v[6:7], s[6:7], v5, s6, v[6:7]
	flat_load_dword v5, v[6:7] offset:640
	v_add_co_u32_e32 v20, vcc, 0x1f8, v6
	v_addc_co_u32_e32 v21, vcc, 0, v7, vcc
	s_waitcnt vmcnt(0) lgkmcnt(0)
	v_cmp_eq_u32_e32 vcc, 1, v5
	s_and_saveexec_b64 s[6:7], vcc
	s_cbranch_execz .LBB10_26
; %bb.25:
	flat_load_dwordx2 v[16:17], v[20:21] offset:144
	v_or_b32_e32 v55, 0x2000, v55
	s_waitcnt vmcnt(0) lgkmcnt(0)
	flat_load_dwordx2 v[6:7], v[16:17]
	s_trap 2
	v_accvgpr_write_b32 a8, v16
	v_accvgpr_write_b32 a9, v17
	s_waitcnt vmcnt(0) lgkmcnt(0)
	ds_write_b64 v0, v[6:7]
	flat_load_dwordx2 v[6:7], v[16:17] offset:8
	s_waitcnt vmcnt(0) lgkmcnt(0)
	ds_write_b64 v0, v[6:7]
	flat_load_dwordx2 v[6:7], v[16:17] offset:16
	s_waitcnt vmcnt(0) lgkmcnt(0)
	ds_write_b64 v0, v[6:7]
.LBB10_26:
	s_or_b64 exec, exec, s[6:7]
	flat_load_dwordx2 v[6:7], v[20:21] offset:104
	v_and_b32_e32 v5, 32, v55
                                        ; implicit-def: $vgpr34_vgpr35
	s_waitcnt vmcnt(0) lgkmcnt(0)
	v_add_co_u32_e32 v6, vcc, 3, v6
	v_addc_co_u32_e32 v33, vcc, 0, v7, vcc
	v_and_b32_e32 v32, -4, v6
	v_cmp_ne_u32_e32 vcc, 0, v5
	s_and_saveexec_b64 s[6:7], vcc
	s_cbranch_execz .LBB10_28
; %bb.27:
	flat_load_dwordx2 v[34:35], v[20:21] offset:56
	s_waitcnt vmcnt(0) lgkmcnt(0)
	flat_store_dwordx2 v[34:35], v[32:33]
.LBB10_28:
	s_or_b64 exec, exec, s[6:7]
	v_and_b32_e32 v5, 4, v55
	v_cmp_ne_u32_e32 vcc, 0, v5
	v_pk_mov_b32 v[6:7], 0, 0
                                        ; implicit-def: $vgpr30
                                        ; implicit-def: $vgpr36_vgpr37
                                        ; implicit-def: $vgpr50_vgpr51
	s_and_saveexec_b64 s[6:7], vcc
	s_cbranch_execz .LBB10_32
; %bb.29:
	v_and_b32_e32 v5, 0x800, v55
	v_cmp_eq_u32_e32 vcc, 0, v5
	s_and_saveexec_b64 s[10:11], vcc
	s_cbranch_execz .LBB10_31
; %bb.30:
	s_trap 2
	ds_write_b64 v0, v[20:21]
.LBB10_31:
	s_or_b64 exec, exec, s[10:11]
	flat_load_dwordx2 v[34:35], v[20:21] offset:48
	v_or_b32_e32 v9, 0x100, v55
	s_waitcnt vmcnt(0) lgkmcnt(0)
	flat_load_dwordx2 v[50:51], v[34:35] glc
	flat_load_dword v5, v[20:21] offset:72
	flat_load_dwordx2 v[6:7], v[20:21] offset:96
	flat_load_dwordx2 v[36:37], v[20:21] offset:16
	s_waitcnt vmcnt(0) lgkmcnt(0)
	v_ashrrev_i32_e32 v30, 1, v5
	v_cmp_eq_u64_e32 vcc, 0, v[6:7]
	v_cndmask_b32_e32 v55, v9, v55, vcc
.LBB10_32:
	s_or_b64 exec, exec, s[6:7]
.LBB10_33:
	s_or_b64 exec, exec, s[4:5]
	v_and_b32_e32 v5, 24, v55
	v_cmp_ne_u32_e32 vcc, 0, v5
                                        ; implicit-def: $vgpr58_vgpr59
	s_and_saveexec_b64 s[4:5], vcc
	s_cbranch_execz .LBB10_41
; %bb.34:
	s_trap 2
	ds_read_b64 v[6:7], v0
	s_waitcnt lgkmcnt(0)
	v_ashrrev_i32_e32 v9, 31, v8
	v_lshlrev_b64 v[8:9], 3, v[8:9]
	v_and_b32_e32 v1, 0xffff, v1
	s_movk_i32 s6, 0xa8
	v_add_co_u32_e32 v6, vcc, v6, v8
	v_addc_co_u32_e32 v7, vcc, v7, v9, vcc
	flat_load_dwordx2 v[6:7], v[6:7]
                                        ; implicit-def: $vgpr58_vgpr59
	s_waitcnt vmcnt(0) lgkmcnt(0)
	v_mad_u64_u32 v[20:21], s[6:7], v1, s6, v[6:7]
	flat_load_dwordx4 v[6:9], v[20:21] offset:96
	v_or_b32_e32 v1, 0x100, v55
	s_waitcnt vmcnt(0) lgkmcnt(0)
	v_cmp_eq_u64_e32 vcc, 0, v[6:7]
	v_cndmask_b32_e32 v55, v1, v55, vcc
	v_and_b32_e32 v1, 16, v55
	v_cmp_ne_u32_e32 vcc, 0, v1
	s_and_saveexec_b64 s[6:7], vcc
	s_cbranch_execz .LBB10_36
; %bb.35:
	flat_load_dwordx2 v[58:59], v[20:21] offset:120
	flat_load_dwordx2 v[34:35], v[20:21] offset:48
	;; [unrolled: 1-line block ×3, first 2 shown]
.LBB10_36:
	s_or_b64 exec, exec, s[6:7]
	v_add_co_u32_e32 v1, vcc, 3, v8
	v_addc_co_u32_e32 v33, vcc, 0, v9, vcc
	v_and_b32_e32 v32, -4, v1
	v_and_b32_e32 v1, 8, v55
	v_cmp_ne_u32_e32 vcc, 0, v1
	s_and_saveexec_b64 s[6:7], vcc
	s_cbranch_execz .LBB10_40
; %bb.37:
	v_and_b32_e32 v1, 0x800, v55
	v_cmp_eq_u32_e32 vcc, 0, v1
	s_and_saveexec_b64 s[10:11], vcc
	s_cbranch_execz .LBB10_39
; %bb.38:
	s_trap 2
	ds_write_b64 v0, v[20:21]
.LBB10_39:
	s_or_b64 exec, exec, s[10:11]
	s_waitcnt vmcnt(0) lgkmcnt(0)
	flat_load_dwordx2 v[34:35], v[20:21] offset:56
	s_waitcnt vmcnt(0) lgkmcnt(0)
	flat_load_dwordx2 v[50:51], v[34:35] glc
	flat_load_dword v1, v[20:21] offset:72
	flat_load_dwordx2 v[36:37], v[20:21] offset:16
	s_waitcnt vmcnt(0) lgkmcnt(0)
	v_ashrrev_i32_e32 v30, 1, v1
.LBB10_40:
	s_or_b64 exec, exec, s[6:7]
.LBB10_41:
	s_or_b64 exec, exec, s[4:5]
	v_cmp_eq_u32_e64 s[4:5], 0, v47
	s_and_saveexec_b64 s[6:7], s[4:5]
	s_cbranch_execz .LBB10_43
; %bb.42:
	s_waitcnt lgkmcnt(0)
	flat_load_dwordx2 v[8:9], v[2:3] offset:32
	ds_write2_b64 v0, v[12:13], v[10:11] offset1:1
	s_trap 2
	s_waitcnt vmcnt(0) lgkmcnt(0)
	ds_write_b64 v0, v[8:9]
	ds_write_b64 v0, v[14:15]
.LBB10_43:
	s_or_b64 exec, exec, s[6:7]
	v_accvgpr_read_b32 v11, a7
	v_accvgpr_read_b32 v10, a6
	s_mov_b64 s[44:45], 0
	v_cmp_lt_i64_e32 vcc, 0, v[10:11]
	v_pk_mov_b32 v[48:49], 0, 0
	s_and_saveexec_b64 s[42:43], vcc
	s_cbranch_execz .LBB10_1617
; %bb.44:
	flat_load_dword v2, v[2:3] offset:4
	s_waitcnt lgkmcnt(0)
	v_and_b32_e32 v8, 0x1fffff00, v4
	v_ashrrev_i32_e32 v3, 31, v30
	v_mov_b32_e32 v52, 0
	s_ashr_i32 s19, s18, 31
	v_and_b32_e32 v1, 63, v31
	v_accvgpr_write_b32 a15, v3
	v_lshrrev_b32_e32 v54, 6, v18
	v_ashrrev_i32_e32 v3, 31, v47
	v_mov_b32_e32 v4, 0xfffff000
	v_mad_i64_i32 v[24:25], s[16:17], v8, s72, 0
	s_movk_i32 s20, 0x1000
	v_mov_b32_e32 v5, 0xfffff800
	v_mov_b32_e32 v9, v52
	s_lshr_b32 s19, s19, 29
	v_cmp_eq_u32_e64 s[16:17], 0, v1
	v_lshrrev_b32_e32 v1, 26, v3
	v_lshl_add_u32 v3, v54, 12, v4
	v_accvgpr_write_b32 a1, v31
	v_accvgpr_write_b32 a31, v9
	v_lshl_add_u32 v4, v54, 11, v5
	s_add_i32 s24, s18, s19
	v_add_u32_e32 v1, v47, v1
	v_ashrrev_i32_e32 v5, 31, v3
	v_add_co_u32_e64 v31, s[18:19], s20, v3
	s_movk_i32 s22, 0x800
	v_accvgpr_write_b32 a30, v8
	v_ashrrev_i32_e32 v60, 6, v1
	v_and_b32_e32 v9, 0xffffffc0, v1
	v_addc_co_u32_e64 v1, s[18:19], 0, v5, s[18:19]
	s_ashr_i32 s73, s72, 31
	v_lshlrev_b32_e32 v46, 10, v54
	v_ashrrev_i32_e32 v8, 31, v4
	s_ashr_i32 s25, s24, 4
	v_add_co_u32_e64 v28, s[18:19], s22, v4
	s_movk_i32 s21, 0x400
	v_add_u32_e32 v12, 0xfffffc00, v46
	v_addc_co_u32_e64 v29, s[18:19], 0, v8, s[18:19]
	s_add_u32 s76, s72, -1
	v_lshlrev_b32_e32 v61, 7, v54
	v_ashrrev_i32_e32 v5, 31, v12
	v_add_co_u32_e64 v42, s[18:19], s21, v12
	s_addc_u32 s77, s73, -1
	s_add_i32 s78, s72, s72
	s_not_b32 s22, s72
	s_movk_i32 s23, 0x80
	v_add_u32_e32 v14, 0xffffff80, v61
	v_addc_co_u32_e64 v43, s[18:19], 0, v5, s[18:19]
	s_cmp_gt_i32 s72, 0
	v_add_co_u32_e64 v44, s[18:19], s23, v14
	s_cselect_b32 s22, s22, -1
	s_ashr_i32 s23, s24, 31
	s_add_i32 s79, s22, s78
	s_lshr_b32 s22, s23, 28
	s_add_i32 s25, s25, s22
	s_ashr_i32 s80, s79, 31
	s_ashr_i32 s81, s25, 4
	v_sub_u32_e32 v4, v47, v9
	v_lshlrev_b32_e32 v3, 12, v60
	s_cmp_gt_i32 s72, 2
	v_cmp_lt_i32_e64 s[20:21], v4, v0
	v_lshl_add_u32 v8, v4, 4, v3
	s_cselect_b64 s[50:51], -1, 0
	v_cmp_le_i32_e64 s[24:25], v4, v0
	v_lshlrev_b32_e32 v0, 11, v60
	s_add_i32 s26, s72, 1
	v_ashrrev_i32_e32 v3, 31, v8
	v_sub_u32_e32 v0, v8, v0
	v_ashrrev_i32_e32 v13, 31, v14
	v_accvgpr_write_b32 a25, v3
	v_ashrrev_i32_e32 v3, 31, v0
	v_accvgpr_write_b32 a10, v20
	s_waitcnt vmcnt(0)
	v_and_b32_e32 v2, 1, v2
	v_cmp_eq_u32_e64 s[22:23], 1, v2
	s_xor_b64 s[52:53], s[22:23], -1
	s_cmp_le_i32 s72, s26
	s_cselect_b32 s27, s72, 0
	v_cmp_ge_i32_e32 vcc, v47, v18
	v_addc_co_u32_e64 v45, s[18:19], 0, v13, s[18:19]
	v_accvgpr_write_b32 a27, v3
	s_sub_i32 s82, s26, s27
	v_pk_mov_b32 v[2:3], 0, 0
	v_accvgpr_write_b32 a12, v58
	v_accvgpr_write_b32 a16, v24
	;; [unrolled: 1-line block ×3, first 2 shown]
	s_mov_b32 s47, 0
	v_cmp_eq_u32_e64 s[6:7], 64, v18
	v_cmp_ne_u32_e64 s[10:11], 64, v18
	v_accvgpr_write_b32 a2, v19
	v_cmp_ne_u32_sdwa s[48:49], v19, v18 src0_sel:WORD_0 src1_sel:DWORD
	v_accvgpr_write_b32 a0, v18
	s_movk_i32 s74, 0xfc00
	s_movk_i32 s75, 0xff80
	v_cmp_eq_u64_e64 s[12:13], 0, v[58:59]
	v_cmp_ne_u64_e64 s[14:15], 0, v[58:59]
	v_accvgpr_write_b32 a18, v12
	v_accvgpr_write_b32 a21, v5
	;; [unrolled: 1-line block ×4, first 2 shown]
	v_cmp_gt_i32_e64 s[18:19], 1, v4
	v_accvgpr_write_b32 a22, v4
	v_accvgpr_write_b32 a24, v8
	;; [unrolled: 1-line block ×3, first 2 shown]
	s_ashr_i32 s83, s82, 31
	s_add_i32 s84, s72, -2
	s_xor_b64 s[54:55], vcc, -1
	s_movk_i32 s85, 0x270e
	v_mov_b32_e32 v57, 1
	s_movk_i32 s86, 0x108
	s_mov_b32 s87, 0x7f800000
	s_movk_i32 s88, 0x7fff
	s_mov_b32 s89, 0xffff0000
	s_movk_i32 s90, 0xfc80
	s_movk_i32 s91, 0xfd00
	;; [unrolled: 1-line block ×6, first 2 shown]
	v_pk_mov_b32 v[48:49], v[2:3], v[2:3] op_sel:[0,1]
	v_accvgpr_write_b32 a13, v59
	v_accvgpr_write_b32 a17, v25
	;; [unrolled: 1-line block ×4, first 2 shown]
	s_trap 2
	s_branch .LBB10_47
.LBB10_45:                              ;   in Loop: Header=BB10_47 Depth=1
	s_or_b64 exec, exec, s[30:31]
.LBB10_46:                              ;   in Loop: Header=BB10_47 Depth=1
	s_or_b64 exec, exec, s[28:29]
	v_accvgpr_read_b32 v2, a28
	v_accvgpr_read_b32 v3, a29
	v_add_co_u32_e32 v2, vcc, v2, v24
	v_accvgpr_read_b32 v11, a7
	v_addc_co_u32_e32 v3, vcc, v3, v25, vcc
	v_accvgpr_read_b32 v10, a6
	v_cmp_ge_i64_e32 vcc, v[2:3], v[10:11]
	s_or_b64 s[44:45], vcc, s[44:45]
	s_andn2_b64 exec, exec, s[44:45]
	s_cbranch_execz .LBB10_1616
.LBB10_47:                              ; =>This Loop Header: Depth=1
                                        ;     Child Loop BB10_57 Depth 2
                                        ;       Child Loop BB10_65 Depth 3
                                        ;       Child Loop BB10_89 Depth 3
	;; [unrolled: 1-line block ×9, first 2 shown]
                                        ;     Child Loop BB10_199 Depth 2
                                        ;       Child Loop BB10_205 Depth 3
                                        ;       Child Loop BB10_234 Depth 3
	;; [unrolled: 1-line block ×3, first 2 shown]
                                        ;     Child Loop BB10_271 Depth 2
                                        ;       Child Loop BB10_274 Depth 3
                                        ;         Child Loop BB10_282 Depth 4
                                        ;         Child Loop BB10_310 Depth 4
	;; [unrolled: 1-line block ×9, first 2 shown]
                                        ;       Child Loop BB10_552 Depth 3
                                        ;         Child Loop BB10_558 Depth 4
                                        ;         Child Loop BB10_598 Depth 4
	;; [unrolled: 1-line block ×3, first 2 shown]
                                        ;     Child Loop BB10_627 Depth 2
                                        ;       Child Loop BB10_635 Depth 3
                                        ;       Child Loop BB10_663 Depth 3
                                        ;       Child Loop BB10_682 Depth 3
                                        ;       Child Loop BB10_917 Depth 3
                                        ;       Child Loop BB10_986 Depth 3
                                        ;       Child Loop BB10_1026 Depth 3
                                        ;       Child Loop BB10_1063 Depth 3
                                        ;       Child Loop BB10_723 Depth 3
                                        ;       Child Loop BB10_821 Depth 3
                                        ;         Child Loop BB10_854 Depth 4
                                        ;       Child Loop BB10_864 Depth 3
                                        ;       Child Loop BB10_900 Depth 3
                                        ;         Child Loop BB10_905 Depth 4
                                        ;       Child Loop BB10_715 Depth 3
                                        ;       Child Loop BB10_802 Depth 3
                                        ;     Child Loop BB10_1073 Depth 2
                                        ;       Child Loop BB10_1079 Depth 3
                                        ;       Child Loop BB10_1111 Depth 3
                                        ;       Child Loop BB10_1130 Depth 3
                                        ;     Child Loop BB10_1148 Depth 2
                                        ;       Child Loop BB10_1151 Depth 3
                                        ;         Child Loop BB10_1159 Depth 4
                                        ;         Child Loop BB10_1187 Depth 4
	;; [unrolled: 1-line block ×9, first 2 shown]
                                        ;           Child Loop BB10_1247 Depth 5
                                        ;         Child Loop BB10_1256 Depth 4
                                        ;         Child Loop BB10_1261 Depth 4
                                        ;           Child Loop BB10_1262 Depth 5
                                        ;         Child Loop BB10_1234 Depth 4
                                        ;         Child Loop BB10_1313 Depth 4
                                        ;       Child Loop BB10_1331 Depth 3
                                        ;         Child Loop BB10_1337 Depth 4
                                        ;         Child Loop BB10_1369 Depth 4
	;; [unrolled: 1-line block ×3, first 2 shown]
                                        ;     Child Loop BB10_1410 Depth 2
                                        ;       Child Loop BB10_1418 Depth 3
                                        ;       Child Loop BB10_1442 Depth 3
	;; [unrolled: 1-line block ×9, first 2 shown]
                                        ;     Child Loop BB10_1550 Depth 2
                                        ;       Child Loop BB10_1556 Depth 3
                                        ;       Child Loop BB10_1580 Depth 3
	;; [unrolled: 1-line block ×3, first 2 shown]
	v_sub_co_u32_e32 v4, vcc, v10, v2
	v_subb_co_u32_e32 v5, vcc, v11, v3, vcc
	v_accvgpr_write_b32 a29, v3
	v_accvgpr_write_b32 a33, v5
	;; [unrolled: 1-line block ×4, first 2 shown]
	v_cmp_lt_i64_e32 vcc, v[4:5], v[24:25]
	s_and_saveexec_b64 s[28:29], vcc
	s_cbranch_execz .LBB10_53
; %bb.48:                               ;   in Loop: Header=BB10_47 Depth=1
	v_accvgpr_read_b32 v4, a32
	v_mov_b32_e32 v2, s77
	v_accvgpr_read_b32 v5, a33
	v_add_co_u32_e32 v0, vcc, s76, v4
	v_addc_co_u32_e32 v4, vcc, v2, v5, vcc
	v_or_b32_e32 v53, s73, v4
	v_cmp_ne_u64_e32 vcc, 0, v[52:53]
                                        ; implicit-def: $vgpr2_vgpr3
	s_and_saveexec_b64 s[26:27], vcc
	s_xor_b64 s[30:31], exec, s[26:27]
	s_cbranch_execz .LBB10_50
; %bb.49:                               ;   in Loop: Header=BB10_47 Depth=1
	s_add_u32 s26, s72, s73
	s_mov_b32 s34, s73
	s_mov_b32 s35, s73
	s_addc_u32 s27, s73, s73
	s_xor_b64 s[36:37], s[26:27], s[34:35]
	v_cvt_f32_u32_e32 v2, s36
	v_cvt_f32_u32_e32 v3, s37
	s_sub_u32 s26, 0, s36
	s_subb_u32 s27, 0, s37
	v_mac_f32_e32 v2, 0x4f800000, v3
	v_rcp_f32_e32 v2, v2
	v_mul_f32_e32 v2, 0x5f7ffffc, v2
	v_mul_f32_e32 v3, 0x2f800000, v2
	v_trunc_f32_e32 v3, v3
	v_mac_f32_e32 v2, 0xcf800000, v3
	v_cvt_u32_f32_e32 v3, v3
	v_cvt_u32_f32_e32 v2, v2
	v_mul_lo_u32 v5, s26, v3
	v_mul_hi_u32 v9, s26, v2
	v_mul_lo_u32 v8, s27, v2
	v_add_u32_e32 v5, v9, v5
	v_mul_lo_u32 v10, s26, v2
	v_add_u32_e32 v5, v5, v8
	v_mul_lo_u32 v9, v2, v5
	v_mul_hi_u32 v11, v2, v10
	v_mul_hi_u32 v8, v2, v5
	v_add_co_u32_e32 v9, vcc, v11, v9
	v_addc_co_u32_e32 v8, vcc, 0, v8, vcc
	v_mul_hi_u32 v12, v3, v10
	v_mul_lo_u32 v10, v3, v10
	v_add_co_u32_e32 v9, vcc, v9, v10
	v_mul_hi_u32 v11, v3, v5
	v_addc_co_u32_e32 v8, vcc, v8, v12, vcc
	v_addc_co_u32_e32 v9, vcc, 0, v11, vcc
	v_mul_lo_u32 v5, v3, v5
	v_add_co_u32_e32 v5, vcc, v8, v5
	v_addc_co_u32_e32 v8, vcc, 0, v9, vcc
	v_add_co_u32_e32 v2, vcc, v2, v5
	v_addc_co_u32_e32 v3, vcc, v3, v8, vcc
	v_mul_lo_u32 v5, s26, v3
	v_mul_hi_u32 v8, s26, v2
	v_add_u32_e32 v5, v8, v5
	v_mul_lo_u32 v8, s27, v2
	v_add_u32_e32 v5, v5, v8
	v_mul_lo_u32 v9, s26, v2
	v_mul_hi_u32 v10, v3, v9
	v_mul_lo_u32 v11, v3, v9
	v_mul_lo_u32 v13, v2, v5
	v_mul_hi_u32 v9, v2, v9
	v_mul_hi_u32 v12, v2, v5
	v_add_co_u32_e32 v9, vcc, v9, v13
	v_addc_co_u32_e32 v12, vcc, 0, v12, vcc
	v_add_co_u32_e32 v9, vcc, v9, v11
	v_mul_hi_u32 v8, v3, v5
	v_addc_co_u32_e32 v9, vcc, v12, v10, vcc
	v_addc_co_u32_e32 v8, vcc, 0, v8, vcc
	v_mul_lo_u32 v5, v3, v5
	v_add_co_u32_e32 v5, vcc, v9, v5
	v_addc_co_u32_e32 v8, vcc, 0, v8, vcc
	v_add_co_u32_e32 v5, vcc, v2, v5
	v_addc_co_u32_e32 v8, vcc, v3, v8, vcc
	v_ashrrev_i32_e32 v9, 31, v4
	v_add_co_u32_e32 v0, vcc, v0, v9
	v_addc_co_u32_e32 v2, vcc, v4, v9, vcc
	v_xor_b32_e32 v0, v0, v9
	v_xor_b32_e32 v10, v2, v9
	v_mad_u64_u32 v[2:3], s[26:27], v0, v8, 0
	v_mul_hi_u32 v4, v0, v5
	v_add_co_u32_e32 v11, vcc, v4, v2
	v_addc_co_u32_e32 v12, vcc, 0, v3, vcc
	v_mad_u64_u32 v[4:5], s[26:27], v10, v5, 0
	v_add_co_u32_e32 v4, vcc, v11, v4
	v_mad_u64_u32 v[2:3], s[26:27], v10, v8, 0
	v_addc_co_u32_e32 v4, vcc, v12, v5, vcc
	v_addc_co_u32_e32 v3, vcc, 0, v3, vcc
	v_add_co_u32_e32 v4, vcc, v4, v2
	v_addc_co_u32_e32 v5, vcc, 0, v3, vcc
	v_mul_lo_u32 v8, s37, v4
	v_mul_lo_u32 v11, s36, v5
	v_mad_u64_u32 v[2:3], s[26:27], s36, v4, 0
	v_add3_u32 v3, v3, v11, v8
	v_sub_u32_e32 v8, v10, v3
	v_mov_b32_e32 v11, s37
	v_sub_co_u32_e32 v0, vcc, v0, v2
	v_subb_co_u32_e64 v2, s[26:27], v8, v11, vcc
	v_subrev_co_u32_e64 v8, s[26:27], s36, v0
	v_subbrev_co_u32_e64 v2, s[26:27], 0, v2, s[26:27]
	v_cmp_le_u32_e64 s[26:27], s37, v2
	v_cndmask_b32_e64 v11, 0, -1, s[26:27]
	v_cmp_le_u32_e64 s[26:27], s36, v8
	v_cndmask_b32_e64 v8, 0, -1, s[26:27]
	v_cmp_eq_u32_e64 s[26:27], s37, v2
	v_cndmask_b32_e64 v2, v11, v8, s[26:27]
	v_add_co_u32_e64 v8, s[26:27], 2, v4
	v_subb_co_u32_e32 v3, vcc, v10, v3, vcc
	v_addc_co_u32_e64 v11, s[26:27], 0, v5, s[26:27]
	v_cmp_le_u32_e32 vcc, s37, v3
	v_add_co_u32_e64 v12, s[26:27], 1, v4
	v_cndmask_b32_e64 v10, 0, -1, vcc
	v_cmp_le_u32_e32 vcc, s36, v0
	v_addc_co_u32_e64 v13, s[26:27], 0, v5, s[26:27]
	v_cndmask_b32_e64 v0, 0, -1, vcc
	v_cmp_eq_u32_e32 vcc, s37, v3
	v_cmp_ne_u32_e64 s[26:27], 0, v2
	v_cndmask_b32_e32 v0, v10, v0, vcc
	v_cndmask_b32_e64 v2, v13, v11, s[26:27]
	v_cmp_ne_u32_e32 vcc, 0, v0
	v_cndmask_b32_e32 v0, v5, v2, vcc
	v_cndmask_b32_e64 v2, v12, v8, s[26:27]
	v_cndmask_b32_e32 v2, v4, v2, vcc
	v_xor_b32_e32 v4, s34, v9
	v_xor_b32_e32 v3, s35, v9
	;; [unrolled: 1-line block ×4, first 2 shown]
	v_sub_co_u32_e32 v2, vcc, v2, v4
	v_subb_co_u32_e32 v3, vcc, v0, v3, vcc
                                        ; implicit-def: $vgpr0
.LBB10_50:                              ;   in Loop: Header=BB10_47 Depth=1
	s_andn2_saveexec_b64 s[26:27], s[30:31]
	s_cbranch_execz .LBB10_52
; %bb.51:                               ;   in Loop: Header=BB10_47 Depth=1
	v_cvt_f32_u32_e32 v2, s72
	s_sub_i32 vcc_lo, 0, s72
	v_rcp_iflag_f32_e32 v2, v2
	v_mul_f32_e32 v2, 0x4f7ffffe, v2
	v_cvt_u32_f32_e32 v2, v2
	v_mul_lo_u32 v3, vcc_lo, v2
	v_mul_hi_u32 v3, v2, v3
	v_add_u32_e32 v2, v2, v3
	v_mul_hi_u32 v2, v0, v2
	v_mul_lo_u32 v3, v2, s72
	v_sub_u32_e32 v0, v0, v3
	v_add_u32_e32 v4, 1, v2
	v_subrev_u32_e32 v3, s72, v0
	v_cmp_le_u32_e32 vcc, s72, v0
	v_cndmask_b32_e32 v0, v0, v3, vcc
	v_cndmask_b32_e32 v2, v2, v4, vcc
	v_add_u32_e32 v3, 1, v2
	v_cmp_le_u32_e32 vcc, s72, v0
	v_cndmask_b32_e32 v2, v2, v3, vcc
	v_mov_b32_e32 v3, v52
.LBB10_52:                              ;   in Loop: Header=BB10_47 Depth=1
	s_or_b64 exec, exec, s[26:27]
	v_add_co_u32_e32 v0, vcc, 7, v2
	v_addc_co_u32_e32 v3, vcc, 0, v3, vcc
	v_and_b32_e32 v2, -8, v0
	v_accvgpr_write_b32 a31, v3
	v_accvgpr_write_b32 a30, v2
.LBB10_53:                              ;   in Loop: Header=BB10_47 Depth=1
	s_or_b64 exec, exec, s[28:29]
	v_accvgpr_read_b32 v10, a30
	v_accvgpr_read_b32 v11, a31
	v_mul_lo_u32 v0, v11, s79
	v_mul_lo_u32 v2, v10, s80
	v_mad_u64_u32 v[4:5], s[26:27], v10, s79, 0
	v_add3_u32 v5, v5, v2, v0
	v_accvgpr_read_b32 v2, a4
	v_accvgpr_read_b32 v8, a28
	;; [unrolled: 1-line block ×4, first 2 shown]
	v_add_co_u32_e32 v2, vcc, v8, v2
	v_addc_co_u32_e32 v3, vcc, v9, v3, vcc
	v_accvgpr_write_b32 a35, v3
	v_accvgpr_write_b32 a34, v2
	v_accvgpr_read_b32 v2, a32
	v_accvgpr_read_b32 v3, a33
	v_sub_co_u32_e32 v2, vcc, v2, v4
	v_subb_co_u32_e32 v3, vcc, v3, v5, vcc
	v_cmp_lt_i64_e32 vcc, v[10:11], v[2:3]
	v_cndmask_b32_e32 v0, v2, v10, vcc
	v_max_i32_e32 v16, 0, v0
	v_add_u32_e32 v2, 31, v16
	v_lshrrev_b32_e32 v2, 1, v2
	v_and_b32_e32 v2, 0x3ffffff0, v2
	v_cmp_lt_i32_e32 vcc, 0, v0
	v_max_i32_e32 v2, s81, v2
	s_and_b64 s[26:27], s[54:55], vcc
	v_mov_b32_e32 v0, 0
	v_mov_b32_e32 v8, 0
	s_and_saveexec_b64 s[28:29], s[26:27]
	s_cbranch_execz .LBB10_195
; %bb.54:                               ;   in Loop: Header=BB10_47 Depth=1
	s_mov_b32 s46, 1
	s_mov_b64 s[34:35], -1
	s_mov_b64 s[30:31], 0
	v_mov_b32_e32 v8, 0
	v_lshlrev_b64 v[10:11], 1, v[4:5]
	s_branch .LBB10_57
.LBB10_55:                              ;   in Loop: Header=BB10_57 Depth=2
	s_or_b64 exec, exec, vcc
	v_add_co_u32_e32 v32, vcc, 2, v32
	v_addc_co_u32_e32 v33, vcc, 0, v33, vcc
	flat_store_dwordx2 v[34:35], v[32:33]
.LBB10_56:                              ;   in Loop: Header=BB10_57 Depth=2
	s_or_b64 exec, exec, s[26:27]
	v_add_u32_e32 v8, v2, v8
	v_cmp_ge_i32_e32 vcc, v8, v16
	s_xor_b64 s[26:27], s[34:35], -1
	s_or_b64 s[26:27], s[26:27], vcc
	s_and_b64 s[26:27], exec, s[26:27]
	s_or_b64 s[30:31], s[26:27], s[30:31]
	s_mov_b64 s[34:35], 0
	v_mov_b32_e32 v0, s46
	s_mov_b32 s46, 2
	s_andn2_b64 exec, exec, s[30:31]
	s_cbranch_execz .LBB10_194
.LBB10_57:                              ;   Parent Loop BB10_47 Depth=1
                                        ; =>  This Loop Header: Depth=2
                                        ;       Child Loop BB10_65 Depth 3
                                        ;       Child Loop BB10_89 Depth 3
                                        ;       Child Loop BB10_108 Depth 3
                                        ;       Child Loop BB10_143 Depth 3
                                        ;       Child Loop BB10_148 Depth 3
                                        ;       Child Loop BB10_128 Depth 3
                                        ;       Child Loop BB10_133 Depth 3
                                        ;       Child Loop BB10_162 Depth 3
                                        ;       Child Loop BB10_181 Depth 3
	s_and_saveexec_b64 s[26:27], s[4:5]
	s_cbranch_execz .LBB10_59
; %bb.58:                               ;   in Loop: Header=BB10_57 Depth=2
	s_trap 2
	ds_read_b64 v[4:5], v0
	v_accvgpr_read_b32 v12, a34
	v_accvgpr_read_b32 v13, a35
	v_lshlrev_b64 v[12:13], 1, v[12:13]
	v_ashrrev_i32_e32 v9, 31, v8
	s_waitcnt lgkmcnt(0)
	v_add_co_u32_e32 v0, vcc, v4, v12
	v_addc_co_u32_e32 v3, vcc, v5, v13, vcc
	v_add_co_u32_e32 v0, vcc, v0, v10
	v_addc_co_u32_e32 v3, vcc, v3, v11, vcc
	v_lshlrev_b64 v[4:5], 1, v[8:9]
	v_add_co_u32_e32 v4, vcc, v0, v4
	v_addc_co_u32_e32 v5, vcc, v3, v5, vcc
	v_mov_b32_e32 v53, v52
	ds_write_b64 v0, v[4:5]
	ds_write_b64 v0, v[52:53]
.LBB10_59:                              ;   in Loop: Header=BB10_57 Depth=2
	s_or_b64 exec, exec, s[26:27]
	v_and_b32_e32 v0, 8, v55
	v_cmp_ne_u32_e32 vcc, 0, v0
	s_mov_b64 s[36:37], -1
	s_and_saveexec_b64 s[26:27], vcc
	s_cbranch_execz .LBB10_71
; %bb.60:                               ;   in Loop: Header=BB10_57 Depth=2
	v_add_co_u32_e32 v12, vcc, 8, v50
	v_addc_co_u32_e32 v13, vcc, 0, v51, vcc
	v_add_co_u32_e32 v4, vcc, 2, v32
	v_addc_co_u32_e32 v5, vcc, 0, v33, vcc
	v_cmp_lt_u64_e32 vcc, v[12:13], v[4:5]
	v_mov_b32_e32 v0, 1
	s_and_saveexec_b64 s[36:37], vcc
	s_cbranch_execz .LBB10_70
; %bb.61:                               ;   in Loop: Header=BB10_57 Depth=2
	s_mov_b64 s[38:39], 0
	v_mov_b32_e32 v0, 0
                                        ; implicit-def: $sgpr56_sgpr57
	s_branch .LBB10_65
.LBB10_62:                              ;   in Loop: Header=BB10_65 Depth=3
	s_or_b64 exec, exec, s[64:65]
	v_mov_b32_e32 v3, 0
	s_orn2_b64 s[62:63], s[62:63], exec
.LBB10_63:                              ;   in Loop: Header=BB10_65 Depth=3
	s_or_b64 exec, exec, s[60:61]
	s_andn2_b64 vcc, s[56:57], exec
	s_and_b64 s[56:57], s[62:63], exec
	s_or_b64 s[56:57], vcc, s[56:57]
	v_mov_b32_e32 v0, v3
.LBB10_64:                              ;   in Loop: Header=BB10_65 Depth=3
	s_or_b64 exec, exec, s[58:59]
	s_waitcnt vmcnt(0) lgkmcnt(0)
	v_add_co_u32_e32 v12, vcc, 8, v50
	v_addc_co_u32_e32 v13, vcc, 0, v51, vcc
	v_cmp_ge_u64_e32 vcc, v[12:13], v[4:5]
	s_xor_b64 s[58:59], s[56:57], -1
	s_or_b64 vcc, s[58:59], vcc
	s_and_b64 vcc, exec, vcc
	s_or_b64 s[38:39], vcc, s[38:39]
	s_andn2_b64 exec, exec, s[38:39]
	s_cbranch_execz .LBB10_69
.LBB10_65:                              ;   Parent Loop BB10_47 Depth=1
                                        ;     Parent Loop BB10_57 Depth=2
                                        ; =>    This Inner Loop Header: Depth=3
	s_sleep 1
	flat_load_dwordx2 v[50:51], v[34:35] glc
	v_and_b32_e32 v3, 64, v55
	v_cmp_eq_u32_e32 vcc, 0, v3
	s_andn2_b64 s[56:57], s[56:57], exec
	s_and_saveexec_b64 s[58:59], vcc
	s_cbranch_execz .LBB10_64
; %bb.66:                               ;   in Loop: Header=BB10_65 Depth=3
	v_add_u32_e32 v3, 1, v0
	v_cmp_lt_i32_e32 vcc, s85, v0
	s_mov_b64 s[62:63], -1
	s_and_saveexec_b64 s[60:61], vcc
	s_cbranch_execz .LBB10_63
; %bb.67:                               ;   in Loop: Header=BB10_65 Depth=3
	s_trap 2
	ds_read_b64 v[12:13], v0
	s_waitcnt vmcnt(0) lgkmcnt(0)
	flat_load_dword v0, v[12:13] glc
	s_waitcnt vmcnt(0) lgkmcnt(0)
	buffer_invl2
	buffer_wbinvl1_vol
	v_cmp_ne_u32_e32 vcc, 0, v0
	s_and_saveexec_b64 s[64:65], vcc
	s_cbranch_execz .LBB10_62
; %bb.68:                               ;   in Loop: Header=BB10_65 Depth=3
	v_or_b32_e32 v55, 64, v55
	s_xor_b64 s[62:63], exec, -1
	ds_write_b32 v0, v0
	s_trap 2
	s_branch .LBB10_62
.LBB10_69:                              ;   in Loop: Header=BB10_57 Depth=2
	s_or_b64 exec, exec, s[38:39]
	v_and_b32_e32 v0, 8, v55
.LBB10_70:                              ;   in Loop: Header=BB10_57 Depth=2
	s_or_b64 exec, exec, s[36:37]
	v_cmp_eq_u32_e32 vcc, 0, v0
	s_orn2_b64 s[36:37], vcc, exec
	;;#ASMSTART
	s_wakeup
	;;#ASMEND
.LBB10_71:                              ;   in Loop: Header=BB10_57 Depth=2
	s_or_b64 exec, exec, s[26:27]
	v_sub_u32_e32 v0, v16, v8
	s_xor_b64 s[26:27], s[36:37], -1
	v_min_i32_e32 v2, v2, v0
	s_and_saveexec_b64 s[36:37], s[26:27]
	s_cbranch_execz .LBB10_81
; %bb.72:                               ;   in Loop: Header=BB10_57 Depth=2
	v_and_b32_e32 v0, 0x100, v55
	v_cmp_ne_u32_e32 vcc, 0, v0
	v_and_b32_e32 v0, 7, v32
	s_mov_b64 s[26:27], -1
                                        ; implicit-def: $vgpr4_vgpr5
	s_and_saveexec_b64 s[38:39], vcc
	s_cbranch_execz .LBB10_76
; %bb.73:                               ;   in Loop: Header=BB10_57 Depth=2
	v_mad_u64_u32 v[12:13], s[26:27], v0, 24, v[6:7]
	flat_load_dword v9, v[12:13]
	v_ashrrev_i32_e32 v3, 31, v2
	v_lshlrev_b64 v[4:5], 1, v[2:3]
	flat_store_dwordx2 v[12:13], v[4:5] offset:8
                                        ; implicit-def: $vgpr4_vgpr5
	s_waitcnt vmcnt(0) lgkmcnt(0)
	v_cmp_ne_u32_e32 vcc, 1, v9
	v_cmp_eq_u32_e64 s[26:27], 1, v9
	s_and_saveexec_b64 s[56:57], s[26:27]
	s_cbranch_execz .LBB10_75
; %bb.74:                               ;   in Loop: Header=BB10_57 Depth=2
	flat_load_dword v4, v[12:13] offset:4 glc
	s_waitcnt vmcnt(0) lgkmcnt(0)
	v_ashrrev_i32_e32 v5, 31, v4
	v_lshrrev_b64 v[4:5], 1, v[4:5]
.LBB10_75:                              ;   in Loop: Header=BB10_57 Depth=2
	s_or_b64 exec, exec, s[56:57]
	s_orn2_b64 s[26:27], vcc, exec
.LBB10_76:                              ;   in Loop: Header=BB10_57 Depth=2
	s_or_b64 exec, exec, s[38:39]
	s_and_saveexec_b64 vcc, s[26:27]
; %bb.77:                               ;   in Loop: Header=BB10_57 Depth=2
	v_mad_i64_i32 v[4:5], s[26:27], v0, v30, 0
; %bb.78:                               ;   in Loop: Header=BB10_57 Depth=2
	s_or_b64 exec, exec, vcc
	v_lshlrev_b64 v[4:5], 1, v[4:5]
	v_add_co_u32_e32 v4, vcc, v36, v4
	v_addc_co_u32_e32 v5, vcc, v37, v5, vcc
	ds_write_b64 v0, v[4:5] offset:784
	v_and_b32_e32 v0, 0x2000, v55
	v_cmp_ne_u32_e32 vcc, 0, v0
	s_and_saveexec_b64 s[26:27], vcc
	s_cbranch_execz .LBB10_80
; %bb.79:                               ;   in Loop: Header=BB10_57 Depth=2
	ds_read_b64 v[4:5], v0 offset:584
	s_waitcnt lgkmcnt(0)
	v_add_co_u32_e32 v4, vcc, 1, v4
	v_addc_co_u32_e32 v5, vcc, 0, v5, vcc
	ds_write_b64 v0, v[4:5] offset:584
.LBB10_80:                              ;   in Loop: Header=BB10_57 Depth=2
	s_or_b64 exec, exec, s[26:27]
	v_add_co_u32_e32 v32, vcc, 2, v32
	v_addc_co_u32_e32 v33, vcc, 0, v33, vcc
.LBB10_81:                              ;   in Loop: Header=BB10_57 Depth=2
	s_or_b64 exec, exec, s[36:37]
	s_and_saveexec_b64 s[26:27], s[10:11]
	s_cbranch_execz .LBB10_100
; %bb.82:                               ;   in Loop: Header=BB10_57 Depth=2
	s_and_saveexec_b64 vcc, s[48:49]
	s_xor_b64 s[36:37], exec, vcc
	s_cbranch_execz .LBB10_97
; %bb.83:                               ;   in Loop: Header=BB10_57 Depth=2
	s_and_saveexec_b64 s[38:39], s[16:17]
	s_cbranch_execz .LBB10_96
; %bb.84:                               ;   in Loop: Header=BB10_57 Depth=2
	s_mov_b64 s[58:59], exec
	v_mbcnt_lo_u32_b32 v0, s58, 0
	v_mbcnt_hi_u32_b32 v0, s59, v0
	v_cmp_eq_u32_e32 vcc, 0, v0
	s_waitcnt vmcnt(0) lgkmcnt(0)
	buffer_wbinvl1_vol
	s_and_saveexec_b64 s[56:57], vcc
	s_cbranch_execz .LBB10_86
; %bb.85:                               ;   in Loop: Header=BB10_57 Depth=2
	s_bcnt1_i32_b64 vcc_lo, s[58:59]
	v_mov_b32_e32 v4, vcc_lo
	v_mov_b32_e32 v5, v52
	ds_add_u64 v0, v[4:5]
	s_trap 2
.LBB10_86:                              ;   in Loop: Header=BB10_57 Depth=2
	s_or_b64 exec, exec, s[56:57]
	s_trap 2
	ds_read_b64 v[4:5], v0
	v_add_co_u32_e32 v48, vcc, v48, v54
	v_addc_co_u32_e32 v49, vcc, 0, v49, vcc
	s_waitcnt lgkmcnt(0)
	v_cmp_lt_u64_e32 vcc, v[4:5], v[48:49]
	s_and_saveexec_b64 s[56:57], vcc
	s_cbranch_execz .LBB10_95
; %bb.87:                               ;   in Loop: Header=BB10_57 Depth=2
	s_mov_b32 s68, 0
	s_mov_b64 s[58:59], 0
                                        ; implicit-def: $sgpr60_sgpr61
                                        ; implicit-def: $sgpr62_sgpr63
	s_branch .LBB10_89
.LBB10_88:                              ;   in Loop: Header=BB10_89 Depth=3
	s_or_b64 exec, exec, s[66:67]
	s_and_b64 vcc, exec, vcc
	s_or_b64 s[58:59], vcc, s[58:59]
	s_andn2_b64 vcc, s[60:61], exec
	s_and_b64 s[60:61], s[62:63], exec
	s_or_b64 s[60:61], vcc, s[60:61]
	s_andn2_b64 exec, exec, s[58:59]
	s_cbranch_execz .LBB10_93
.LBB10_89:                              ;   Parent Loop BB10_47 Depth=1
                                        ;     Parent Loop BB10_57 Depth=2
                                        ; =>    This Inner Loop Header: Depth=3
	s_add_i32 s68, s68, 1
	s_cmpk_lg_i32 s68, 0x2710
	s_cselect_b64 s[64:65], -1, 0
	s_and_b64 vcc, exec, s[64:65]
                                        ; implicit-def: $sgpr66_sgpr67
	s_cbranch_vccnz .LBB10_91
; %bb.90:                               ;   in Loop: Header=BB10_89 Depth=3
	s_trap 2
	ds_read_b64 v[4:5], v0
	s_andn2_b64 s[64:65], s[64:65], exec
	s_mov_b32 s68, 0
	s_mov_b64 s[66:67], -1
	s_waitcnt lgkmcnt(0)
	flat_load_dword v0, v[4:5] glc
	s_waitcnt vmcnt(0) lgkmcnt(0)
	buffer_invl2
	buffer_wbinvl1_vol
	v_cmp_eq_u32_e32 vcc, 0, v0
	s_and_b64 vcc, vcc, exec
	s_or_b64 s[64:65], s[64:65], vcc
.LBB10_91:                              ;   in Loop: Header=BB10_89 Depth=3
	s_andn2_b64 s[62:63], s[62:63], exec
	s_and_b64 s[66:67], s[66:67], exec
	s_mov_b64 vcc, -1
	s_or_b64 s[62:63], s[62:63], s[66:67]
	s_and_saveexec_b64 s[66:67], s[64:65]
	s_cbranch_execz .LBB10_88
; %bb.92:                               ;   in Loop: Header=BB10_89 Depth=3
	s_sleep 1
	s_trap 2
	ds_read_b64 v[4:5], v0
	s_andn2_b64 s[62:63], s[62:63], exec
	s_waitcnt lgkmcnt(0)
	v_cmp_ge_u64_e32 vcc, v[4:5], v[48:49]
	s_orn2_b64 vcc, vcc, exec
	s_branch .LBB10_88
.LBB10_93:                              ;   in Loop: Header=BB10_57 Depth=2
	s_or_b64 exec, exec, s[58:59]
	s_and_saveexec_b64 vcc, s[60:61]
	s_xor_b64 vcc, exec, vcc
	s_cbranch_execz .LBB10_95
; %bb.94:                               ;   in Loop: Header=BB10_57 Depth=2
	ds_write_b32 v0, v57
	s_trap 2
.LBB10_95:                              ;   in Loop: Header=BB10_57 Depth=2
	s_or_b64 exec, exec, s[56:57]
	;;#ASMSTART
	s_wakeup
	;;#ASMEND
.LBB10_96:                              ;   in Loop: Header=BB10_57 Depth=2
	s_or_b64 exec, exec, s[38:39]
.LBB10_97:                              ;   in Loop: Header=BB10_57 Depth=2
	s_andn2_saveexec_b64 vcc, s[36:37]
	s_cbranch_execz .LBB10_99
; %bb.98:                               ;   in Loop: Header=BB10_57 Depth=2
	s_waitcnt vmcnt(0) lgkmcnt(0)
	buffer_wbinvl1_vol
	s_barrier
.LBB10_99:                              ;   in Loop: Header=BB10_57 Depth=2
	s_or_b64 exec, exec, vcc
.LBB10_100:                             ;   in Loop: Header=BB10_57 Depth=2
	s_or_b64 exec, exec, s[26:27]
	s_trap 2
	ds_read_b32 v0, v0
	v_and_b32_e32 v3, 0x4000, v55
	v_cmp_ne_u32_e32 vcc, 0, v3
	s_xor_b64 s[26:27], s[6:7], -1
	s_and_b64 vcc, s[26:27], vcc
	s_and_saveexec_b64 s[26:27], vcc
	s_cbranch_execz .LBB10_119
; %bb.101:                              ;   in Loop: Header=BB10_57 Depth=2
	s_and_saveexec_b64 vcc, s[48:49]
	s_xor_b64 s[36:37], exec, vcc
	s_cbranch_execz .LBB10_116
; %bb.102:                              ;   in Loop: Header=BB10_57 Depth=2
	s_and_saveexec_b64 s[38:39], s[16:17]
	s_cbranch_execz .LBB10_115
; %bb.103:                              ;   in Loop: Header=BB10_57 Depth=2
	s_mov_b64 s[58:59], exec
	v_mbcnt_lo_u32_b32 v3, s58, 0
	v_mbcnt_hi_u32_b32 v3, s59, v3
	v_cmp_eq_u32_e32 vcc, 0, v3
	s_waitcnt vmcnt(0) lgkmcnt(0)
	buffer_wbinvl1_vol
	s_and_saveexec_b64 s[56:57], vcc
	s_cbranch_execz .LBB10_105
; %bb.104:                              ;   in Loop: Header=BB10_57 Depth=2
	s_bcnt1_i32_b64 vcc_lo, s[58:59]
	v_mov_b32_e32 v4, vcc_lo
	v_mov_b32_e32 v5, v52
	ds_add_u64 v0, v[4:5]
	s_trap 2
.LBB10_105:                             ;   in Loop: Header=BB10_57 Depth=2
	s_or_b64 exec, exec, s[56:57]
	s_trap 2
	ds_read_b64 v[4:5], v0
	v_add_co_u32_e32 v48, vcc, v48, v54
	v_addc_co_u32_e32 v49, vcc, 0, v49, vcc
	s_waitcnt lgkmcnt(0)
	v_cmp_lt_u64_e32 vcc, v[4:5], v[48:49]
	s_and_saveexec_b64 s[56:57], vcc
	s_cbranch_execz .LBB10_114
; %bb.106:                              ;   in Loop: Header=BB10_57 Depth=2
	s_mov_b32 s68, 0
	s_mov_b64 s[58:59], 0
                                        ; implicit-def: $sgpr60_sgpr61
                                        ; implicit-def: $sgpr62_sgpr63
	s_branch .LBB10_108
.LBB10_107:                             ;   in Loop: Header=BB10_108 Depth=3
	s_or_b64 exec, exec, s[66:67]
	s_and_b64 vcc, exec, vcc
	s_or_b64 s[58:59], vcc, s[58:59]
	s_andn2_b64 vcc, s[60:61], exec
	s_and_b64 s[60:61], s[62:63], exec
	s_or_b64 s[60:61], vcc, s[60:61]
	s_andn2_b64 exec, exec, s[58:59]
	s_cbranch_execz .LBB10_112
.LBB10_108:                             ;   Parent Loop BB10_47 Depth=1
                                        ;     Parent Loop BB10_57 Depth=2
                                        ; =>    This Inner Loop Header: Depth=3
	s_add_i32 s68, s68, 1
	s_cmpk_lg_i32 s68, 0x2710
	s_cselect_b64 s[64:65], -1, 0
	s_and_b64 vcc, exec, s[64:65]
                                        ; implicit-def: $sgpr66_sgpr67
	s_cbranch_vccnz .LBB10_110
; %bb.109:                              ;   in Loop: Header=BB10_108 Depth=3
	s_trap 2
	ds_read_b64 v[4:5], v0
	s_andn2_b64 s[64:65], s[64:65], exec
	s_mov_b32 s68, 0
	s_mov_b64 s[66:67], -1
	s_waitcnt lgkmcnt(0)
	flat_load_dword v3, v[4:5] glc
	s_waitcnt vmcnt(0) lgkmcnt(0)
	buffer_invl2
	buffer_wbinvl1_vol
	v_cmp_eq_u32_e32 vcc, 0, v3
	s_and_b64 vcc, vcc, exec
	s_or_b64 s[64:65], s[64:65], vcc
.LBB10_110:                             ;   in Loop: Header=BB10_108 Depth=3
	s_andn2_b64 s[62:63], s[62:63], exec
	s_and_b64 s[66:67], s[66:67], exec
	s_mov_b64 vcc, -1
	s_or_b64 s[62:63], s[62:63], s[66:67]
	s_and_saveexec_b64 s[66:67], s[64:65]
	s_cbranch_execz .LBB10_107
; %bb.111:                              ;   in Loop: Header=BB10_108 Depth=3
	s_sleep 1
	s_trap 2
	ds_read_b64 v[4:5], v0
	s_andn2_b64 s[62:63], s[62:63], exec
	s_waitcnt lgkmcnt(0)
	v_cmp_ge_u64_e32 vcc, v[4:5], v[48:49]
	s_orn2_b64 vcc, vcc, exec
	s_branch .LBB10_107
.LBB10_112:                             ;   in Loop: Header=BB10_57 Depth=2
	s_or_b64 exec, exec, s[58:59]
	s_and_saveexec_b64 vcc, s[60:61]
	s_xor_b64 vcc, exec, vcc
	s_cbranch_execz .LBB10_114
; %bb.113:                              ;   in Loop: Header=BB10_57 Depth=2
	ds_write_b32 v0, v57
	s_trap 2
.LBB10_114:                             ;   in Loop: Header=BB10_57 Depth=2
	s_or_b64 exec, exec, s[56:57]
	;;#ASMSTART
	s_wakeup
	;;#ASMEND
.LBB10_115:                             ;   in Loop: Header=BB10_57 Depth=2
	s_or_b64 exec, exec, s[38:39]
.LBB10_116:                             ;   in Loop: Header=BB10_57 Depth=2
	s_andn2_saveexec_b64 vcc, s[36:37]
	s_cbranch_execz .LBB10_118
; %bb.117:                              ;   in Loop: Header=BB10_57 Depth=2
	s_waitcnt vmcnt(0) lgkmcnt(0)
	buffer_wbinvl1_vol
	s_barrier
.LBB10_118:                             ;   in Loop: Header=BB10_57 Depth=2
	s_or_b64 exec, exec, vcc
.LBB10_119:                             ;   in Loop: Header=BB10_57 Depth=2
	s_or_b64 exec, exec, s[26:27]
	s_trap 2
	s_waitcnt lgkmcnt(0)
	ds_read_b64 v[4:5], v0
	v_mov_b32_e32 v9, 0
	s_waitcnt lgkmcnt(0)
	v_readfirstlane_b32 s26, v4
	v_readfirstlane_b32 s27, v5
	s_cmp_eq_u64 s[26:27], 0
	s_cselect_b64 s[26:27], -1, 0
	s_or_b64 s[26:27], s[26:27], s[26:27]
	s_and_b64 vcc, exec, s[26:27]
	s_cbranch_vccnz .LBB10_140
; %bb.120:                              ;   in Loop: Header=BB10_57 Depth=2
	s_mov_b64 s[26:27], -1
	s_and_saveexec_b64 s[36:37], s[18:19]
	s_cbranch_execz .LBB10_122
; %bb.121:                              ;   in Loop: Header=BB10_57 Depth=2
	ds_read_b32 v3, v0 offset:720
	s_waitcnt lgkmcnt(0)
	v_and_b32_e32 v3, 15, v3
	v_cmp_eq_u32_e32 vcc, 0, v3
	s_orn2_b64 s[26:27], vcc, exec
.LBB10_122:                             ;   in Loop: Header=BB10_57 Depth=2
	s_or_b64 exec, exec, s[36:37]
	s_and_saveexec_b64 s[36:37], s[20:21]
	s_cbranch_execz .LBB10_124
; %bb.123:                              ;   in Loop: Header=BB10_57 Depth=2
	ds_read_b32 v3, v0 offset:784
	s_waitcnt lgkmcnt(0)
	v_and_b32_e32 v3, 15, v3
	v_cmp_eq_u32_e32 vcc, 0, v3
	s_and_b64 vcc, s[26:27], vcc
	s_andn2_b64 s[26:27], s[26:27], exec
	s_and_b64 vcc, vcc, exec
	s_or_b64 s[26:27], s[26:27], vcc
.LBB10_124:                             ;   in Loop: Header=BB10_57 Depth=2
	s_or_b64 exec, exec, s[36:37]
	v_cmp_eq_u32_e32 vcc, 0, v0
	s_xor_b64 s[26:27], s[26:27], -1
	v_cndmask_b32_e32 v9, 0, v2, vcc
	v_cndmask_b32_e64 v3, 0, 1, s[26:27]
	v_mov_b32_e32 v13, 0
	v_lshlrev_b32_e32 v0, 1, v9
	s_mov_b64 s[38:39], -1
	;;#ASMSTART
	;;#ASMEND
	v_cmp_ne_u32_e32 vcc, 0, v3
	s_cbranch_vccz .LBB10_141
; %bb.125:                              ;   in Loop: Header=BB10_57 Depth=2
	v_mov_b32_e32 v17, v47
	v_mov_b32_e32 v3, v60
	s_and_saveexec_b64 s[26:27], s[38:39]
	s_cbranch_execz .LBB10_154
.LBB10_126:                             ;   in Loop: Header=BB10_57 Depth=2
	v_ashrrev_i32_e32 v4, 31, v0
	v_lshrrev_b32_e32 v4, 21, v4
	v_add_u32_e32 v4, v0, v4
	v_ashrrev_i32_e32 v20, 11, v4
	v_sub_u32_e32 v18, v20, v3
	v_ashrrev_i32_e32 v4, 31, v17
	v_cmp_lt_i32_e32 vcc, 0, v18
	v_lshrrev_b32_e32 v19, 26, v4
	s_and_saveexec_b64 s[36:37], vcc
	s_cbranch_execz .LBB10_130
; %bb.127:                              ;   in Loop: Header=BB10_57 Depth=2
	s_trap 2
	ds_read_b64 v[4:5], v0
	v_add_u32_e32 v12, v17, v19
	v_and_b32_e32 v12, 0x7fffffc0, v12
	v_sub_u32_e32 v12, v17, v12
	v_lshlrev_b32_e32 v12, 1, v12
	v_lshlrev_b32_e32 v3, 11, v3
	v_add3_u32 v12, v12, v13, v3
	v_ashrrev_i32_e32 v3, 31, v12
	s_mov_b64 s[38:39], 0
	s_waitcnt lgkmcnt(0)
	v_pk_mov_b32 v[14:15], v[4:5], v[4:5] op_sel:[0,1]
.LBB10_128:                             ;   Parent Loop BB10_47 Depth=1
                                        ;     Parent Loop BB10_57 Depth=2
                                        ; =>    This Inner Loop Header: Depth=3
	v_add_co_u32_e32 v22, vcc, v12, v14
	v_addc_co_u32_e32 v23, vcc, v3, v15, vcc
	flat_load_ushort v21, v[22:23] glc slc
	flat_load_ushort v24, v[22:23] offset:128 glc slc
	flat_load_ushort v25, v[22:23] offset:256 glc slc
	;; [unrolled: 1-line block ×15, first 2 shown]
	v_add_co_u32_e32 v22, vcc, v12, v4
	v_addc_co_u32_e32 v23, vcc, v3, v5, vcc
	v_add_co_u32_e32 v14, vcc, v14, v28
	v_addc_co_u32_e32 v15, vcc, v15, v29, vcc
	v_add_co_u32_e32 v4, vcc, v4, v28
	v_sub_u32_e32 v18, v18, v54
	v_addc_co_u32_e32 v5, vcc, v5, v29, vcc
	v_cmp_gt_i32_e32 vcc, 1, v18
	s_or_b64 s[38:39], vcc, s[38:39]
	s_waitcnt vmcnt(0) lgkmcnt(0)
	flat_store_short v[22:23], v21 glc slc
	flat_store_short v[22:23], v24 offset:128 glc slc
	flat_store_short v[22:23], v25 offset:256 glc slc
	;; [unrolled: 1-line block ×15, first 2 shown]
	s_andn2_b64 exec, exec, s[38:39]
	s_cbranch_execnz .LBB10_128
; %bb.129:                              ;   in Loop: Header=BB10_57 Depth=2
	s_or_b64 exec, exec, s[38:39]
	v_accvgpr_read_b32 v59, a13
	v_accvgpr_read_b32 v58, a12
	;; [unrolled: 1-line block ×4, first 2 shown]
	v_mov_b32_e32 v57, 1
.LBB10_130:                             ;   in Loop: Header=BB10_57 Depth=2
	s_or_b64 exec, exec, s[36:37]
	v_lshlrev_b32_e32 v3, 11, v20
	v_cmp_ne_u32_e32 vcc, v0, v3
	s_and_saveexec_b64 s[36:37], vcc
	s_cbranch_execz .LBB10_134
; %bb.131:                              ;   in Loop: Header=BB10_57 Depth=2
	v_add_u32_e32 v4, v17, v19
	v_and_b32_e32 v4, 0xffffffc0, v4
	v_sub_u32_e32 v4, v17, v4
	v_lshlrev_b32_e32 v5, 6, v18
	v_sub_u32_e32 v4, v4, v5
	v_ashrrev_i32_e32 v5, 31, v4
	v_lshrrev_b32_e32 v5, 26, v5
	v_add_u32_e32 v5, v4, v5
	v_and_b32_e32 v12, 0x7fffffc0, v5
	v_sub_u32_e32 v4, v4, v12
	v_lshlrev_b32_e32 v5, 1, v5
	v_and_b32_e32 v5, 0xffffff80, v5
	v_lshlrev_b32_e32 v4, 1, v4
	v_add3_u32 v3, v5, v4, v3
	v_sub_u32_e32 v0, v0, v3
	v_cmp_lt_i32_e32 vcc, 1, v0
	s_and_b64 exec, exec, vcc
	s_cbranch_execz .LBB10_134
; %bb.132:                              ;   in Loop: Header=BB10_57 Depth=2
	s_trap 2
	ds_read_b64 v[4:5], v0
	v_add_u32_e32 v12, v3, v13
	v_ashrrev_i32_e32 v3, 31, v12
	s_mov_b64 s[38:39], 0
.LBB10_133:                             ;   Parent Loop BB10_47 Depth=1
                                        ;     Parent Loop BB10_57 Depth=2
                                        ; =>    This Inner Loop Header: Depth=3
	s_waitcnt lgkmcnt(0)
	v_add_co_u32_e32 v14, vcc, v4, v12
	v_addc_co_u32_e32 v15, vcc, v5, v3, vcc
	flat_load_ushort v13, v[14:15] glc slc
	v_add_co_u32_e32 v12, vcc, v12, v44
	v_sub_u32_e32 v0, v0, v61
	v_addc_co_u32_e32 v3, vcc, v3, v45, vcc
	v_cmp_gt_i32_e32 vcc, 2, v0
	s_or_b64 s[38:39], vcc, s[38:39]
	s_waitcnt vmcnt(0) lgkmcnt(0)
	flat_store_short v[14:15], v13 glc slc
	s_andn2_b64 exec, exec, s[38:39]
	s_cbranch_execnz .LBB10_133
.LBB10_134:                             ;   in Loop: Header=BB10_57 Depth=2
	s_or_b64 exec, exec, s[36:37]
	s_or_b64 exec, exec, s[26:27]
	s_and_saveexec_b64 s[26:27], s[10:11]
	s_cbranch_execnz .LBB10_155
.LBB10_135:                             ;   in Loop: Header=BB10_57 Depth=2
	s_or_b64 exec, exec, s[26:27]
                                        ; implicit-def: $vgpr0
	s_and_saveexec_b64 s[26:27], s[22:23]
	s_xor_b64 s[36:37], exec, s[26:27]
	s_cbranch_execz .LBB10_173
.LBB10_136:                             ;   in Loop: Header=BB10_57 Depth=2
	v_and_b32_e32 v3, 16, v55
	v_cmp_lt_i32_e32 vcc, 0, v9
	v_cmp_ne_u32_e64 s[26:27], 0, v3
	v_and_b32_e32 v0, 16, v55
	s_and_b64 vcc, s[26:27], vcc
	s_and_saveexec_b64 s[26:27], vcc
	s_cbranch_execz .LBB10_138
; %bb.137:                              ;   in Loop: Header=BB10_57 Depth=2
	v_mov_b32_e32 v0, 1
	s_waitcnt vmcnt(0) lgkmcnt(0)
	buffer_wbinvl1_vol
.LBB10_138:                             ;   in Loop: Header=BB10_57 Depth=2
	s_or_b64 exec, exec, s[26:27]
	s_andn2_saveexec_b64 s[26:27], s[36:37]
	s_cbranch_execnz .LBB10_174
.LBB10_139:                             ;   in Loop: Header=BB10_57 Depth=2
	s_or_b64 exec, exec, s[26:27]
	v_cmp_ne_u32_e32 vcc, 0, v0
	s_and_saveexec_b64 s[26:27], vcc
	s_cbranch_execz .LBB10_56
	s_branch .LBB10_192
.LBB10_140:                             ;   in Loop: Header=BB10_57 Depth=2
	s_and_saveexec_b64 s[26:27], s[10:11]
	s_cbranch_execnz .LBB10_155
	s_branch .LBB10_135
.LBB10_141:                             ;   in Loop: Header=BB10_57 Depth=2
	v_ashrrev_i32_e32 v3, 31, v0
	v_lshrrev_b32_e32 v3, 20, v3
	v_add_u32_e32 v3, v0, v3
	v_ashrrev_i32_e32 v3, 12, v3
	v_sub_u32_e32 v15, v3, v60
	v_cmp_lt_i32_e32 vcc, 0, v15
	s_and_saveexec_b64 s[26:27], vcc
	s_cbranch_execz .LBB10_145
; %bb.142:                              ;   in Loop: Header=BB10_57 Depth=2
	s_trap 2
	ds_read_b64 v[4:5], v0
	s_mov_b64 s[36:37], 0
	v_accvgpr_read_b32 v14, a24
	v_accvgpr_read_b32 v17, a25
	s_waitcnt lgkmcnt(0)
	v_pk_mov_b32 v[12:13], v[4:5], v[4:5] op_sel:[0,1]
.LBB10_143:                             ;   Parent Loop BB10_47 Depth=1
                                        ;     Parent Loop BB10_57 Depth=2
                                        ; =>    This Inner Loop Header: Depth=3
	v_add_co_u32_e32 v26, vcc, v14, v12
	v_addc_co_u32_e32 v27, vcc, v17, v13, vcc
	global_load_dwordx4 v[18:21], v[26:27], off glc slc
	global_load_dwordx4 v[22:25], v[26:27], off offset:1024 glc slc
	global_load_dwordx4 v[56:59], v[26:27], off offset:2048 glc slc
	;; [unrolled: 1-line block ×3, first 2 shown]
	v_add_co_u32_e32 v26, vcc, v14, v4
	v_addc_co_u32_e32 v27, vcc, v17, v5, vcc
	v_add_co_u32_e32 v12, vcc, v12, v31
	v_addc_co_u32_e32 v13, vcc, v13, v1, vcc
	v_add_co_u32_e32 v4, vcc, v4, v31
	v_sub_u32_e32 v15, v15, v54
	v_addc_co_u32_e32 v5, vcc, v5, v1, vcc
	v_cmp_gt_i32_e32 vcc, 1, v15
	s_or_b64 s[36:37], vcc, s[36:37]
	s_waitcnt vmcnt(0)
	global_store_dwordx4 v[26:27], v[18:21], off glc slc
	s_waitcnt vmcnt(3)
	global_store_dwordx4 v[26:27], v[22:25], off offset:1024 glc slc
	s_waitcnt vmcnt(3)
	global_store_dwordx4 v[26:27], v[56:59], off offset:2048 glc slc
	;; [unrolled: 2-line block ×3, first 2 shown]
	s_andn2_b64 exec, exec, s[36:37]
	s_cbranch_execnz .LBB10_143
; %bb.144:                              ;   in Loop: Header=BB10_57 Depth=2
	s_or_b64 exec, exec, s[36:37]
	v_accvgpr_read_b32 v59, a13
	v_accvgpr_read_b32 v58, a12
	v_mov_b32_e32 v57, 1
.LBB10_145:                             ;   in Loop: Header=BB10_57 Depth=2
	s_or_b64 exec, exec, s[26:27]
	v_lshlrev_b32_e32 v14, 12, v3
	v_cmp_ne_u32_e32 vcc, v0, v14
	s_mov_b64 s[38:39], 0
	v_mov_b32_e32 v13, 0
                                        ; implicit-def: $vgpr17
                                        ; implicit-def: $vgpr3
	s_and_saveexec_b64 s[36:37], vcc
	s_cbranch_execz .LBB10_153
; %bb.146:                              ;   in Loop: Header=BB10_57 Depth=2
	v_lshlrev_b32_e32 v3, 6, v15
	v_accvgpr_read_b32 v5, a22
	v_sub_u32_e32 v3, v5, v3
	v_ashrrev_i32_e32 v5, 31, v3
	v_lshrrev_b32_e32 v5, 26, v5
	v_add_u32_e32 v5, v3, v5
	v_sub_u32_e32 v4, v0, v14
	v_ashrrev_i32_e32 v12, 6, v5
	v_and_b32_e32 v5, 0xffffffc0, v5
	v_sub_u32_e32 v15, v3, v5
	v_ashrrev_i32_e32 v5, 31, v4
	v_lshrrev_b32_e32 v5, 22, v5
	v_add_u32_e32 v5, v4, v5
	v_and_b32_e32 v18, 0xfffffc00, v5
	v_lshlrev_b32_e32 v3, 4, v15
	v_sub_u32_e32 v20, v4, v18
	v_lshl_add_u32 v3, v12, 10, v3
	v_ashrrev_i32_e32 v17, 10, v5
	v_cmp_lt_i32_e32 vcc, 15, v20
	v_sub_u32_e32 v13, v4, v3
	v_addc_co_u32_e64 v4, s[26:27], 0, v17, vcc
	v_sub_u32_e32 v19, v4, v12
	v_cmp_lt_i32_e64 s[26:27], 15, v13
	s_and_saveexec_b64 s[38:39], s[26:27]
	s_cbranch_execz .LBB10_150
; %bb.147:                              ;   in Loop: Header=BB10_57 Depth=2
	s_trap 2
	ds_read_b64 v[4:5], v0
	v_add_u32_e32 v12, v3, v14
	v_ashrrev_i32_e32 v3, 31, v12
	s_mov_b64 s[56:57], 0
.LBB10_148:                             ;   Parent Loop BB10_47 Depth=1
                                        ;     Parent Loop BB10_57 Depth=2
                                        ; =>    This Inner Loop Header: Depth=3
	s_waitcnt lgkmcnt(0)
	v_add_co_u32_e64 v26, s[26:27], v4, v12
	v_addc_co_u32_e64 v27, s[26:27], v5, v3, s[26:27]
	global_load_dwordx4 v[22:25], v[26:27], off glc slc
	v_add_co_u32_e64 v12, s[26:27], v12, v42
	v_sub_u32_e32 v13, v13, v46
	v_addc_co_u32_e64 v3, s[26:27], v3, v43, s[26:27]
	v_cmp_gt_i32_e64 s[26:27], 16, v13
	v_sub_u32_e32 v19, v19, v54
	s_or_b64 s[56:57], s[26:27], s[56:57]
	s_waitcnt vmcnt(0)
	global_store_dwordx4 v[26:27], v[22:25], off glc slc
	s_andn2_b64 exec, exec, s[56:57]
	s_cbranch_execnz .LBB10_148
; %bb.149:                              ;   in Loop: Header=BB10_57 Depth=2
	s_or_b64 exec, exec, s[56:57]
.LBB10_150:                             ;   in Loop: Header=BB10_57 Depth=2
	s_or_b64 exec, exec, s[38:39]
	v_and_b32_e32 v4, 14, v0
	v_cndmask_b32_e32 v0, v20, v4, vcc
	v_cmp_ne_u32_e64 s[26:27], 0, v0
	s_mov_b64 s[38:39], 0
	v_mov_b32_e32 v13, 0
                                        ; implicit-def: $vgpr17
                                        ; implicit-def: $vgpr3
	s_and_saveexec_b64 s[56:57], s[26:27]
	s_cbranch_execz .LBB10_152
; %bb.151:                              ;   in Loop: Header=BB10_57 Depth=2
	v_sub_u32_e32 v3, v20, v4
	v_cndmask_b32_e32 v3, 0, v3, vcc
	v_cmp_lt_i32_e32 vcc, 0, v19
	v_add3_u32 v13, v18, v14, v3
	v_cndmask_b32_e32 v3, 0, v54, vcc
	v_sub_u32_e32 v3, v3, v19
	v_lshl_add_u32 v17, v3, 6, v15
	v_ashrrev_i32_e32 v3, 31, v17
	v_lshrrev_b32_e32 v3, 26, v3
	v_add_u32_e32 v3, v17, v3
	s_mov_b64 s[38:39], exec
	v_ashrrev_i32_e32 v3, 6, v3
.LBB10_152:                             ;   in Loop: Header=BB10_57 Depth=2
	s_or_b64 exec, exec, s[56:57]
	s_and_b64 s[38:39], s[38:39], exec
.LBB10_153:                             ;   in Loop: Header=BB10_57 Depth=2
	s_or_b64 exec, exec, s[36:37]
	s_and_saveexec_b64 s[26:27], s[38:39]
	s_cbranch_execnz .LBB10_126
.LBB10_154:                             ;   in Loop: Header=BB10_57 Depth=2
	s_or_b64 exec, exec, s[26:27]
	s_and_saveexec_b64 s[26:27], s[10:11]
	s_cbranch_execz .LBB10_135
.LBB10_155:                             ;   in Loop: Header=BB10_57 Depth=2
	s_and_saveexec_b64 vcc, s[48:49]
	s_xor_b64 s[36:37], exec, vcc
	s_cbranch_execz .LBB10_170
; %bb.156:                              ;   in Loop: Header=BB10_57 Depth=2
	s_and_saveexec_b64 s[38:39], s[16:17]
	s_cbranch_execz .LBB10_169
; %bb.157:                              ;   in Loop: Header=BB10_57 Depth=2
	s_mov_b64 s[58:59], exec
	v_mbcnt_lo_u32_b32 v0, s58, 0
	v_mbcnt_hi_u32_b32 v0, s59, v0
	v_cmp_eq_u32_e32 vcc, 0, v0
	s_waitcnt vmcnt(0) lgkmcnt(0)
	buffer_wbinvl1_vol
	s_and_saveexec_b64 s[56:57], vcc
	s_cbranch_execz .LBB10_159
; %bb.158:                              ;   in Loop: Header=BB10_57 Depth=2
	s_bcnt1_i32_b64 vcc_lo, s[58:59]
	v_mov_b32_e32 v4, vcc_lo
	v_mov_b32_e32 v5, v52
	ds_add_u64 v0, v[4:5]
	s_trap 2
.LBB10_159:                             ;   in Loop: Header=BB10_57 Depth=2
	s_or_b64 exec, exec, s[56:57]
	s_trap 2
	ds_read_b64 v[4:5], v0
	v_add_co_u32_e32 v48, vcc, v48, v54
	v_addc_co_u32_e32 v49, vcc, 0, v49, vcc
	s_waitcnt lgkmcnt(0)
	v_cmp_lt_u64_e32 vcc, v[4:5], v[48:49]
	s_and_saveexec_b64 s[56:57], vcc
	s_cbranch_execz .LBB10_168
; %bb.160:                              ;   in Loop: Header=BB10_57 Depth=2
	s_mov_b32 s68, 0
	s_mov_b64 s[58:59], 0
                                        ; implicit-def: $sgpr60_sgpr61
                                        ; implicit-def: $sgpr62_sgpr63
	s_branch .LBB10_162
.LBB10_161:                             ;   in Loop: Header=BB10_162 Depth=3
	s_or_b64 exec, exec, s[66:67]
	s_and_b64 vcc, exec, vcc
	s_or_b64 s[58:59], vcc, s[58:59]
	s_andn2_b64 vcc, s[60:61], exec
	s_and_b64 s[60:61], s[62:63], exec
	s_or_b64 s[60:61], vcc, s[60:61]
	s_andn2_b64 exec, exec, s[58:59]
	s_cbranch_execz .LBB10_166
.LBB10_162:                             ;   Parent Loop BB10_47 Depth=1
                                        ;     Parent Loop BB10_57 Depth=2
                                        ; =>    This Inner Loop Header: Depth=3
	s_add_i32 s68, s68, 1
	s_cmpk_lg_i32 s68, 0x2710
	s_cselect_b64 s[64:65], -1, 0
	s_and_b64 vcc, exec, s[64:65]
                                        ; implicit-def: $sgpr66_sgpr67
	s_cbranch_vccnz .LBB10_164
; %bb.163:                              ;   in Loop: Header=BB10_162 Depth=3
	s_trap 2
	ds_read_b64 v[4:5], v0
	s_andn2_b64 s[64:65], s[64:65], exec
	s_mov_b32 s68, 0
	s_mov_b64 s[66:67], -1
	s_waitcnt lgkmcnt(0)
	flat_load_dword v0, v[4:5] glc
	s_waitcnt vmcnt(0) lgkmcnt(0)
	buffer_invl2
	buffer_wbinvl1_vol
	v_cmp_eq_u32_e32 vcc, 0, v0
	s_and_b64 vcc, vcc, exec
	s_or_b64 s[64:65], s[64:65], vcc
.LBB10_164:                             ;   in Loop: Header=BB10_162 Depth=3
	s_andn2_b64 s[62:63], s[62:63], exec
	s_and_b64 s[66:67], s[66:67], exec
	s_mov_b64 vcc, -1
	s_or_b64 s[62:63], s[62:63], s[66:67]
	s_and_saveexec_b64 s[66:67], s[64:65]
	s_cbranch_execz .LBB10_161
; %bb.165:                              ;   in Loop: Header=BB10_162 Depth=3
	s_sleep 1
	s_trap 2
	ds_read_b64 v[4:5], v0
	s_andn2_b64 s[62:63], s[62:63], exec
	s_waitcnt lgkmcnt(0)
	v_cmp_ge_u64_e32 vcc, v[4:5], v[48:49]
	s_orn2_b64 vcc, vcc, exec
	s_branch .LBB10_161
.LBB10_166:                             ;   in Loop: Header=BB10_57 Depth=2
	s_or_b64 exec, exec, s[58:59]
	s_and_saveexec_b64 vcc, s[60:61]
	s_xor_b64 vcc, exec, vcc
	s_cbranch_execz .LBB10_168
; %bb.167:                              ;   in Loop: Header=BB10_57 Depth=2
	ds_write_b32 v0, v57
	s_trap 2
.LBB10_168:                             ;   in Loop: Header=BB10_57 Depth=2
	s_or_b64 exec, exec, s[56:57]
	;;#ASMSTART
	s_wakeup
	;;#ASMEND
.LBB10_169:                             ;   in Loop: Header=BB10_57 Depth=2
	s_or_b64 exec, exec, s[38:39]
.LBB10_170:                             ;   in Loop: Header=BB10_57 Depth=2
	s_andn2_saveexec_b64 vcc, s[36:37]
	s_cbranch_execz .LBB10_172
; %bb.171:                              ;   in Loop: Header=BB10_57 Depth=2
	s_waitcnt vmcnt(0) lgkmcnt(0)
	buffer_wbinvl1_vol
	s_barrier
.LBB10_172:                             ;   in Loop: Header=BB10_57 Depth=2
	s_or_b64 exec, exec, vcc
	s_or_b64 exec, exec, s[26:27]
                                        ; implicit-def: $vgpr0
	s_and_saveexec_b64 s[26:27], s[22:23]
	s_xor_b64 s[36:37], exec, s[26:27]
	s_cbranch_execnz .LBB10_136
.LBB10_173:                             ;   in Loop: Header=BB10_57 Depth=2
	s_andn2_saveexec_b64 s[26:27], s[36:37]
	s_cbranch_execz .LBB10_139
.LBB10_174:                             ;   in Loop: Header=BB10_57 Depth=2
	s_and_saveexec_b64 vcc, s[48:49]
	s_xor_b64 s[36:37], exec, vcc
	s_cbranch_execz .LBB10_189
; %bb.175:                              ;   in Loop: Header=BB10_57 Depth=2
	s_and_saveexec_b64 s[38:39], s[16:17]
	s_cbranch_execz .LBB10_188
; %bb.176:                              ;   in Loop: Header=BB10_57 Depth=2
	s_mov_b64 s[58:59], exec
	v_mbcnt_lo_u32_b32 v0, s58, 0
	v_mbcnt_hi_u32_b32 v0, s59, v0
	v_cmp_eq_u32_e32 vcc, 0, v0
	;;#ASMSTART
	s_waitcnt lgkmcnt(0) vmcnt(0)
	;;#ASMEND
	s_and_saveexec_b64 s[56:57], vcc
	s_cbranch_execz .LBB10_178
; %bb.177:                              ;   in Loop: Header=BB10_57 Depth=2
	s_bcnt1_i32_b64 vcc_lo, s[58:59]
	v_mov_b32_e32 v4, vcc_lo
	v_mov_b32_e32 v5, v52
	ds_add_u64 v0, v[4:5]
	s_trap 2
.LBB10_178:                             ;   in Loop: Header=BB10_57 Depth=2
	s_or_b64 exec, exec, s[56:57]
	s_trap 2
	ds_read_b64 v[4:5], v0
	v_add_co_u32_e32 v48, vcc, v48, v54
	v_addc_co_u32_e32 v49, vcc, 0, v49, vcc
	s_waitcnt lgkmcnt(0)
	v_cmp_lt_u64_e32 vcc, v[4:5], v[48:49]
	s_and_saveexec_b64 s[56:57], vcc
	s_cbranch_execz .LBB10_187
; %bb.179:                              ;   in Loop: Header=BB10_57 Depth=2
	s_mov_b32 s68, 0
	s_mov_b64 s[58:59], 0
                                        ; implicit-def: $sgpr60_sgpr61
                                        ; implicit-def: $sgpr62_sgpr63
	s_branch .LBB10_181
.LBB10_180:                             ;   in Loop: Header=BB10_181 Depth=3
	s_or_b64 exec, exec, s[66:67]
	s_and_b64 vcc, exec, vcc
	s_or_b64 s[58:59], vcc, s[58:59]
	s_andn2_b64 vcc, s[60:61], exec
	s_and_b64 s[60:61], s[62:63], exec
	s_or_b64 s[60:61], vcc, s[60:61]
	s_andn2_b64 exec, exec, s[58:59]
	s_cbranch_execz .LBB10_185
.LBB10_181:                             ;   Parent Loop BB10_47 Depth=1
                                        ;     Parent Loop BB10_57 Depth=2
                                        ; =>    This Inner Loop Header: Depth=3
	s_add_i32 s68, s68, 1
	s_cmpk_lg_i32 s68, 0x2710
	s_cselect_b64 s[64:65], -1, 0
	s_and_b64 vcc, exec, s[64:65]
                                        ; implicit-def: $sgpr66_sgpr67
	s_cbranch_vccnz .LBB10_183
; %bb.182:                              ;   in Loop: Header=BB10_181 Depth=3
	s_trap 2
	ds_read_b64 v[4:5], v0
	s_andn2_b64 s[64:65], s[64:65], exec
	s_mov_b32 s68, 0
	s_mov_b64 s[66:67], -1
	s_waitcnt vmcnt(0) lgkmcnt(0)
	flat_load_dword v0, v[4:5] glc
	s_waitcnt vmcnt(0) lgkmcnt(0)
	buffer_invl2
	buffer_wbinvl1_vol
	v_cmp_eq_u32_e32 vcc, 0, v0
	s_and_b64 vcc, vcc, exec
	s_or_b64 s[64:65], s[64:65], vcc
.LBB10_183:                             ;   in Loop: Header=BB10_181 Depth=3
	s_andn2_b64 s[62:63], s[62:63], exec
	s_and_b64 s[66:67], s[66:67], exec
	s_mov_b64 vcc, -1
	s_or_b64 s[62:63], s[62:63], s[66:67]
	s_and_saveexec_b64 s[66:67], s[64:65]
	s_cbranch_execz .LBB10_180
; %bb.184:                              ;   in Loop: Header=BB10_181 Depth=3
	s_sleep 1
	s_trap 2
	ds_read_b64 v[4:5], v0
	s_andn2_b64 s[62:63], s[62:63], exec
	s_waitcnt lgkmcnt(0)
	v_cmp_ge_u64_e32 vcc, v[4:5], v[48:49]
	s_orn2_b64 vcc, vcc, exec
	s_branch .LBB10_180
.LBB10_185:                             ;   in Loop: Header=BB10_57 Depth=2
	s_or_b64 exec, exec, s[58:59]
	s_and_saveexec_b64 vcc, s[60:61]
	s_xor_b64 vcc, exec, vcc
	s_cbranch_execz .LBB10_187
; %bb.186:                              ;   in Loop: Header=BB10_57 Depth=2
	ds_write_b32 v0, v57
	s_trap 2
.LBB10_187:                             ;   in Loop: Header=BB10_57 Depth=2
	s_or_b64 exec, exec, s[56:57]
	;;#ASMSTART
	s_wakeup
	;;#ASMEND
.LBB10_188:                             ;   in Loop: Header=BB10_57 Depth=2
	s_or_b64 exec, exec, s[38:39]
.LBB10_189:                             ;   in Loop: Header=BB10_57 Depth=2
	s_andn2_saveexec_b64 vcc, s[36:37]
	s_cbranch_execz .LBB10_191
; %bb.190:                              ;   in Loop: Header=BB10_57 Depth=2
	;;#ASMSTART
	s_waitcnt lgkmcnt(0) vmcnt(0)
	;;#ASMEND
	s_barrier
.LBB10_191:                             ;   in Loop: Header=BB10_57 Depth=2
	s_or_b64 exec, exec, vcc
	v_and_b32_e32 v0, 16, v55
	s_or_b64 exec, exec, s[26:27]
	v_cmp_ne_u32_e32 vcc, 0, v0
	s_and_saveexec_b64 s[26:27], vcc
	s_cbranch_execz .LBB10_56
.LBB10_192:                             ;   in Loop: Header=BB10_57 Depth=2
	s_and_saveexec_b64 vcc, s[14:15]
	s_cbranch_execz .LBB10_55
; %bb.193:                              ;   in Loop: Header=BB10_57 Depth=2
	flat_store_dword v[58:59], v57
	s_branch .LBB10_55
.LBB10_194:                             ;   in Loop: Header=BB10_47 Depth=1
	s_or_b64 exec, exec, s[30:31]
.LBB10_195:                             ;   in Loop: Header=BB10_47 Depth=1
	s_or_b64 exec, exec, s[28:29]
	v_cmp_gt_i32_e32 vcc, 2, v0
	s_and_saveexec_b64 s[28:29], vcc
	s_cbranch_execz .LBB10_267
; %bb.196:                              ;   in Loop: Header=BB10_47 Depth=1
	v_cmp_eq_u32_e64 s[26:27], 0, v0
	s_mov_b64 s[30:31], 0
	s_branch .LBB10_199
.LBB10_197:                             ;   in Loop: Header=BB10_199 Depth=2
	s_or_b64 exec, exec, vcc
	v_add_co_u32_e32 v32, vcc, 2, v32
	v_addc_co_u32_e32 v33, vcc, 0, v33, vcc
	flat_store_dwordx2 v[34:35], v[32:33]
.LBB10_198:                             ;   in Loop: Header=BB10_199 Depth=2
	s_or_b64 exec, exec, s[26:27]
	v_add_u32_e32 v8, v2, v8
	s_mov_b64 s[26:27], 0
	s_andn2_b64 exec, exec, s[30:31]
	s_cbranch_execz .LBB10_266
.LBB10_199:                             ;   Parent Loop BB10_47 Depth=1
                                        ; =>  This Loop Header: Depth=2
                                        ;       Child Loop BB10_205 Depth 3
                                        ;       Child Loop BB10_234 Depth 3
	;; [unrolled: 1-line block ×3, first 2 shown]
	v_and_b32_e32 v0, 8, v55
	s_mov_b64 s[36:37], -1
	v_cmp_ne_u32_e32 vcc, 0, v0
	s_and_saveexec_b64 s[34:35], vcc
	s_cbranch_execz .LBB10_211
; %bb.200:                              ;   in Loop: Header=BB10_199 Depth=2
	v_add_co_u32_e32 v10, vcc, 8, v50
	v_addc_co_u32_e32 v11, vcc, 0, v51, vcc
	v_add_co_u32_e32 v4, vcc, 2, v32
	v_addc_co_u32_e32 v5, vcc, 0, v33, vcc
	v_cmp_lt_u64_e32 vcc, v[10:11], v[4:5]
	v_mov_b32_e32 v0, 1
	s_and_saveexec_b64 s[36:37], vcc
	s_cbranch_execz .LBB10_210
; %bb.201:                              ;   in Loop: Header=BB10_199 Depth=2
	s_mov_b64 s[38:39], 0
	v_mov_b32_e32 v0, 0
                                        ; implicit-def: $sgpr56_sgpr57
	s_branch .LBB10_205
.LBB10_202:                             ;   in Loop: Header=BB10_205 Depth=3
	s_or_b64 exec, exec, s[64:65]
	v_mov_b32_e32 v3, 0
	s_orn2_b64 s[62:63], s[62:63], exec
.LBB10_203:                             ;   in Loop: Header=BB10_205 Depth=3
	s_or_b64 exec, exec, s[60:61]
	s_andn2_b64 vcc, s[56:57], exec
	s_and_b64 s[56:57], s[62:63], exec
	s_or_b64 s[56:57], vcc, s[56:57]
	v_mov_b32_e32 v0, v3
.LBB10_204:                             ;   in Loop: Header=BB10_205 Depth=3
	s_or_b64 exec, exec, s[58:59]
	s_waitcnt vmcnt(0) lgkmcnt(0)
	v_add_co_u32_e32 v10, vcc, 8, v50
	v_addc_co_u32_e32 v11, vcc, 0, v51, vcc
	v_cmp_ge_u64_e32 vcc, v[10:11], v[4:5]
	s_xor_b64 s[58:59], s[56:57], -1
	s_or_b64 vcc, s[58:59], vcc
	s_and_b64 vcc, exec, vcc
	s_or_b64 s[38:39], vcc, s[38:39]
	s_andn2_b64 exec, exec, s[38:39]
	s_cbranch_execz .LBB10_209
.LBB10_205:                             ;   Parent Loop BB10_47 Depth=1
                                        ;     Parent Loop BB10_199 Depth=2
                                        ; =>    This Inner Loop Header: Depth=3
	s_sleep 1
	flat_load_dwordx2 v[50:51], v[34:35] glc
	v_and_b32_e32 v3, 64, v55
	v_cmp_eq_u32_e32 vcc, 0, v3
	s_andn2_b64 s[56:57], s[56:57], exec
	s_and_saveexec_b64 s[58:59], vcc
	s_cbranch_execz .LBB10_204
; %bb.206:                              ;   in Loop: Header=BB10_205 Depth=3
	v_add_u32_e32 v3, 1, v0
	v_cmp_lt_i32_e32 vcc, s85, v0
	s_mov_b64 s[62:63], -1
	s_and_saveexec_b64 s[60:61], vcc
	s_cbranch_execz .LBB10_203
; %bb.207:                              ;   in Loop: Header=BB10_205 Depth=3
	s_trap 2
	ds_read_b64 v[10:11], v0
	s_waitcnt vmcnt(0) lgkmcnt(0)
	flat_load_dword v0, v[10:11] glc
	s_waitcnt vmcnt(0) lgkmcnt(0)
	buffer_invl2
	buffer_wbinvl1_vol
	v_cmp_ne_u32_e32 vcc, 0, v0
	s_and_saveexec_b64 s[64:65], vcc
	s_cbranch_execz .LBB10_202
; %bb.208:                              ;   in Loop: Header=BB10_205 Depth=3
	v_or_b32_e32 v55, 64, v55
	s_xor_b64 s[62:63], exec, -1
	ds_write_b32 v0, v0
	s_trap 2
	s_branch .LBB10_202
.LBB10_209:                             ;   in Loop: Header=BB10_199 Depth=2
	s_or_b64 exec, exec, s[38:39]
	v_and_b32_e32 v0, 8, v55
.LBB10_210:                             ;   in Loop: Header=BB10_199 Depth=2
	s_or_b64 exec, exec, s[36:37]
	v_cmp_eq_u32_e32 vcc, 0, v0
	s_orn2_b64 s[36:37], vcc, exec
	;;#ASMSTART
	s_wakeup
	;;#ASMEND
.LBB10_211:                             ;   in Loop: Header=BB10_199 Depth=2
	s_or_b64 exec, exec, s[34:35]
	s_xor_b64 s[26:27], s[26:27], -1
	s_and_b64 s[26:27], exec, s[26:27]
	s_or_b64 s[30:31], s[26:27], s[30:31]
	v_sub_u32_e32 v0, v16, v8
	s_xor_b64 s[26:27], s[36:37], -1
	v_min_i32_e32 v2, v2, v0
	s_and_saveexec_b64 s[34:35], s[26:27]
	s_cbranch_execz .LBB10_226
; %bb.212:                              ;   in Loop: Header=BB10_199 Depth=2
	v_and_b32_e32 v0, 0x100, v55
	v_cmp_ne_u32_e32 vcc, 0, v0
	v_and_b32_e32 v0, 7, v32
	s_mov_b64 s[26:27], -1
                                        ; implicit-def: $vgpr4_vgpr5
	s_and_saveexec_b64 s[36:37], vcc
	s_cbranch_execz .LBB10_216
; %bb.213:                              ;   in Loop: Header=BB10_199 Depth=2
	v_mad_u64_u32 v[10:11], s[26:27], v0, 24, v[6:7]
	flat_load_dword v9, v[10:11]
	v_ashrrev_i32_e32 v3, 31, v2
	v_lshlrev_b64 v[4:5], 1, v[2:3]
	flat_store_dwordx2 v[10:11], v[4:5] offset:8
                                        ; implicit-def: $vgpr4_vgpr5
	s_waitcnt vmcnt(0) lgkmcnt(0)
	v_cmp_ne_u32_e32 vcc, 1, v9
	v_cmp_eq_u32_e64 s[26:27], 1, v9
	s_and_saveexec_b64 s[38:39], s[26:27]
	s_cbranch_execz .LBB10_215
; %bb.214:                              ;   in Loop: Header=BB10_199 Depth=2
	flat_load_dword v4, v[10:11] offset:4 glc
	s_waitcnt vmcnt(0) lgkmcnt(0)
	v_ashrrev_i32_e32 v5, 31, v4
	v_lshrrev_b64 v[4:5], 1, v[4:5]
.LBB10_215:                             ;   in Loop: Header=BB10_199 Depth=2
	s_or_b64 exec, exec, s[38:39]
	s_orn2_b64 s[26:27], vcc, exec
.LBB10_216:                             ;   in Loop: Header=BB10_199 Depth=2
	s_or_b64 exec, exec, s[36:37]
	s_and_saveexec_b64 vcc, s[26:27]
; %bb.217:                              ;   in Loop: Header=BB10_199 Depth=2
	v_mad_i64_i32 v[4:5], s[26:27], v0, v30, 0
; %bb.218:                              ;   in Loop: Header=BB10_199 Depth=2
	s_or_b64 exec, exec, vcc
	v_lshlrev_b64 v[4:5], 1, v[4:5]
	v_add_co_u32_e32 v4, vcc, v36, v4
	v_addc_co_u32_e32 v5, vcc, v37, v5, vcc
	ds_write_b64 v0, v[4:5] offset:784
	v_and_b32_e32 v0, 0x2000, v55
	v_cmp_ne_u32_e32 vcc, 0, v0
	s_and_saveexec_b64 s[26:27], vcc
	s_cbranch_execz .LBB10_220
; %bb.219:                              ;   in Loop: Header=BB10_199 Depth=2
	ds_read_b64 v[4:5], v0 offset:584
	s_waitcnt lgkmcnt(0)
	v_add_co_u32_e32 v4, vcc, 1, v4
	v_addc_co_u32_e32 v5, vcc, 0, v5, vcc
	ds_write_b64 v0, v[4:5] offset:584
.LBB10_220:                             ;   in Loop: Header=BB10_199 Depth=2
	s_or_b64 exec, exec, s[26:27]
	v_add_co_u32_e32 v32, vcc, 2, v32
	v_addc_co_u32_e32 v33, vcc, 0, v33, vcc
	s_or_b64 exec, exec, s[34:35]
	s_and_saveexec_b64 s[26:27], s[10:11]
	s_cbranch_execnz .LBB10_227
.LBB10_221:                             ;   in Loop: Header=BB10_199 Depth=2
	s_or_b64 exec, exec, s[26:27]
                                        ; implicit-def: $vgpr0
	s_and_saveexec_b64 s[26:27], s[22:23]
	s_xor_b64 s[26:27], exec, s[26:27]
	s_cbranch_execz .LBB10_245
.LBB10_222:                             ;   in Loop: Header=BB10_199 Depth=2
	s_trap 2
	ds_read_b32 v3, v0
	v_cmp_lt_i32_e32 vcc, 0, v2
	v_and_b32_e32 v4, 16, v55
	v_and_b32_e32 v0, 16, v55
	s_waitcnt lgkmcnt(0)
	v_readfirstlane_b32 s34, v3
	s_cmp_eq_u32 s34, 0
	s_cselect_b64 s[34:35], -1, 0
	s_and_b64 s[34:35], vcc, s[34:35]
	v_cmp_ne_u32_e32 vcc, 0, v4
	s_and_b64 s[34:35], vcc, s[34:35]
	s_and_saveexec_b64 vcc, s[34:35]
	s_cbranch_execz .LBB10_224
; %bb.223:                              ;   in Loop: Header=BB10_199 Depth=2
	v_mov_b32_e32 v0, 1
	s_waitcnt vmcnt(0)
	buffer_wbinvl1_vol
.LBB10_224:                             ;   in Loop: Header=BB10_199 Depth=2
	s_or_b64 exec, exec, vcc
	s_andn2_saveexec_b64 s[26:27], s[26:27]
	s_cbranch_execnz .LBB10_246
.LBB10_225:                             ;   in Loop: Header=BB10_199 Depth=2
	s_or_b64 exec, exec, s[26:27]
	v_cmp_ne_u32_e32 vcc, 0, v0
	s_and_saveexec_b64 s[26:27], vcc
	s_cbranch_execz .LBB10_198
	s_branch .LBB10_264
.LBB10_226:                             ;   in Loop: Header=BB10_199 Depth=2
	s_or_b64 exec, exec, s[34:35]
	s_and_saveexec_b64 s[26:27], s[10:11]
	s_cbranch_execz .LBB10_221
.LBB10_227:                             ;   in Loop: Header=BB10_199 Depth=2
	s_and_saveexec_b64 vcc, s[48:49]
	s_xor_b64 s[34:35], exec, vcc
	s_cbranch_execz .LBB10_242
; %bb.228:                              ;   in Loop: Header=BB10_199 Depth=2
	s_and_saveexec_b64 s[36:37], s[16:17]
	s_cbranch_execz .LBB10_241
; %bb.229:                              ;   in Loop: Header=BB10_199 Depth=2
	s_mov_b64 s[56:57], exec
	v_mbcnt_lo_u32_b32 v0, s56, 0
	v_mbcnt_hi_u32_b32 v0, s57, v0
	v_cmp_eq_u32_e32 vcc, 0, v0
	s_waitcnt vmcnt(0) lgkmcnt(0)
	buffer_wbinvl1_vol
	s_and_saveexec_b64 s[38:39], vcc
	s_cbranch_execz .LBB10_231
; %bb.230:                              ;   in Loop: Header=BB10_199 Depth=2
	s_bcnt1_i32_b64 vcc_lo, s[56:57]
	v_mov_b32_e32 v4, vcc_lo
	v_mov_b32_e32 v5, v52
	ds_add_u64 v0, v[4:5]
	s_trap 2
.LBB10_231:                             ;   in Loop: Header=BB10_199 Depth=2
	s_or_b64 exec, exec, s[38:39]
	s_trap 2
	ds_read_b64 v[4:5], v0
	v_add_co_u32_e32 v48, vcc, v48, v54
	v_addc_co_u32_e32 v49, vcc, 0, v49, vcc
	s_waitcnt lgkmcnt(0)
	v_cmp_lt_u64_e32 vcc, v[4:5], v[48:49]
	s_and_saveexec_b64 s[38:39], vcc
	s_cbranch_execz .LBB10_240
; %bb.232:                              ;   in Loop: Header=BB10_199 Depth=2
	s_mov_b32 s46, 0
	s_mov_b64 s[56:57], 0
                                        ; implicit-def: $sgpr58_sgpr59
                                        ; implicit-def: $sgpr60_sgpr61
	s_branch .LBB10_234
.LBB10_233:                             ;   in Loop: Header=BB10_234 Depth=3
	s_or_b64 exec, exec, s[64:65]
	s_and_b64 vcc, exec, vcc
	s_or_b64 s[56:57], vcc, s[56:57]
	s_andn2_b64 vcc, s[58:59], exec
	s_and_b64 s[58:59], s[60:61], exec
	s_or_b64 s[58:59], vcc, s[58:59]
	s_andn2_b64 exec, exec, s[56:57]
	s_cbranch_execz .LBB10_238
.LBB10_234:                             ;   Parent Loop BB10_47 Depth=1
                                        ;     Parent Loop BB10_199 Depth=2
                                        ; =>    This Inner Loop Header: Depth=3
	s_add_i32 s46, s46, 1
	s_cmpk_lg_i32 s46, 0x2710
	s_cselect_b64 s[62:63], -1, 0
	s_and_b64 vcc, exec, s[62:63]
                                        ; implicit-def: $sgpr64_sgpr65
	s_cbranch_vccnz .LBB10_236
; %bb.235:                              ;   in Loop: Header=BB10_234 Depth=3
	s_trap 2
	ds_read_b64 v[4:5], v0
	s_andn2_b64 s[62:63], s[62:63], exec
	s_mov_b32 s46, 0
	s_mov_b64 s[64:65], -1
	s_waitcnt lgkmcnt(0)
	flat_load_dword v0, v[4:5] glc
	s_waitcnt vmcnt(0) lgkmcnt(0)
	buffer_invl2
	buffer_wbinvl1_vol
	v_cmp_eq_u32_e32 vcc, 0, v0
	s_and_b64 vcc, vcc, exec
	s_or_b64 s[62:63], s[62:63], vcc
.LBB10_236:                             ;   in Loop: Header=BB10_234 Depth=3
	s_andn2_b64 s[60:61], s[60:61], exec
	s_and_b64 s[64:65], s[64:65], exec
	s_mov_b64 vcc, -1
	s_or_b64 s[60:61], s[60:61], s[64:65]
	s_and_saveexec_b64 s[64:65], s[62:63]
	s_cbranch_execz .LBB10_233
; %bb.237:                              ;   in Loop: Header=BB10_234 Depth=3
	s_sleep 1
	s_trap 2
	ds_read_b64 v[4:5], v0
	s_andn2_b64 s[60:61], s[60:61], exec
	s_waitcnt lgkmcnt(0)
	v_cmp_ge_u64_e32 vcc, v[4:5], v[48:49]
	s_orn2_b64 vcc, vcc, exec
	s_branch .LBB10_233
.LBB10_238:                             ;   in Loop: Header=BB10_199 Depth=2
	s_or_b64 exec, exec, s[56:57]
	s_and_saveexec_b64 vcc, s[58:59]
	s_xor_b64 vcc, exec, vcc
	s_cbranch_execz .LBB10_240
; %bb.239:                              ;   in Loop: Header=BB10_199 Depth=2
	ds_write_b32 v0, v57
	s_trap 2
.LBB10_240:                             ;   in Loop: Header=BB10_199 Depth=2
	s_or_b64 exec, exec, s[38:39]
	;;#ASMSTART
	s_wakeup
	;;#ASMEND
.LBB10_241:                             ;   in Loop: Header=BB10_199 Depth=2
	s_or_b64 exec, exec, s[36:37]
.LBB10_242:                             ;   in Loop: Header=BB10_199 Depth=2
	s_andn2_saveexec_b64 vcc, s[34:35]
	s_cbranch_execz .LBB10_244
; %bb.243:                              ;   in Loop: Header=BB10_199 Depth=2
	s_waitcnt vmcnt(0) lgkmcnt(0)
	buffer_wbinvl1_vol
	s_barrier
.LBB10_244:                             ;   in Loop: Header=BB10_199 Depth=2
	s_or_b64 exec, exec, vcc
	s_or_b64 exec, exec, s[26:27]
                                        ; implicit-def: $vgpr0
	s_and_saveexec_b64 s[26:27], s[22:23]
	s_xor_b64 s[26:27], exec, s[26:27]
	s_cbranch_execnz .LBB10_222
.LBB10_245:                             ;   in Loop: Header=BB10_199 Depth=2
	s_andn2_saveexec_b64 s[26:27], s[26:27]
	s_cbranch_execz .LBB10_225
.LBB10_246:                             ;   in Loop: Header=BB10_199 Depth=2
	s_and_saveexec_b64 vcc, s[48:49]
	s_xor_b64 s[34:35], exec, vcc
	s_cbranch_execz .LBB10_261
; %bb.247:                              ;   in Loop: Header=BB10_199 Depth=2
	s_and_saveexec_b64 s[36:37], s[16:17]
	s_cbranch_execz .LBB10_260
; %bb.248:                              ;   in Loop: Header=BB10_199 Depth=2
	s_mov_b64 s[56:57], exec
	v_mbcnt_lo_u32_b32 v0, s56, 0
	v_mbcnt_hi_u32_b32 v0, s57, v0
	v_cmp_eq_u32_e32 vcc, 0, v0
	;;#ASMSTART
	s_waitcnt lgkmcnt(0) vmcnt(0)
	;;#ASMEND
	s_and_saveexec_b64 s[38:39], vcc
	s_cbranch_execz .LBB10_250
; %bb.249:                              ;   in Loop: Header=BB10_199 Depth=2
	s_bcnt1_i32_b64 vcc_lo, s[56:57]
	v_mov_b32_e32 v4, vcc_lo
	v_mov_b32_e32 v5, v52
	ds_add_u64 v0, v[4:5]
	s_trap 2
.LBB10_250:                             ;   in Loop: Header=BB10_199 Depth=2
	s_or_b64 exec, exec, s[38:39]
	s_trap 2
	ds_read_b64 v[4:5], v0
	v_add_co_u32_e32 v48, vcc, v48, v54
	v_addc_co_u32_e32 v49, vcc, 0, v49, vcc
	s_waitcnt lgkmcnt(0)
	v_cmp_lt_u64_e32 vcc, v[4:5], v[48:49]
	s_and_saveexec_b64 s[38:39], vcc
	s_cbranch_execz .LBB10_259
; %bb.251:                              ;   in Loop: Header=BB10_199 Depth=2
	s_mov_b32 s46, 0
	s_mov_b64 s[56:57], 0
                                        ; implicit-def: $sgpr58_sgpr59
                                        ; implicit-def: $sgpr60_sgpr61
	s_branch .LBB10_253
.LBB10_252:                             ;   in Loop: Header=BB10_253 Depth=3
	s_or_b64 exec, exec, s[64:65]
	s_and_b64 vcc, exec, vcc
	s_or_b64 s[56:57], vcc, s[56:57]
	s_andn2_b64 vcc, s[58:59], exec
	s_and_b64 s[58:59], s[60:61], exec
	s_or_b64 s[58:59], vcc, s[58:59]
	s_andn2_b64 exec, exec, s[56:57]
	s_cbranch_execz .LBB10_257
.LBB10_253:                             ;   Parent Loop BB10_47 Depth=1
                                        ;     Parent Loop BB10_199 Depth=2
                                        ; =>    This Inner Loop Header: Depth=3
	s_add_i32 s46, s46, 1
	s_cmpk_lg_i32 s46, 0x2710
	s_cselect_b64 s[62:63], -1, 0
	s_and_b64 vcc, exec, s[62:63]
                                        ; implicit-def: $sgpr64_sgpr65
	s_cbranch_vccnz .LBB10_255
; %bb.254:                              ;   in Loop: Header=BB10_253 Depth=3
	s_trap 2
	ds_read_b64 v[4:5], v0
	s_andn2_b64 s[62:63], s[62:63], exec
	s_mov_b32 s46, 0
	s_mov_b64 s[64:65], -1
	s_waitcnt vmcnt(0) lgkmcnt(0)
	flat_load_dword v0, v[4:5] glc
	s_waitcnt vmcnt(0) lgkmcnt(0)
	buffer_invl2
	buffer_wbinvl1_vol
	v_cmp_eq_u32_e32 vcc, 0, v0
	s_and_b64 vcc, vcc, exec
	s_or_b64 s[62:63], s[62:63], vcc
.LBB10_255:                             ;   in Loop: Header=BB10_253 Depth=3
	s_andn2_b64 s[60:61], s[60:61], exec
	s_and_b64 s[64:65], s[64:65], exec
	s_mov_b64 vcc, -1
	s_or_b64 s[60:61], s[60:61], s[64:65]
	s_and_saveexec_b64 s[64:65], s[62:63]
	s_cbranch_execz .LBB10_252
; %bb.256:                              ;   in Loop: Header=BB10_253 Depth=3
	s_sleep 1
	s_trap 2
	ds_read_b64 v[4:5], v0
	s_andn2_b64 s[60:61], s[60:61], exec
	s_waitcnt lgkmcnt(0)
	v_cmp_ge_u64_e32 vcc, v[4:5], v[48:49]
	s_orn2_b64 vcc, vcc, exec
	s_branch .LBB10_252
.LBB10_257:                             ;   in Loop: Header=BB10_199 Depth=2
	s_or_b64 exec, exec, s[56:57]
	s_and_saveexec_b64 vcc, s[58:59]
	s_xor_b64 vcc, exec, vcc
	s_cbranch_execz .LBB10_259
; %bb.258:                              ;   in Loop: Header=BB10_199 Depth=2
	ds_write_b32 v0, v57
	s_trap 2
.LBB10_259:                             ;   in Loop: Header=BB10_199 Depth=2
	s_or_b64 exec, exec, s[38:39]
	;;#ASMSTART
	s_wakeup
	;;#ASMEND
.LBB10_260:                             ;   in Loop: Header=BB10_199 Depth=2
	s_or_b64 exec, exec, s[36:37]
.LBB10_261:                             ;   in Loop: Header=BB10_199 Depth=2
	s_andn2_saveexec_b64 vcc, s[34:35]
	s_cbranch_execz .LBB10_263
; %bb.262:                              ;   in Loop: Header=BB10_199 Depth=2
	;;#ASMSTART
	s_waitcnt lgkmcnt(0) vmcnt(0)
	;;#ASMEND
	s_barrier
.LBB10_263:                             ;   in Loop: Header=BB10_199 Depth=2
	s_or_b64 exec, exec, vcc
	v_and_b32_e32 v0, 16, v55
	s_or_b64 exec, exec, s[26:27]
	v_cmp_ne_u32_e32 vcc, 0, v0
	s_and_saveexec_b64 s[26:27], vcc
	s_cbranch_execz .LBB10_198
.LBB10_264:                             ;   in Loop: Header=BB10_199 Depth=2
	s_and_saveexec_b64 vcc, s[14:15]
	s_cbranch_execz .LBB10_197
; %bb.265:                              ;   in Loop: Header=BB10_199 Depth=2
	flat_store_dword v[58:59], v57
	s_branch .LBB10_197
.LBB10_266:                             ;   in Loop: Header=BB10_47 Depth=1
	s_or_b64 exec, exec, s[30:31]
.LBB10_267:                             ;   in Loop: Header=BB10_47 Depth=1
	s_or_b64 exec, exec, s[28:29]
	v_cndmask_b32_e64 v0, 0, 1, s[50:51]
	v_cmp_ne_u32_e64 s[26:27], 1, v0
	s_andn2_b64 vcc, exec, s[50:51]
	s_cbranch_vccnz .LBB10_624
; %bb.268:                              ;   in Loop: Header=BB10_47 Depth=1
	s_mov_b32 s70, 2
	s_branch .LBB10_271
.LBB10_269:                             ;   in Loop: Header=BB10_271 Depth=2
	s_or_b64 exec, exec, s[34:35]
.LBB10_270:                             ;   in Loop: Header=BB10_271 Depth=2
	s_or_b64 exec, exec, s[30:31]
	s_add_i32 s70, s70, 1
	s_cmp_eq_u32 s70, s72
	s_cbranch_scc1 .LBB10_624
.LBB10_271:                             ;   Parent Loop BB10_47 Depth=1
                                        ; =>  This Loop Header: Depth=2
                                        ;       Child Loop BB10_274 Depth 3
                                        ;         Child Loop BB10_282 Depth 4
                                        ;         Child Loop BB10_310 Depth 4
                                        ;         Child Loop BB10_329 Depth 4
                                        ;         Child Loop BB10_390 Depth 4
                                        ;         Child Loop BB10_469 Depth 4
                                        ;         Child Loop BB10_350 Depth 4
                                        ;         Child Loop BB10_459 Depth 4
                                        ;         Child Loop BB10_514 Depth 4
                                        ;         Child Loop BB10_533 Depth 4
                                        ;       Child Loop BB10_552 Depth 3
                                        ;         Child Loop BB10_558 Depth 4
                                        ;         Child Loop BB10_598 Depth 4
	;; [unrolled: 1-line block ×3, first 2 shown]
	s_sub_i32 s28, s78, s70
	s_cmp_le_i32 s72, s28
	s_cselect_b32 s29, s72, 0
	s_sub_i32 s28, s28, s29
	v_accvgpr_read_b32 v8, a30
	s_ashr_i32 s29, s28, 31
	v_accvgpr_read_b32 v9, a31
	v_mul_lo_u32 v0, v8, s29
	v_mul_lo_u32 v2, v9, s28
	v_mad_u64_u32 v[4:5], s[28:29], v8, s28, 0
	v_add3_u32 v5, v5, v0, v2
	v_accvgpr_read_b32 v2, a32
	v_accvgpr_read_b32 v3, a33
	v_sub_co_u32_e32 v2, vcc, v2, v4
	v_subb_co_u32_e32 v3, vcc, v3, v5, vcc
	v_cmp_lt_i64_e32 vcc, v[8:9], v[2:3]
	v_cndmask_b32_e32 v0, v2, v8, vcc
	v_max_i32_e32 v26, 0, v0
	v_add_u32_e32 v2, 31, v26
	v_lshrrev_b32_e32 v2, 1, v2
	v_and_b32_e32 v2, 0x3ffffff0, v2
	v_cmp_lt_i32_e32 vcc, 0, v0
	v_max_i32_e32 v2, s81, v2
	s_and_b64 s[28:29], s[54:55], vcc
	v_mov_b32_e32 v0, 0
	v_mov_b32_e32 v24, 0
	s_and_saveexec_b64 s[34:35], s[28:29]
	s_cbranch_execz .LBB10_549
; %bb.272:                              ;   in Loop: Header=BB10_271 Depth=2
	s_mov_b32 s71, 1
	s_mov_b64 s[38:39], -1
	s_mov_b64 s[36:37], 0
	v_mov_b32_e32 v24, 0
	v_lshlrev_b64 v[40:41], 1, v[4:5]
	s_branch .LBB10_274
.LBB10_273:                             ;   in Loop: Header=BB10_274 Depth=3
	s_or_b64 exec, exec, s[28:29]
	v_add_u32_e32 v24, v2, v24
	v_cmp_ge_i32_e32 vcc, v24, v26
	s_xor_b64 s[28:29], s[38:39], -1
	s_or_b64 s[28:29], s[28:29], vcc
	s_and_b64 s[28:29], exec, s[28:29]
	s_or_b64 s[36:37], s[28:29], s[36:37]
	s_mov_b64 s[38:39], 0
	v_mov_b32_e32 v0, s71
	s_mov_b32 s71, 2
	s_andn2_b64 exec, exec, s[36:37]
	s_cbranch_execz .LBB10_548
.LBB10_274:                             ;   Parent Loop BB10_47 Depth=1
                                        ;     Parent Loop BB10_271 Depth=2
                                        ; =>    This Loop Header: Depth=3
                                        ;         Child Loop BB10_282 Depth 4
                                        ;         Child Loop BB10_310 Depth 4
	;; [unrolled: 1-line block ×9, first 2 shown]
	s_and_saveexec_b64 s[28:29], s[4:5]
	s_cbranch_execz .LBB10_276
; %bb.275:                              ;   in Loop: Header=BB10_274 Depth=3
	s_trap 2
	ds_read_b64 v[4:5], v0
	v_accvgpr_read_b32 v8, a34
	v_accvgpr_read_b32 v9, a35
	v_lshlrev_b64 v[8:9], 1, v[8:9]
	v_ashrrev_i32_e32 v25, 31, v24
	s_waitcnt lgkmcnt(0)
	v_add_co_u32_e32 v0, vcc, v4, v8
	v_addc_co_u32_e32 v3, vcc, v5, v9, vcc
	v_add_co_u32_e32 v0, vcc, v0, v40
	v_addc_co_u32_e32 v3, vcc, v3, v41, vcc
	v_lshlrev_b64 v[4:5], 1, v[24:25]
	v_add_co_u32_e32 v4, vcc, v0, v4
	v_addc_co_u32_e32 v5, vcc, v3, v5, vcc
	v_mov_b32_e32 v53, v52
	ds_write_b64 v0, v[4:5]
	ds_write_b64 v0, v[52:53]
.LBB10_276:                             ;   in Loop: Header=BB10_274 Depth=3
	s_or_b64 exec, exec, s[28:29]
	v_and_b32_e32 v0, 12, v55
	v_cmp_ne_u32_e32 vcc, 0, v0
	s_mov_b64 s[30:31], -1
	s_and_saveexec_b64 s[28:29], vcc
	s_cbranch_execz .LBB10_288
; %bb.277:                              ;   in Loop: Header=BB10_274 Depth=3
	v_and_b32_e32 v4, 8, v55
	v_add_co_u32_e32 v10, vcc, v50, v4
	v_addc_co_u32_e32 v11, vcc, 0, v51, vcc
	v_add_co_u32_e32 v8, vcc, 2, v32
	v_addc_co_u32_e32 v9, vcc, 0, v33, vcc
	v_cmp_lt_u64_e32 vcc, v[10:11], v[8:9]
	v_mov_b32_e32 v0, 1
	s_and_saveexec_b64 s[30:31], vcc
	s_cbranch_execz .LBB10_287
; %bb.278:                              ;   in Loop: Header=BB10_274 Depth=3
	s_mov_b64 s[56:57], 0
	v_mov_b32_e32 v0, 0
                                        ; implicit-def: $sgpr58_sgpr59
	s_branch .LBB10_282
.LBB10_279:                             ;   in Loop: Header=BB10_282 Depth=4
	s_or_b64 exec, exec, s[66:67]
	v_mov_b32_e32 v3, 0
	s_orn2_b64 s[64:65], s[64:65], exec
.LBB10_280:                             ;   in Loop: Header=BB10_282 Depth=4
	s_or_b64 exec, exec, s[62:63]
	s_andn2_b64 vcc, s[58:59], exec
	s_and_b64 s[58:59], s[64:65], exec
	s_or_b64 s[58:59], vcc, s[58:59]
	v_mov_b32_e32 v0, v3
.LBB10_281:                             ;   in Loop: Header=BB10_282 Depth=4
	s_or_b64 exec, exec, s[60:61]
	s_waitcnt vmcnt(0) lgkmcnt(0)
	v_add_co_u32_e32 v10, vcc, v50, v4
	v_addc_co_u32_e32 v11, vcc, 0, v51, vcc
	v_cmp_ge_u64_e32 vcc, v[10:11], v[8:9]
	s_xor_b64 s[60:61], s[58:59], -1
	s_or_b64 vcc, s[60:61], vcc
	s_and_b64 vcc, exec, vcc
	s_or_b64 s[56:57], vcc, s[56:57]
	s_andn2_b64 exec, exec, s[56:57]
	s_cbranch_execz .LBB10_286
.LBB10_282:                             ;   Parent Loop BB10_47 Depth=1
                                        ;     Parent Loop BB10_271 Depth=2
                                        ;       Parent Loop BB10_274 Depth=3
                                        ; =>      This Inner Loop Header: Depth=4
	s_sleep 1
	flat_load_dwordx2 v[50:51], v[34:35] glc
	v_and_b32_e32 v3, 64, v55
	v_cmp_eq_u32_e32 vcc, 0, v3
	s_andn2_b64 s[58:59], s[58:59], exec
	s_and_saveexec_b64 s[60:61], vcc
	s_cbranch_execz .LBB10_281
; %bb.283:                              ;   in Loop: Header=BB10_282 Depth=4
	v_add_u32_e32 v3, 1, v0
	v_cmp_lt_i32_e32 vcc, s85, v0
	s_mov_b64 s[64:65], -1
	s_and_saveexec_b64 s[62:63], vcc
	s_cbranch_execz .LBB10_280
; %bb.284:                              ;   in Loop: Header=BB10_282 Depth=4
	s_trap 2
	ds_read_b64 v[10:11], v0
	s_waitcnt vmcnt(0) lgkmcnt(0)
	flat_load_dword v0, v[10:11] glc
	s_waitcnt vmcnt(0) lgkmcnt(0)
	buffer_invl2
	buffer_wbinvl1_vol
	v_cmp_ne_u32_e32 vcc, 0, v0
	s_and_saveexec_b64 s[66:67], vcc
	s_cbranch_execz .LBB10_279
; %bb.285:                              ;   in Loop: Header=BB10_282 Depth=4
	v_or_b32_e32 v55, 64, v55
	s_xor_b64 s[64:65], exec, -1
	ds_write_b32 v0, v0
	s_trap 2
	s_branch .LBB10_279
.LBB10_286:                             ;   in Loop: Header=BB10_274 Depth=3
	s_or_b64 exec, exec, s[56:57]
	v_and_b32_e32 v0, 12, v55
.LBB10_287:                             ;   in Loop: Header=BB10_274 Depth=3
	s_or_b64 exec, exec, s[30:31]
	v_cmp_eq_u32_e32 vcc, 0, v0
	s_orn2_b64 s[30:31], vcc, exec
	;;#ASMSTART
	s_wakeup
	;;#ASMEND
.LBB10_288:                             ;   in Loop: Header=BB10_274 Depth=3
	s_or_b64 exec, exec, s[28:29]
	v_sub_u32_e32 v0, v26, v24
	s_xor_b64 s[28:29], s[30:31], -1
	v_min_i32_e32 v2, v2, v0
	s_and_saveexec_b64 s[30:31], s[28:29]
	s_cbranch_execz .LBB10_302
; %bb.289:                              ;   in Loop: Header=BB10_274 Depth=3
	v_and_b32_e32 v0, 0x108, v55
	v_cmp_ne_u32_e32 vcc, s86, v0
	v_and_b32_e32 v4, 7, v32
	s_and_saveexec_b64 s[28:29], vcc
	s_xor_b64 s[28:29], exec, s[28:29]
                                        ; implicit-def: $vgpr8_vgpr9
; %bb.290:                              ;   in Loop: Header=BB10_274 Depth=3
	v_mov_b32_e32 v9, v52
; %bb.291:                              ;   in Loop: Header=BB10_274 Depth=3
	s_andn2_saveexec_b64 s[28:29], s[28:29]
	s_cbranch_execz .LBB10_293
; %bb.292:                              ;   in Loop: Header=BB10_274 Depth=3
	v_ashrrev_i32_e32 v3, 31, v2
	v_mov_b32_e32 v9, v52
	v_mad_u64_u32 v[10:11], vcc, v4, 24, v[6:7]
	v_lshlrev_b64 v[12:13], 1, v[2:3]
	flat_store_dwordx2 v[10:11], v[12:13] offset:8
.LBB10_293:                             ;   in Loop: Header=BB10_274 Depth=3
	s_or_b64 exec, exec, s[28:29]
	v_and_b32_e32 v0, 0x100, v55
	v_cmp_ne_u32_e32 vcc, 0, v0
	s_mov_b64 s[28:29], -1
                                        ; implicit-def: $vgpr10_vgpr11
	s_and_saveexec_b64 s[56:57], vcc
	s_cbranch_execz .LBB10_297
; %bb.294:                              ;   in Loop: Header=BB10_274 Depth=3
	v_mad_u64_u32 v[12:13], s[28:29], v4, 24, v[6:7]
	v_mov_b32_e32 v0, v13
	v_mad_u64_u32 v[10:11], s[28:29], v9, 24, v[0:1]
	v_mov_b32_e32 v13, v10
	flat_load_dword v0, v[12:13]
                                        ; implicit-def: $vgpr10_vgpr11
	s_waitcnt vmcnt(0) lgkmcnt(0)
	v_cmp_ne_u32_e32 vcc, 1, v0
	v_cmp_eq_u32_e64 s[28:29], 1, v0
	s_and_saveexec_b64 s[58:59], s[28:29]
	s_cbranch_execz .LBB10_296
; %bb.295:                              ;   in Loop: Header=BB10_274 Depth=3
	flat_load_dword v10, v[12:13] offset:4 glc
	s_waitcnt vmcnt(0) lgkmcnt(0)
	v_ashrrev_i32_e32 v11, 31, v10
	v_lshrrev_b64 v[10:11], 1, v[10:11]
.LBB10_296:                             ;   in Loop: Header=BB10_274 Depth=3
	s_or_b64 exec, exec, s[58:59]
	s_orn2_b64 s[28:29], vcc, exec
.LBB10_297:                             ;   in Loop: Header=BB10_274 Depth=3
	s_or_b64 exec, exec, s[56:57]
	s_and_saveexec_b64 vcc, s[28:29]
; %bb.298:                              ;   in Loop: Header=BB10_274 Depth=3
	v_accvgpr_read_b32 v3, a15
	v_mul_lo_u32 v0, v9, v30
	v_mul_lo_u32 v3, v4, v3
	v_mad_u64_u32 v[10:11], s[28:29], v4, v30, 0
	v_add3_u32 v11, v11, v3, v0
; %bb.299:                              ;   in Loop: Header=BB10_274 Depth=3
	s_or_b64 exec, exec, vcc
	v_lshlrev_b64 v[4:5], 1, v[10:11]
	v_add_co_u32_e32 v4, vcc, v36, v4
	v_addc_co_u32_e32 v5, vcc, v37, v5, vcc
	s_trap 2
	ds_write_b64 v0, v[4:5]
	v_and_b32_e32 v0, 0x2000, v55
	v_cmp_ne_u32_e32 vcc, 0, v0
	s_and_saveexec_b64 s[28:29], vcc
	s_cbranch_execz .LBB10_301
; %bb.300:                              ;   in Loop: Header=BB10_274 Depth=3
	ds_read_b64 v[4:5], v0 offset:584
	s_waitcnt lgkmcnt(0)
	v_add_co_u32_e32 v4, vcc, 1, v4
	v_addc_co_u32_e32 v5, vcc, 0, v5, vcc
	ds_write_b64 v0, v[4:5] offset:584
.LBB10_301:                             ;   in Loop: Header=BB10_274 Depth=3
	s_or_b64 exec, exec, s[28:29]
	v_add_co_u32_e32 v32, vcc, 2, v32
	v_addc_co_u32_e32 v33, vcc, 0, v33, vcc
.LBB10_302:                             ;   in Loop: Header=BB10_274 Depth=3
	s_or_b64 exec, exec, s[30:31]
	s_and_saveexec_b64 s[28:29], s[10:11]
	s_cbranch_execz .LBB10_321
; %bb.303:                              ;   in Loop: Header=BB10_274 Depth=3
	s_and_saveexec_b64 vcc, s[48:49]
	s_xor_b64 s[30:31], exec, vcc
	s_cbranch_execz .LBB10_318
; %bb.304:                              ;   in Loop: Header=BB10_274 Depth=3
	s_and_saveexec_b64 s[56:57], s[16:17]
	s_cbranch_execz .LBB10_317
; %bb.305:                              ;   in Loop: Header=BB10_274 Depth=3
	s_mov_b64 s[60:61], exec
	v_mbcnt_lo_u32_b32 v0, s60, 0
	v_mbcnt_hi_u32_b32 v0, s61, v0
	v_cmp_eq_u32_e32 vcc, 0, v0
	s_waitcnt vmcnt(0) lgkmcnt(0)
	buffer_wbinvl1_vol
	s_and_saveexec_b64 s[58:59], vcc
	s_cbranch_execz .LBB10_307
; %bb.306:                              ;   in Loop: Header=BB10_274 Depth=3
	s_bcnt1_i32_b64 vcc_lo, s[60:61]
	v_mov_b32_e32 v4, vcc_lo
	v_mov_b32_e32 v5, v52
	ds_add_u64 v0, v[4:5]
	s_trap 2
.LBB10_307:                             ;   in Loop: Header=BB10_274 Depth=3
	s_or_b64 exec, exec, s[58:59]
	s_trap 2
	ds_read_b64 v[4:5], v0
	v_add_co_u32_e32 v48, vcc, v48, v54
	v_addc_co_u32_e32 v49, vcc, 0, v49, vcc
	s_waitcnt lgkmcnt(0)
	v_cmp_lt_u64_e32 vcc, v[4:5], v[48:49]
	s_and_saveexec_b64 s[58:59], vcc
	s_cbranch_execz .LBB10_316
; %bb.308:                              ;   in Loop: Header=BB10_274 Depth=3
	s_mov_b32 s46, 0
	s_mov_b64 s[60:61], 0
                                        ; implicit-def: $sgpr62_sgpr63
                                        ; implicit-def: $sgpr64_sgpr65
	s_branch .LBB10_310
.LBB10_309:                             ;   in Loop: Header=BB10_310 Depth=4
	s_or_b64 exec, exec, s[68:69]
	s_and_b64 vcc, exec, vcc
	s_or_b64 s[60:61], vcc, s[60:61]
	s_andn2_b64 vcc, s[62:63], exec
	s_and_b64 s[62:63], s[64:65], exec
	s_or_b64 s[62:63], vcc, s[62:63]
	s_andn2_b64 exec, exec, s[60:61]
	s_cbranch_execz .LBB10_314
.LBB10_310:                             ;   Parent Loop BB10_47 Depth=1
                                        ;     Parent Loop BB10_271 Depth=2
                                        ;       Parent Loop BB10_274 Depth=3
                                        ; =>      This Inner Loop Header: Depth=4
	s_add_i32 s46, s46, 1
	s_cmpk_lg_i32 s46, 0x2710
	s_cselect_b64 s[66:67], -1, 0
	s_and_b64 vcc, exec, s[66:67]
                                        ; implicit-def: $sgpr68_sgpr69
	s_cbranch_vccnz .LBB10_312
; %bb.311:                              ;   in Loop: Header=BB10_310 Depth=4
	s_trap 2
	ds_read_b64 v[4:5], v0
	s_andn2_b64 s[66:67], s[66:67], exec
	s_mov_b32 s46, 0
	s_mov_b64 s[68:69], -1
	s_waitcnt lgkmcnt(0)
	flat_load_dword v0, v[4:5] glc
	s_waitcnt vmcnt(0) lgkmcnt(0)
	buffer_invl2
	buffer_wbinvl1_vol
	v_cmp_eq_u32_e32 vcc, 0, v0
	s_and_b64 vcc, vcc, exec
	s_or_b64 s[66:67], s[66:67], vcc
.LBB10_312:                             ;   in Loop: Header=BB10_310 Depth=4
	s_andn2_b64 s[64:65], s[64:65], exec
	s_and_b64 s[68:69], s[68:69], exec
	s_mov_b64 vcc, -1
	s_or_b64 s[64:65], s[64:65], s[68:69]
	s_and_saveexec_b64 s[68:69], s[66:67]
	s_cbranch_execz .LBB10_309
; %bb.313:                              ;   in Loop: Header=BB10_310 Depth=4
	s_sleep 1
	s_trap 2
	ds_read_b64 v[4:5], v0
	s_andn2_b64 s[64:65], s[64:65], exec
	s_waitcnt lgkmcnt(0)
	v_cmp_ge_u64_e32 vcc, v[4:5], v[48:49]
	s_orn2_b64 vcc, vcc, exec
	s_branch .LBB10_309
.LBB10_314:                             ;   in Loop: Header=BB10_274 Depth=3
	s_or_b64 exec, exec, s[60:61]
	s_and_saveexec_b64 vcc, s[62:63]
	s_xor_b64 vcc, exec, vcc
	s_cbranch_execz .LBB10_316
; %bb.315:                              ;   in Loop: Header=BB10_274 Depth=3
	ds_write_b32 v0, v57
	s_trap 2
.LBB10_316:                             ;   in Loop: Header=BB10_274 Depth=3
	s_or_b64 exec, exec, s[58:59]
	;;#ASMSTART
	s_wakeup
	;;#ASMEND
.LBB10_317:                             ;   in Loop: Header=BB10_274 Depth=3
	s_or_b64 exec, exec, s[56:57]
.LBB10_318:                             ;   in Loop: Header=BB10_274 Depth=3
	s_andn2_saveexec_b64 vcc, s[30:31]
	s_cbranch_execz .LBB10_320
; %bb.319:                              ;   in Loop: Header=BB10_274 Depth=3
	s_waitcnt vmcnt(0) lgkmcnt(0)
	buffer_wbinvl1_vol
	s_barrier
.LBB10_320:                             ;   in Loop: Header=BB10_274 Depth=3
	s_or_b64 exec, exec, vcc
.LBB10_321:                             ;   in Loop: Header=BB10_274 Depth=3
	s_or_b64 exec, exec, s[28:29]
	s_trap 2
	ds_read_b32 v4, v0
	v_and_b32_e32 v0, 0x4000, v55
	v_cmp_ne_u32_e32 vcc, 0, v0
	s_xor_b64 s[28:29], s[6:7], -1
	s_and_b64 vcc, s[28:29], vcc
	s_and_saveexec_b64 s[28:29], vcc
	s_cbranch_execz .LBB10_340
; %bb.322:                              ;   in Loop: Header=BB10_274 Depth=3
	s_and_saveexec_b64 vcc, s[48:49]
	s_xor_b64 s[30:31], exec, vcc
	s_cbranch_execz .LBB10_337
; %bb.323:                              ;   in Loop: Header=BB10_274 Depth=3
	s_and_saveexec_b64 s[56:57], s[16:17]
	s_cbranch_execz .LBB10_336
; %bb.324:                              ;   in Loop: Header=BB10_274 Depth=3
	s_mov_b64 s[60:61], exec
	v_mbcnt_lo_u32_b32 v0, s60, 0
	v_mbcnt_hi_u32_b32 v0, s61, v0
	v_cmp_eq_u32_e32 vcc, 0, v0
	s_waitcnt vmcnt(0) lgkmcnt(0)
	buffer_wbinvl1_vol
	s_and_saveexec_b64 s[58:59], vcc
	s_cbranch_execz .LBB10_326
; %bb.325:                              ;   in Loop: Header=BB10_274 Depth=3
	s_bcnt1_i32_b64 vcc_lo, s[60:61]
	v_mov_b32_e32 v8, vcc_lo
	v_mov_b32_e32 v9, v52
	ds_add_u64 v0, v[8:9]
	s_trap 2
.LBB10_326:                             ;   in Loop: Header=BB10_274 Depth=3
	s_or_b64 exec, exec, s[58:59]
	s_trap 2
	ds_read_b64 v[8:9], v0
	v_add_co_u32_e32 v48, vcc, v48, v54
	v_addc_co_u32_e32 v49, vcc, 0, v49, vcc
	s_waitcnt lgkmcnt(0)
	v_cmp_lt_u64_e32 vcc, v[8:9], v[48:49]
	s_and_saveexec_b64 s[58:59], vcc
	s_cbranch_execz .LBB10_335
; %bb.327:                              ;   in Loop: Header=BB10_274 Depth=3
	s_mov_b32 s46, 0
	s_mov_b64 s[60:61], 0
                                        ; implicit-def: $sgpr62_sgpr63
                                        ; implicit-def: $sgpr64_sgpr65
	s_branch .LBB10_329
.LBB10_328:                             ;   in Loop: Header=BB10_329 Depth=4
	s_or_b64 exec, exec, s[68:69]
	s_and_b64 vcc, exec, vcc
	s_or_b64 s[60:61], vcc, s[60:61]
	s_andn2_b64 vcc, s[62:63], exec
	s_and_b64 s[62:63], s[64:65], exec
	s_or_b64 s[62:63], vcc, s[62:63]
	s_andn2_b64 exec, exec, s[60:61]
	s_cbranch_execz .LBB10_333
.LBB10_329:                             ;   Parent Loop BB10_47 Depth=1
                                        ;     Parent Loop BB10_271 Depth=2
                                        ;       Parent Loop BB10_274 Depth=3
                                        ; =>      This Inner Loop Header: Depth=4
	s_add_i32 s46, s46, 1
	s_cmpk_lg_i32 s46, 0x2710
	s_cselect_b64 s[66:67], -1, 0
	s_and_b64 vcc, exec, s[66:67]
                                        ; implicit-def: $sgpr68_sgpr69
	s_cbranch_vccnz .LBB10_331
; %bb.330:                              ;   in Loop: Header=BB10_329 Depth=4
	s_trap 2
	ds_read_b64 v[8:9], v0
	s_andn2_b64 s[66:67], s[66:67], exec
	s_mov_b32 s46, 0
	s_mov_b64 s[68:69], -1
	s_waitcnt lgkmcnt(0)
	flat_load_dword v0, v[8:9] glc
	s_waitcnt vmcnt(0) lgkmcnt(0)
	buffer_invl2
	buffer_wbinvl1_vol
	v_cmp_eq_u32_e32 vcc, 0, v0
	s_and_b64 vcc, vcc, exec
	s_or_b64 s[66:67], s[66:67], vcc
.LBB10_331:                             ;   in Loop: Header=BB10_329 Depth=4
	s_andn2_b64 s[64:65], s[64:65], exec
	s_and_b64 s[68:69], s[68:69], exec
	s_mov_b64 vcc, -1
	s_or_b64 s[64:65], s[64:65], s[68:69]
	s_and_saveexec_b64 s[68:69], s[66:67]
	s_cbranch_execz .LBB10_328
; %bb.332:                              ;   in Loop: Header=BB10_329 Depth=4
	s_sleep 1
	s_trap 2
	ds_read_b64 v[8:9], v0
	s_andn2_b64 s[64:65], s[64:65], exec
	s_waitcnt lgkmcnt(0)
	v_cmp_ge_u64_e32 vcc, v[8:9], v[48:49]
	s_orn2_b64 vcc, vcc, exec
	s_branch .LBB10_328
.LBB10_333:                             ;   in Loop: Header=BB10_274 Depth=3
	s_or_b64 exec, exec, s[60:61]
	s_and_saveexec_b64 vcc, s[62:63]
	s_xor_b64 vcc, exec, vcc
	s_cbranch_execz .LBB10_335
; %bb.334:                              ;   in Loop: Header=BB10_274 Depth=3
	ds_write_b32 v0, v57
	s_trap 2
.LBB10_335:                             ;   in Loop: Header=BB10_274 Depth=3
	s_or_b64 exec, exec, s[58:59]
	;;#ASMSTART
	s_wakeup
	;;#ASMEND
.LBB10_336:                             ;   in Loop: Header=BB10_274 Depth=3
	s_or_b64 exec, exec, s[56:57]
.LBB10_337:                             ;   in Loop: Header=BB10_274 Depth=3
	s_andn2_saveexec_b64 vcc, s[30:31]
	s_cbranch_execz .LBB10_339
; %bb.338:                              ;   in Loop: Header=BB10_274 Depth=3
	s_waitcnt vmcnt(0) lgkmcnt(0)
	buffer_wbinvl1_vol
	s_barrier
.LBB10_339:                             ;   in Loop: Header=BB10_274 Depth=3
	s_or_b64 exec, exec, vcc
.LBB10_340:                             ;   in Loop: Header=BB10_274 Depth=3
	s_or_b64 exec, exec, s[28:29]
	s_trap 2
	ds_read_b64 v[8:9], v0
	v_mov_b32_e32 v3, 0
	s_waitcnt lgkmcnt(0)
	v_readfirstlane_b32 s28, v8
	v_readfirstlane_b32 s29, v9
	s_cmp_eq_u64 s[28:29], 0
	s_cselect_b64 s[28:29], -1, 0
	s_or_b64 s[28:29], s[28:29], s[28:29]
	s_and_b64 vcc, exec, s[28:29]
	s_cbranch_vccnz .LBB10_382
; %bb.341:                              ;   in Loop: Header=BB10_274 Depth=3
	s_trap 2
	ds_read_b64 v[8:9], v0
	s_mov_b64 s[30:31], -1
	s_waitcnt lgkmcnt(0)
	v_readfirstlane_b32 s64, v8
	s_and_saveexec_b64 s[28:29], s[24:25]
	s_cbranch_execz .LBB10_343
; %bb.342:                              ;   in Loop: Header=BB10_274 Depth=3
	ds_read_b32 v0, v0 offset:720
	s_waitcnt lgkmcnt(0)
	v_and_b32_e32 v0, 15, v0
	v_cmp_eq_u32_e32 vcc, 0, v0
	s_orn2_b64 s[30:31], vcc, exec
.LBB10_343:                             ;   in Loop: Header=BB10_274 Depth=3
	s_or_b64 exec, exec, s[28:29]
	s_and_saveexec_b64 s[28:29], s[20:21]
	s_cbranch_execz .LBB10_345
; %bb.344:                              ;   in Loop: Header=BB10_274 Depth=3
	ds_read_b32 v0, v0 offset:784
	s_waitcnt lgkmcnt(0)
	v_and_b32_e32 v0, 15, v0
	v_cmp_eq_u32_e32 vcc, 0, v0
	s_and_b64 vcc, s[30:31], vcc
	s_andn2_b64 s[30:31], s[30:31], exec
	s_and_b64 vcc, vcc, exec
	s_or_b64 s[30:31], s[30:31], vcc
.LBB10_345:                             ;   in Loop: Header=BB10_274 Depth=3
	s_or_b64 exec, exec, s[28:29]
	v_cmp_eq_u32_e32 vcc, 0, v4
	v_cndmask_b32_e32 v3, 0, v2, vcc
	s_xor_b64 vcc, s[30:31], -1
	v_cndmask_b32_e64 v4, 0, 1, vcc
	v_mov_b32_e32 v0, 0
	v_lshlrev_b32_e32 v25, 1, v3
	s_mov_b64 s[28:29], -1
	;;#ASMSTART
	;;#ASMEND
	v_cmp_ne_u32_e32 vcc, 0, v4
	s_cbranch_vccz .LBB10_387
; %bb.346:                              ;   in Loop: Header=BB10_274 Depth=3
	v_mov_b32_e32 v12, v47
	v_mov_b32_e32 v4, v60
	s_and_saveexec_b64 s[30:31], s[28:29]
	s_cbranch_execz .LBB10_506
.LBB10_347:                             ;   in Loop: Header=BB10_274 Depth=3
	v_ashrrev_i32_e32 v5, 31, v25
	v_lshrrev_b32_e32 v5, 22, v5
	v_add_u32_e32 v5, v25, v5
	v_ashrrev_i32_e32 v15, 10, v5
	v_sub_u32_e32 v13, v15, v4
	v_ashrrev_i32_e32 v5, 31, v12
	v_cmp_lt_i32_e32 vcc, 0, v13
	v_lshrrev_b32_e32 v14, 26, v5
	s_and_saveexec_b64 s[56:57], vcc
	s_cbranch_execz .LBB10_455
; %bb.348:                              ;   in Loop: Header=BB10_274 Depth=3
	s_trap 2
	v_add_u32_e32 v5, v12, v14
	ds_read_b128 v[8:11], v0
	ds_read_b64 v[16:17], v0
	v_and_b32_e32 v5, 0x7fffffc0, v5
	v_sub_u32_e32 v5, v12, v5
	v_lshlrev_b32_e32 v5, 1, v5
	v_lshlrev_b32_e32 v4, 10, v4
	v_add3_u32 v18, v5, v0, v4
	v_ashrrev_i32_e32 v19, 31, v18
	s_waitcnt lgkmcnt(0)
	v_add_co_u32_e32 v4, vcc, v8, v18
	v_addc_co_u32_e32 v5, vcc, v9, v19, vcc
	v_add_co_u32_e32 v8, vcc, v10, v18
	v_addc_co_u32_e32 v9, vcc, v11, v19, vcc
	v_add_co_u32_e32 v10, vcc, 0x380, v16
	s_and_b32 s46, s64, 1
	v_addc_co_u32_e32 v11, vcc, 0, v17, vcc
	s_cmp_eq_u64 s[46:47], 0
	v_add_co_u32_e32 v10, vcc, v10, v18
	s_mov_b64 s[58:59], 0
	s_cselect_b64 s[28:29], -1, 0
	v_addc_co_u32_e32 v11, vcc, v11, v19, vcc
	s_branch .LBB10_350
.LBB10_349:                             ;   in Loop: Header=BB10_350 Depth=4
	s_or_b64 exec, exec, s[60:61]
	v_add_co_u32_e32 v38, vcc, 0xfffffc80, v10
	v_addc_co_u32_e32 v39, vcc, -1, v11, vcc
	flat_store_short_d16_hi v[38:39], v16 glc slc
	v_add_co_u32_e32 v38, vcc, 0xfffffd00, v10
	v_addc_co_u32_e32 v39, vcc, -1, v11, vcc
	v_add_co_u32_e32 v18, vcc, 0xfffffd80, v10
	flat_store_short_d16_hi v[38:39], v19 glc slc
	v_addc_co_u32_e32 v19, vcc, -1, v11, vcc
	flat_store_short_d16_hi v[18:19], v22 glc slc
	v_add_co_u32_e32 v18, vcc, 0xfffffe00, v10
	v_addc_co_u32_e32 v19, vcc, -1, v11, vcc
	flat_store_short_d16_hi v[18:19], v27 glc slc
	v_add_co_u32_e32 v18, vcc, 0xfffffe80, v10
	;; [unrolled: 3-line block ×4, first 2 shown]
	v_addc_co_u32_e32 v19, vcc, -1, v11, vcc
	v_add_co_u32_e32 v4, vcc, v4, v42
	v_addc_co_u32_e32 v5, vcc, v5, v43, vcc
	v_add_co_u32_e32 v8, vcc, v8, v42
	v_addc_co_u32_e32 v9, vcc, v9, v43, vcc
	v_sub_u32_e32 v13, v13, v54
	v_cmp_gt_i32_e32 vcc, 1, v13
	flat_store_short_d16_hi v[18:19], v20 glc slc
	flat_store_short_d16_hi v[10:11], v17 glc slc
	s_or_b64 s[58:59], vcc, s[58:59]
	v_add_co_u32_e32 v10, vcc, v10, v42
	v_addc_co_u32_e32 v11, vcc, v11, v43, vcc
	s_andn2_b64 exec, exec, s[58:59]
	s_cbranch_execz .LBB10_454
.LBB10_350:                             ;   Parent Loop BB10_47 Depth=1
                                        ;     Parent Loop BB10_271 Depth=2
                                        ;       Parent Loop BB10_274 Depth=3
                                        ; =>      This Inner Loop Header: Depth=4
	flat_load_ushort v22, v[4:5] offset:256 glc slc
	flat_load_ushort v27, v[4:5] offset:384 glc slc
	;; [unrolled: 1-line block ×12, first 2 shown]
	flat_load_ushort v16, v[4:5] glc slc
	flat_load_ushort v38, v[8:9] glc slc
	flat_load_ushort v19, v[4:5] offset:128 glc slc
	flat_load_ushort v60, v[8:9] offset:128 glc slc
	s_waitcnt vmcnt(0) lgkmcnt(0)
	v_lshlrev_b32_e32 v16, 16, v16
	v_lshlrev_b32_e32 v38, 16, v38
	v_max_f32_e32 v38, v38, v38
	v_max_f32_e32 v16, v16, v16
	v_min_f32_e32 v39, v16, v38
	v_max_f32_e32 v16, v16, v38
	v_cndmask_b32_e64 v46, v16, v39, s[28:29]
	v_and_b32_e32 v16, 0x7f800000, v46
	v_cmp_ne_u32_e32 vcc, s87, v16
                                        ; implicit-def: $vgpr16
	s_and_saveexec_b64 s[60:61], vcc
	s_xor_b64 vcc, exec, s[60:61]
; %bb.351:                              ;   in Loop: Header=BB10_350 Depth=4
	v_bfe_u32 v16, v46, 16, 1
	v_add3_u32 v16, v46, v16, s88
                                        ; implicit-def: $vgpr46
; %bb.352:                              ;   in Loop: Header=BB10_350 Depth=4
	s_andn2_saveexec_b64 s[60:61], vcc
; %bb.353:                              ;   in Loop: Header=BB10_350 Depth=4
	v_or_b32_e32 v16, 0x10000, v46
	v_cmp_eq_u32_sdwa vcc, v46, v52 src0_sel:WORD_0 src1_sel:DWORD
	v_cndmask_b32_e32 v16, v16, v46, vcc
; %bb.354:                              ;   in Loop: Header=BB10_350 Depth=4
	s_or_b64 exec, exec, s[60:61]
	v_lshlrev_b32_e32 v19, 16, v19
	v_lshlrev_b32_e32 v38, 16, v60
	v_max_f32_e32 v38, v38, v38
	v_max_f32_e32 v19, v19, v19
	v_min_f32_e32 v39, v19, v38
	v_max_f32_e32 v19, v19, v38
	v_cndmask_b32_e64 v46, v19, v39, s[28:29]
	v_and_b32_e32 v19, 0x7f800000, v46
	v_cmp_ne_u32_e32 vcc, s87, v19
                                        ; implicit-def: $vgpr19
	s_and_saveexec_b64 s[60:61], vcc
	s_xor_b64 vcc, exec, s[60:61]
; %bb.355:                              ;   in Loop: Header=BB10_350 Depth=4
	v_bfe_u32 v19, v46, 16, 1
	v_add3_u32 v19, v46, v19, s88
                                        ; implicit-def: $vgpr46
; %bb.356:                              ;   in Loop: Header=BB10_350 Depth=4
	s_andn2_saveexec_b64 s[60:61], vcc
; %bb.357:                              ;   in Loop: Header=BB10_350 Depth=4
	v_or_b32_e32 v19, 0x10000, v46
	v_cmp_eq_u32_sdwa vcc, v46, v52 src0_sel:WORD_0 src1_sel:DWORD
	v_cndmask_b32_e32 v19, v19, v46, vcc
; %bb.358:                              ;   in Loop: Header=BB10_350 Depth=4
	s_or_b64 exec, exec, s[60:61]
	v_lshlrev_b32_e32 v22, 16, v22
	v_lshlrev_b32_e32 v38, 16, v59
	v_max_f32_e32 v38, v38, v38
	v_max_f32_e32 v22, v22, v22
	v_min_f32_e32 v39, v22, v38
	v_max_f32_e32 v22, v22, v38
	v_cndmask_b32_e64 v46, v22, v39, s[28:29]
	v_and_b32_e32 v22, 0x7f800000, v46
	v_cmp_ne_u32_e32 vcc, s87, v22
                                        ; implicit-def: $vgpr22
	s_and_saveexec_b64 s[60:61], vcc
	s_xor_b64 vcc, exec, s[60:61]
; %bb.359:                              ;   in Loop: Header=BB10_350 Depth=4
	v_bfe_u32 v22, v46, 16, 1
	v_add3_u32 v22, v46, v22, s88
                                        ; implicit-def: $vgpr46
; %bb.360:                              ;   in Loop: Header=BB10_350 Depth=4
	s_andn2_saveexec_b64 s[60:61], vcc
; %bb.361:                              ;   in Loop: Header=BB10_350 Depth=4
	v_or_b32_e32 v22, 0x10000, v46
	v_cmp_eq_u32_sdwa vcc, v46, v52 src0_sel:WORD_0 src1_sel:DWORD
	v_cndmask_b32_e32 v22, v22, v46, vcc
; %bb.362:                              ;   in Loop: Header=BB10_350 Depth=4
	s_or_b64 exec, exec, s[60:61]
	v_lshlrev_b32_e32 v27, 16, v27
	v_lshlrev_b32_e32 v38, 16, v58
	v_max_f32_e32 v38, v38, v38
	v_max_f32_e32 v27, v27, v27
	v_min_f32_e32 v39, v27, v38
	v_max_f32_e32 v27, v27, v38
	v_cndmask_b32_e64 v46, v27, v39, s[28:29]
	v_and_b32_e32 v27, 0x7f800000, v46
	v_cmp_ne_u32_e32 vcc, s87, v27
                                        ; implicit-def: $vgpr27
	s_and_saveexec_b64 s[60:61], vcc
	s_xor_b64 vcc, exec, s[60:61]
; %bb.363:                              ;   in Loop: Header=BB10_350 Depth=4
	v_bfe_u32 v27, v46, 16, 1
	v_add3_u32 v27, v46, v27, s88
                                        ; implicit-def: $vgpr46
; %bb.364:                              ;   in Loop: Header=BB10_350 Depth=4
	s_andn2_saveexec_b64 s[60:61], vcc
; %bb.365:                              ;   in Loop: Header=BB10_350 Depth=4
	v_or_b32_e32 v27, 0x10000, v46
	v_cmp_eq_u32_sdwa vcc, v46, v52 src0_sel:WORD_0 src1_sel:DWORD
	v_cndmask_b32_e32 v27, v27, v46, vcc
; %bb.366:                              ;   in Loop: Header=BB10_350 Depth=4
	s_or_b64 exec, exec, s[60:61]
	v_lshlrev_b32_e32 v38, 16, v56
	v_lshlrev_b32_e32 v39, 16, v57
	v_max_f32_e32 v39, v39, v39
	v_max_f32_e32 v38, v38, v38
	v_min_f32_e32 v46, v38, v39
	v_max_f32_e32 v38, v38, v39
	v_cndmask_b32_e64 v46, v38, v46, s[28:29]
	v_and_b32_e32 v38, 0x7f800000, v46
	v_cmp_ne_u32_e32 vcc, s87, v38
                                        ; implicit-def: $vgpr56
	s_and_saveexec_b64 s[60:61], vcc
	s_xor_b64 vcc, exec, s[60:61]
; %bb.367:                              ;   in Loop: Header=BB10_350 Depth=4
	v_bfe_u32 v38, v46, 16, 1
	v_add3_u32 v56, v46, v38, s88
                                        ; implicit-def: $vgpr46
; %bb.368:                              ;   in Loop: Header=BB10_350 Depth=4
	s_andn2_saveexec_b64 s[60:61], vcc
; %bb.369:                              ;   in Loop: Header=BB10_350 Depth=4
	v_or_b32_e32 v38, 0x10000, v46
	v_cmp_eq_u32_sdwa vcc, v46, v52 src0_sel:WORD_0 src1_sel:DWORD
	v_cndmask_b32_e32 v56, v38, v46, vcc
; %bb.370:                              ;   in Loop: Header=BB10_350 Depth=4
	s_or_b64 exec, exec, s[60:61]
	v_lshlrev_b32_e32 v23, 16, v23
	v_lshlrev_b32_e32 v38, 16, v53
	v_max_f32_e32 v38, v38, v38
	v_max_f32_e32 v23, v23, v23
	v_min_f32_e32 v39, v23, v38
	v_max_f32_e32 v23, v23, v38
	v_cndmask_b32_e64 v53, v23, v39, s[28:29]
	v_and_b32_e32 v23, 0x7f800000, v53
	v_cmp_ne_u32_e32 vcc, s87, v23
                                        ; implicit-def: $vgpr23
	s_and_saveexec_b64 s[60:61], vcc
	s_xor_b64 vcc, exec, s[60:61]
; %bb.371:                              ;   in Loop: Header=BB10_350 Depth=4
	v_bfe_u32 v23, v53, 16, 1
	v_add3_u32 v23, v53, v23, s88
                                        ; implicit-def: $vgpr53
; %bb.372:                              ;   in Loop: Header=BB10_350 Depth=4
	s_andn2_saveexec_b64 s[60:61], vcc
; %bb.373:                              ;   in Loop: Header=BB10_350 Depth=4
	v_or_b32_e32 v23, 0x10000, v53
	v_cmp_eq_u32_sdwa vcc, v53, v52 src0_sel:WORD_0 src1_sel:DWORD
	v_cndmask_b32_e32 v23, v23, v53, vcc
; %bb.374:                              ;   in Loop: Header=BB10_350 Depth=4
	s_or_b64 exec, exec, s[60:61]
	v_lshlrev_b32_e32 v20, 16, v20
	v_lshlrev_b32_e32 v21, 16, v21
	v_max_f32_e32 v21, v21, v21
	v_max_f32_e32 v20, v20, v20
	v_min_f32_e32 v38, v20, v21
	v_max_f32_e32 v20, v20, v21
	v_cndmask_b32_e64 v21, v20, v38, s[28:29]
	v_and_b32_e32 v20, 0x7f800000, v21
	v_cmp_ne_u32_e32 vcc, s87, v20
                                        ; implicit-def: $vgpr20
	s_and_saveexec_b64 s[60:61], vcc
	s_xor_b64 vcc, exec, s[60:61]
; %bb.375:                              ;   in Loop: Header=BB10_350 Depth=4
	v_bfe_u32 v20, v21, 16, 1
	v_add3_u32 v20, v21, v20, s88
                                        ; implicit-def: $vgpr21
; %bb.376:                              ;   in Loop: Header=BB10_350 Depth=4
	s_andn2_saveexec_b64 s[60:61], vcc
; %bb.377:                              ;   in Loop: Header=BB10_350 Depth=4
	v_or_b32_e32 v20, 0x10000, v21
	v_cmp_eq_u32_sdwa vcc, v21, v52 src0_sel:WORD_0 src1_sel:DWORD
	v_cndmask_b32_e32 v20, v20, v21, vcc
; %bb.378:                              ;   in Loop: Header=BB10_350 Depth=4
	s_or_b64 exec, exec, s[60:61]
	v_lshlrev_b32_e32 v17, 16, v17
	v_lshlrev_b32_e32 v18, 16, v18
	v_max_f32_e32 v18, v18, v18
	v_max_f32_e32 v17, v17, v17
	v_min_f32_e32 v21, v17, v18
	v_max_f32_e32 v17, v17, v18
	v_cndmask_b32_e64 v18, v17, v21, s[28:29]
	v_and_b32_e32 v17, 0x7f800000, v18
	v_cmp_ne_u32_e32 vcc, s87, v17
                                        ; implicit-def: $vgpr17
	s_and_saveexec_b64 s[60:61], vcc
	s_xor_b64 vcc, exec, s[60:61]
; %bb.379:                              ;   in Loop: Header=BB10_350 Depth=4
	v_bfe_u32 v17, v18, 16, 1
	v_add3_u32 v17, v18, v17, s88
                                        ; implicit-def: $vgpr18
; %bb.380:                              ;   in Loop: Header=BB10_350 Depth=4
	s_andn2_saveexec_b64 s[60:61], vcc
	s_cbranch_execz .LBB10_349
; %bb.381:                              ;   in Loop: Header=BB10_350 Depth=4
	v_or_b32_e32 v17, 0x10000, v18
	v_cmp_eq_u32_sdwa vcc, v18, v52 src0_sel:WORD_0 src1_sel:DWORD
	v_cndmask_b32_e32 v17, v17, v18, vcc
	s_branch .LBB10_349
.LBB10_382:                             ;   in Loop: Header=BB10_274 Depth=3
	s_and_saveexec_b64 s[28:29], s[10:11]
	s_cbranch_execnz .LBB10_507
.LBB10_383:                             ;   in Loop: Header=BB10_274 Depth=3
	s_or_b64 exec, exec, s[28:29]
                                        ; implicit-def: $vgpr0
	s_and_saveexec_b64 s[28:29], s[22:23]
	s_xor_b64 s[30:31], exec, s[28:29]
	s_cbranch_execz .LBB10_525
.LBB10_384:                             ;   in Loop: Header=BB10_274 Depth=3
	v_cmp_lt_i32_e32 vcc, 0, v3
	v_and_b32_e32 v3, 16, v55
	v_cmp_ne_u32_e64 s[28:29], 0, v3
	v_and_b32_e32 v0, 16, v55
	s_and_b64 vcc, s[28:29], vcc
	s_and_saveexec_b64 s[28:29], vcc
	s_cbranch_execz .LBB10_386
; %bb.385:                              ;   in Loop: Header=BB10_274 Depth=3
	v_mov_b32_e32 v0, 1
	s_waitcnt vmcnt(0) lgkmcnt(0)
	buffer_wbinvl1_vol
.LBB10_386:                             ;   in Loop: Header=BB10_274 Depth=3
	s_or_b64 exec, exec, s[28:29]
	s_andn2_saveexec_b64 s[28:29], s[30:31]
	s_cbranch_execz .LBB10_544
	s_branch .LBB10_526
.LBB10_387:                             ;   in Loop: Header=BB10_274 Depth=3
	v_ashrrev_i32_e32 v0, 31, v25
	v_lshrrev_b32_e32 v0, 21, v0
	v_add_u32_e32 v0, v25, v0
	v_ashrrev_i32_e32 v53, 11, v0
	v_sub_u32_e32 v27, v53, v60
	v_cmp_lt_i32_e32 vcc, 0, v27
	s_and_saveexec_b64 s[30:31], vcc
	s_cbranch_execz .LBB10_465
; %bb.388:                              ;   in Loop: Header=BB10_274 Depth=3
	s_trap 2
	ds_read_b128 v[8:11], v0
	ds_read_b64 v[12:13], v0
	v_accvgpr_read_b32 v0, a26
	v_accvgpr_read_b32 v15, a27
	s_and_b32 s46, s64, 1
	s_waitcnt lgkmcnt(0)
	v_add_co_u32_e32 v4, vcc, v8, v0
	v_addc_co_u32_e32 v5, vcc, v9, v15, vcc
	v_add_co_u32_e32 v58, vcc, v10, v0
	v_addc_co_u32_e32 v59, vcc, v11, v15, vcc
	;; [unrolled: 2-line block ×3, first 2 shown]
	s_cmp_eq_u64 s[46:47], 0
	s_mov_b64 s[56:57], 0
	s_cselect_b64 vcc, -1, 0
	s_branch .LBB10_390
.LBB10_389:                             ;   in Loop: Header=BB10_390 Depth=4
	s_or_b64 exec, exec, s[58:59]
	v_lshrrev_b32_e32 v0, 16, v0
	v_and_or_b32 v16, v16, s89, v0
	v_lshrrev_b32_e32 v0, 16, v21
	v_and_or_b32 v18, v18, s89, v0
	v_lshrrev_b32_e32 v0, 16, v22
	v_add_co_u32_e64 v4, s[28:29], v4, v28
	v_and_or_b32 v19, v19, s89, v0
	v_lshrrev_b32_e32 v0, 16, v12
	v_addc_co_u32_e64 v5, s[28:29], v5, v29, s[28:29]
	v_and_or_b32 v9, v9, s89, v0
	v_lshrrev_b32_e32 v0, 16, v23
	v_add_co_u32_e64 v58, s[28:29], v58, v28
	v_lshrrev_b32_e32 v15, 16, v20
	v_and_or_b32 v8, v8, s89, v0
	v_lshrrev_b32_e32 v0, 16, v13
	v_addc_co_u32_e64 v59, s[28:29], v59, v29, s[28:29]
	v_sub_u32_e32 v27, v27, v54
	v_and_or_b32 v17, v17, s89, v15
	v_and_or_b32 v10, v10, s89, v0
	v_lshrrev_b32_e32 v0, 16, v14
	v_cmp_gt_i32_e64 s[28:29], 1, v27
	v_and_or_b32 v11, v11, s89, v0
	global_store_dwordx4 v[56:57], v[16:19], off glc slc
	global_store_dwordx4 v[56:57], v[8:11], off offset:1024 glc slc
	s_or_b64 s[56:57], s[28:29], s[56:57]
	v_add_co_u32_e64 v56, s[28:29], v56, v28
	v_addc_co_u32_e64 v57, s[28:29], v57, v29, s[28:29]
	s_andn2_b64 exec, exec, s[56:57]
	s_cbranch_execz .LBB10_464
.LBB10_390:                             ;   Parent Loop BB10_47 Depth=1
                                        ;     Parent Loop BB10_271 Depth=2
                                        ;       Parent Loop BB10_274 Depth=3
                                        ; =>      This Inner Loop Header: Depth=4
	global_load_dwordx4 v[16:19], v[4:5], off glc slc
	global_load_dwordx4 v[20:23], v[58:59], off glc slc
	global_load_dwordx4 v[8:11], v[4:5], off offset:1024 glc slc
	global_load_dwordx4 v[12:15], v[58:59], off offset:1024 glc slc
	s_waitcnt vmcnt(0)
	v_lshlrev_b32_e32 v0, 16, v16
	v_lshlrev_b32_e32 v38, 16, v20
	v_max_f32_e32 v38, v38, v38
	v_max_f32_e32 v0, v0, v0
	v_min_f32_e32 v39, v0, v38
	v_max_f32_e32 v0, v0, v38
	v_cndmask_b32_e32 v60, v0, v39, vcc
	v_and_b32_e32 v0, 0x7f800000, v60
	v_cmp_ne_u32_e64 s[28:29], s87, v0
                                        ; implicit-def: $vgpr0
	s_and_saveexec_b64 s[58:59], s[28:29]
	s_xor_b64 s[28:29], exec, s[58:59]
; %bb.391:                              ;   in Loop: Header=BB10_390 Depth=4
	v_bfe_u32 v0, v60, 16, 1
	v_add3_u32 v0, v60, v0, s88
                                        ; implicit-def: $vgpr60
; %bb.392:                              ;   in Loop: Header=BB10_390 Depth=4
	s_andn2_saveexec_b64 s[58:59], s[28:29]
; %bb.393:                              ;   in Loop: Header=BB10_390 Depth=4
	v_or_b32_e32 v0, 0x10000, v60
	v_cmp_eq_u32_sdwa s[28:29], v60, v52 src0_sel:WORD_0 src1_sel:DWORD
	v_cndmask_b32_e64 v0, v0, v60, s[28:29]
; %bb.394:                              ;   in Loop: Header=BB10_390 Depth=4
	s_or_b64 exec, exec, s[58:59]
	v_and_b32_e32 v16, 0xffff0000, v16
	v_and_b32_e32 v20, 0xffff0000, v20
	v_max_f32_e32 v20, v20, v20
	v_max_f32_e32 v16, v16, v16
	v_min_f32_e32 v38, v16, v20
	v_max_f32_e32 v16, v16, v20
	v_cndmask_b32_e32 v20, v16, v38, vcc
	v_and_b32_e32 v16, 0x7f800000, v20
	v_cmp_ne_u32_e64 s[28:29], s87, v16
                                        ; implicit-def: $vgpr16
	s_and_saveexec_b64 s[58:59], s[28:29]
	s_xor_b64 s[28:29], exec, s[58:59]
; %bb.395:                              ;   in Loop: Header=BB10_390 Depth=4
	v_bfe_u32 v16, v20, 16, 1
	v_add3_u32 v16, v20, v16, s88
                                        ; implicit-def: $vgpr20
; %bb.396:                              ;   in Loop: Header=BB10_390 Depth=4
	s_andn2_saveexec_b64 s[58:59], s[28:29]
; %bb.397:                              ;   in Loop: Header=BB10_390 Depth=4
	v_or_b32_e32 v16, 0x10000, v20
	v_cmp_eq_u32_sdwa s[28:29], v20, v52 src0_sel:WORD_0 src1_sel:DWORD
	v_cndmask_b32_e64 v16, v16, v20, s[28:29]
; %bb.398:                              ;   in Loop: Header=BB10_390 Depth=4
	s_or_b64 exec, exec, s[58:59]
	v_lshlrev_b32_e32 v20, 16, v17
	v_lshlrev_b32_e32 v38, 16, v21
	v_max_f32_e32 v38, v38, v38
	v_max_f32_e32 v20, v20, v20
	v_min_f32_e32 v39, v20, v38
	v_max_f32_e32 v20, v20, v38
	v_cndmask_b32_e32 v60, v20, v39, vcc
	v_and_b32_e32 v20, 0x7f800000, v60
	v_cmp_ne_u32_e64 s[28:29], s87, v20
                                        ; implicit-def: $vgpr20
	s_and_saveexec_b64 s[58:59], s[28:29]
	s_xor_b64 s[28:29], exec, s[58:59]
; %bb.399:                              ;   in Loop: Header=BB10_390 Depth=4
	v_bfe_u32 v20, v60, 16, 1
	v_add3_u32 v20, v60, v20, s88
                                        ; implicit-def: $vgpr60
; %bb.400:                              ;   in Loop: Header=BB10_390 Depth=4
	s_andn2_saveexec_b64 s[58:59], s[28:29]
; %bb.401:                              ;   in Loop: Header=BB10_390 Depth=4
	v_or_b32_e32 v20, 0x10000, v60
	v_cmp_eq_u32_sdwa s[28:29], v60, v52 src0_sel:WORD_0 src1_sel:DWORD
	v_cndmask_b32_e64 v20, v20, v60, s[28:29]
; %bb.402:                              ;   in Loop: Header=BB10_390 Depth=4
	s_or_b64 exec, exec, s[58:59]
	v_and_b32_e32 v17, 0xffff0000, v17
	v_and_b32_e32 v21, 0xffff0000, v21
	v_max_f32_e32 v21, v21, v21
	v_max_f32_e32 v17, v17, v17
	v_min_f32_e32 v38, v17, v21
	v_max_f32_e32 v17, v17, v21
	v_cndmask_b32_e32 v21, v17, v38, vcc
	v_and_b32_e32 v17, 0x7f800000, v21
	v_cmp_ne_u32_e64 s[28:29], s87, v17
                                        ; implicit-def: $vgpr17
	s_and_saveexec_b64 s[58:59], s[28:29]
	s_xor_b64 s[28:29], exec, s[58:59]
; %bb.403:                              ;   in Loop: Header=BB10_390 Depth=4
	v_bfe_u32 v17, v21, 16, 1
	v_add3_u32 v17, v21, v17, s88
                                        ; implicit-def: $vgpr21
; %bb.404:                              ;   in Loop: Header=BB10_390 Depth=4
	s_andn2_saveexec_b64 s[58:59], s[28:29]
; %bb.405:                              ;   in Loop: Header=BB10_390 Depth=4
	v_or_b32_e32 v17, 0x10000, v21
	v_cmp_eq_u32_sdwa s[28:29], v21, v52 src0_sel:WORD_0 src1_sel:DWORD
	v_cndmask_b32_e64 v17, v17, v21, s[28:29]
; %bb.406:                              ;   in Loop: Header=BB10_390 Depth=4
	s_or_b64 exec, exec, s[58:59]
	v_lshlrev_b32_e32 v21, 16, v18
	v_lshlrev_b32_e32 v38, 16, v22
	v_max_f32_e32 v38, v38, v38
	v_max_f32_e32 v21, v21, v21
	v_min_f32_e32 v39, v21, v38
	v_max_f32_e32 v21, v21, v38
	v_cndmask_b32_e32 v60, v21, v39, vcc
	v_and_b32_e32 v21, 0x7f800000, v60
	v_cmp_ne_u32_e64 s[28:29], s87, v21
                                        ; implicit-def: $vgpr21
	s_and_saveexec_b64 s[58:59], s[28:29]
	s_xor_b64 s[28:29], exec, s[58:59]
; %bb.407:                              ;   in Loop: Header=BB10_390 Depth=4
	v_bfe_u32 v21, v60, 16, 1
	v_add3_u32 v21, v60, v21, s88
                                        ; implicit-def: $vgpr60
; %bb.408:                              ;   in Loop: Header=BB10_390 Depth=4
	s_andn2_saveexec_b64 s[58:59], s[28:29]
; %bb.409:                              ;   in Loop: Header=BB10_390 Depth=4
	v_or_b32_e32 v21, 0x10000, v60
	v_cmp_eq_u32_sdwa s[28:29], v60, v52 src0_sel:WORD_0 src1_sel:DWORD
	v_cndmask_b32_e64 v21, v21, v60, s[28:29]
; %bb.410:                              ;   in Loop: Header=BB10_390 Depth=4
	s_or_b64 exec, exec, s[58:59]
	v_and_b32_e32 v18, 0xffff0000, v18
	v_and_b32_e32 v22, 0xffff0000, v22
	v_max_f32_e32 v22, v22, v22
	v_max_f32_e32 v18, v18, v18
	v_min_f32_e32 v38, v18, v22
	v_max_f32_e32 v18, v18, v22
	v_cndmask_b32_e32 v22, v18, v38, vcc
	v_and_b32_e32 v18, 0x7f800000, v22
	v_cmp_ne_u32_e64 s[28:29], s87, v18
                                        ; implicit-def: $vgpr18
	s_and_saveexec_b64 s[58:59], s[28:29]
	s_xor_b64 s[28:29], exec, s[58:59]
; %bb.411:                              ;   in Loop: Header=BB10_390 Depth=4
	v_bfe_u32 v18, v22, 16, 1
	v_add3_u32 v18, v22, v18, s88
                                        ; implicit-def: $vgpr22
; %bb.412:                              ;   in Loop: Header=BB10_390 Depth=4
	s_andn2_saveexec_b64 s[58:59], s[28:29]
; %bb.413:                              ;   in Loop: Header=BB10_390 Depth=4
	v_or_b32_e32 v18, 0x10000, v22
	v_cmp_eq_u32_sdwa s[28:29], v22, v52 src0_sel:WORD_0 src1_sel:DWORD
	v_cndmask_b32_e64 v18, v18, v22, s[28:29]
; %bb.414:                              ;   in Loop: Header=BB10_390 Depth=4
	s_or_b64 exec, exec, s[58:59]
	v_lshlrev_b32_e32 v22, 16, v19
	v_lshlrev_b32_e32 v38, 16, v23
	v_max_f32_e32 v38, v38, v38
	v_max_f32_e32 v22, v22, v22
	v_min_f32_e32 v39, v22, v38
	v_max_f32_e32 v22, v22, v38
	v_cndmask_b32_e32 v60, v22, v39, vcc
	v_and_b32_e32 v22, 0x7f800000, v60
	v_cmp_ne_u32_e64 s[28:29], s87, v22
                                        ; implicit-def: $vgpr22
	s_and_saveexec_b64 s[58:59], s[28:29]
	s_xor_b64 s[28:29], exec, s[58:59]
; %bb.415:                              ;   in Loop: Header=BB10_390 Depth=4
	v_bfe_u32 v22, v60, 16, 1
	v_add3_u32 v22, v60, v22, s88
                                        ; implicit-def: $vgpr60
; %bb.416:                              ;   in Loop: Header=BB10_390 Depth=4
	s_andn2_saveexec_b64 s[58:59], s[28:29]
; %bb.417:                              ;   in Loop: Header=BB10_390 Depth=4
	v_or_b32_e32 v22, 0x10000, v60
	v_cmp_eq_u32_sdwa s[28:29], v60, v52 src0_sel:WORD_0 src1_sel:DWORD
	v_cndmask_b32_e64 v22, v22, v60, s[28:29]
; %bb.418:                              ;   in Loop: Header=BB10_390 Depth=4
	s_or_b64 exec, exec, s[58:59]
	v_and_b32_e32 v19, 0xffff0000, v19
	v_and_b32_e32 v23, 0xffff0000, v23
	v_max_f32_e32 v23, v23, v23
	v_max_f32_e32 v19, v19, v19
	v_min_f32_e32 v38, v19, v23
	v_max_f32_e32 v19, v19, v23
	v_cndmask_b32_e32 v23, v19, v38, vcc
	v_and_b32_e32 v19, 0x7f800000, v23
	v_cmp_ne_u32_e64 s[28:29], s87, v19
                                        ; implicit-def: $vgpr19
	s_and_saveexec_b64 s[58:59], s[28:29]
	s_xor_b64 s[28:29], exec, s[58:59]
; %bb.419:                              ;   in Loop: Header=BB10_390 Depth=4
	v_bfe_u32 v19, v23, 16, 1
	v_add3_u32 v19, v23, v19, s88
                                        ; implicit-def: $vgpr23
; %bb.420:                              ;   in Loop: Header=BB10_390 Depth=4
	s_andn2_saveexec_b64 s[58:59], s[28:29]
; %bb.421:                              ;   in Loop: Header=BB10_390 Depth=4
	v_or_b32_e32 v19, 0x10000, v23
	v_cmp_eq_u32_sdwa s[28:29], v23, v52 src0_sel:WORD_0 src1_sel:DWORD
	v_cndmask_b32_e64 v19, v19, v23, s[28:29]
; %bb.422:                              ;   in Loop: Header=BB10_390 Depth=4
	s_or_b64 exec, exec, s[58:59]
	v_lshlrev_b32_e32 v23, 16, v8
	v_lshlrev_b32_e32 v38, 16, v12
	v_max_f32_e32 v38, v38, v38
	v_max_f32_e32 v23, v23, v23
	v_min_f32_e32 v39, v23, v38
	v_max_f32_e32 v23, v23, v38
	v_cndmask_b32_e32 v60, v23, v39, vcc
	v_and_b32_e32 v23, 0x7f800000, v60
	v_cmp_ne_u32_e64 s[28:29], s87, v23
                                        ; implicit-def: $vgpr23
	s_and_saveexec_b64 s[58:59], s[28:29]
	s_xor_b64 s[28:29], exec, s[58:59]
; %bb.423:                              ;   in Loop: Header=BB10_390 Depth=4
	v_bfe_u32 v23, v60, 16, 1
	v_add3_u32 v23, v60, v23, s88
                                        ; implicit-def: $vgpr60
; %bb.424:                              ;   in Loop: Header=BB10_390 Depth=4
	s_andn2_saveexec_b64 s[58:59], s[28:29]
; %bb.425:                              ;   in Loop: Header=BB10_390 Depth=4
	v_or_b32_e32 v23, 0x10000, v60
	v_cmp_eq_u32_sdwa s[28:29], v60, v52 src0_sel:WORD_0 src1_sel:DWORD
	v_cndmask_b32_e64 v23, v23, v60, s[28:29]
; %bb.426:                              ;   in Loop: Header=BB10_390 Depth=4
	s_or_b64 exec, exec, s[58:59]
	v_and_b32_e32 v8, 0xffff0000, v8
	v_and_b32_e32 v12, 0xffff0000, v12
	v_max_f32_e32 v12, v12, v12
	v_max_f32_e32 v8, v8, v8
	v_min_f32_e32 v38, v8, v12
	v_max_f32_e32 v8, v8, v12
	v_cndmask_b32_e32 v12, v8, v38, vcc
	v_and_b32_e32 v8, 0x7f800000, v12
	v_cmp_ne_u32_e64 s[28:29], s87, v8
                                        ; implicit-def: $vgpr8
	s_and_saveexec_b64 s[58:59], s[28:29]
	s_xor_b64 s[28:29], exec, s[58:59]
; %bb.427:                              ;   in Loop: Header=BB10_390 Depth=4
	v_bfe_u32 v8, v12, 16, 1
	v_add3_u32 v8, v12, v8, s88
                                        ; implicit-def: $vgpr12
; %bb.428:                              ;   in Loop: Header=BB10_390 Depth=4
	s_andn2_saveexec_b64 s[58:59], s[28:29]
; %bb.429:                              ;   in Loop: Header=BB10_390 Depth=4
	v_or_b32_e32 v8, 0x10000, v12
	v_cmp_eq_u32_sdwa s[28:29], v12, v52 src0_sel:WORD_0 src1_sel:DWORD
	v_cndmask_b32_e64 v8, v8, v12, s[28:29]
; %bb.430:                              ;   in Loop: Header=BB10_390 Depth=4
	s_or_b64 exec, exec, s[58:59]
	v_lshlrev_b32_e32 v12, 16, v9
	v_lshlrev_b32_e32 v38, 16, v13
	v_max_f32_e32 v38, v38, v38
	v_max_f32_e32 v12, v12, v12
	v_min_f32_e32 v39, v12, v38
	v_max_f32_e32 v12, v12, v38
	v_cndmask_b32_e32 v60, v12, v39, vcc
	v_and_b32_e32 v12, 0x7f800000, v60
	v_cmp_ne_u32_e64 s[28:29], s87, v12
                                        ; implicit-def: $vgpr12
	s_and_saveexec_b64 s[58:59], s[28:29]
	s_xor_b64 s[28:29], exec, s[58:59]
; %bb.431:                              ;   in Loop: Header=BB10_390 Depth=4
	v_bfe_u32 v12, v60, 16, 1
	v_add3_u32 v12, v60, v12, s88
                                        ; implicit-def: $vgpr60
; %bb.432:                              ;   in Loop: Header=BB10_390 Depth=4
	s_andn2_saveexec_b64 s[58:59], s[28:29]
; %bb.433:                              ;   in Loop: Header=BB10_390 Depth=4
	v_or_b32_e32 v12, 0x10000, v60
	v_cmp_eq_u32_sdwa s[28:29], v60, v52 src0_sel:WORD_0 src1_sel:DWORD
	v_cndmask_b32_e64 v12, v12, v60, s[28:29]
; %bb.434:                              ;   in Loop: Header=BB10_390 Depth=4
	s_or_b64 exec, exec, s[58:59]
	v_and_b32_e32 v9, 0xffff0000, v9
	v_and_b32_e32 v13, 0xffff0000, v13
	v_max_f32_e32 v13, v13, v13
	v_max_f32_e32 v9, v9, v9
	v_min_f32_e32 v38, v9, v13
	v_max_f32_e32 v9, v9, v13
	v_cndmask_b32_e32 v13, v9, v38, vcc
	v_and_b32_e32 v9, 0x7f800000, v13
	v_cmp_ne_u32_e64 s[28:29], s87, v9
                                        ; implicit-def: $vgpr9
	s_and_saveexec_b64 s[58:59], s[28:29]
	s_xor_b64 s[28:29], exec, s[58:59]
; %bb.435:                              ;   in Loop: Header=BB10_390 Depth=4
	v_bfe_u32 v9, v13, 16, 1
	v_add3_u32 v9, v13, v9, s88
                                        ; implicit-def: $vgpr13
; %bb.436:                              ;   in Loop: Header=BB10_390 Depth=4
	s_andn2_saveexec_b64 s[58:59], s[28:29]
; %bb.437:                              ;   in Loop: Header=BB10_390 Depth=4
	v_or_b32_e32 v9, 0x10000, v13
	v_cmp_eq_u32_sdwa s[28:29], v13, v52 src0_sel:WORD_0 src1_sel:DWORD
	v_cndmask_b32_e64 v9, v9, v13, s[28:29]
; %bb.438:                              ;   in Loop: Header=BB10_390 Depth=4
	s_or_b64 exec, exec, s[58:59]
	v_lshlrev_b32_e32 v13, 16, v10
	v_lshlrev_b32_e32 v38, 16, v14
	v_max_f32_e32 v38, v38, v38
	v_max_f32_e32 v13, v13, v13
	v_min_f32_e32 v39, v13, v38
	v_max_f32_e32 v13, v13, v38
	v_cndmask_b32_e32 v60, v13, v39, vcc
	v_and_b32_e32 v13, 0x7f800000, v60
	v_cmp_ne_u32_e64 s[28:29], s87, v13
                                        ; implicit-def: $vgpr13
	s_and_saveexec_b64 s[58:59], s[28:29]
	s_xor_b64 s[28:29], exec, s[58:59]
; %bb.439:                              ;   in Loop: Header=BB10_390 Depth=4
	v_bfe_u32 v13, v60, 16, 1
	v_add3_u32 v13, v60, v13, s88
                                        ; implicit-def: $vgpr60
; %bb.440:                              ;   in Loop: Header=BB10_390 Depth=4
	s_andn2_saveexec_b64 s[58:59], s[28:29]
; %bb.441:                              ;   in Loop: Header=BB10_390 Depth=4
	v_or_b32_e32 v13, 0x10000, v60
	v_cmp_eq_u32_sdwa s[28:29], v60, v52 src0_sel:WORD_0 src1_sel:DWORD
	v_cndmask_b32_e64 v13, v13, v60, s[28:29]
; %bb.442:                              ;   in Loop: Header=BB10_390 Depth=4
	s_or_b64 exec, exec, s[58:59]
	v_and_b32_e32 v10, 0xffff0000, v10
	v_and_b32_e32 v14, 0xffff0000, v14
	v_max_f32_e32 v14, v14, v14
	v_max_f32_e32 v10, v10, v10
	v_min_f32_e32 v38, v10, v14
	v_max_f32_e32 v10, v10, v14
	v_cndmask_b32_e32 v14, v10, v38, vcc
	v_and_b32_e32 v10, 0x7f800000, v14
	v_cmp_ne_u32_e64 s[28:29], s87, v10
                                        ; implicit-def: $vgpr10
	s_and_saveexec_b64 s[58:59], s[28:29]
	s_xor_b64 s[28:29], exec, s[58:59]
; %bb.443:                              ;   in Loop: Header=BB10_390 Depth=4
	v_bfe_u32 v10, v14, 16, 1
	v_add3_u32 v10, v14, v10, s88
                                        ; implicit-def: $vgpr14
; %bb.444:                              ;   in Loop: Header=BB10_390 Depth=4
	s_andn2_saveexec_b64 s[58:59], s[28:29]
; %bb.445:                              ;   in Loop: Header=BB10_390 Depth=4
	v_or_b32_e32 v10, 0x10000, v14
	v_cmp_eq_u32_sdwa s[28:29], v14, v52 src0_sel:WORD_0 src1_sel:DWORD
	v_cndmask_b32_e64 v10, v10, v14, s[28:29]
; %bb.446:                              ;   in Loop: Header=BB10_390 Depth=4
	s_or_b64 exec, exec, s[58:59]
	v_lshlrev_b32_e32 v14, 16, v11
	v_lshlrev_b32_e32 v38, 16, v15
	v_max_f32_e32 v38, v38, v38
	v_max_f32_e32 v14, v14, v14
	v_min_f32_e32 v39, v14, v38
	v_max_f32_e32 v14, v14, v38
	v_cndmask_b32_e32 v60, v14, v39, vcc
	v_and_b32_e32 v14, 0x7f800000, v60
	v_cmp_ne_u32_e64 s[28:29], s87, v14
                                        ; implicit-def: $vgpr14
	s_and_saveexec_b64 s[58:59], s[28:29]
	s_xor_b64 s[28:29], exec, s[58:59]
; %bb.447:                              ;   in Loop: Header=BB10_390 Depth=4
	v_bfe_u32 v14, v60, 16, 1
	v_add3_u32 v14, v60, v14, s88
                                        ; implicit-def: $vgpr60
; %bb.448:                              ;   in Loop: Header=BB10_390 Depth=4
	s_andn2_saveexec_b64 s[58:59], s[28:29]
; %bb.449:                              ;   in Loop: Header=BB10_390 Depth=4
	v_or_b32_e32 v14, 0x10000, v60
	v_cmp_eq_u32_sdwa s[28:29], v60, v52 src0_sel:WORD_0 src1_sel:DWORD
	v_cndmask_b32_e64 v14, v14, v60, s[28:29]
; %bb.450:                              ;   in Loop: Header=BB10_390 Depth=4
	s_or_b64 exec, exec, s[58:59]
	v_and_b32_e32 v11, 0xffff0000, v11
	v_and_b32_e32 v15, 0xffff0000, v15
	v_max_f32_e32 v15, v15, v15
	v_max_f32_e32 v11, v11, v11
	v_min_f32_e32 v38, v11, v15
	v_max_f32_e32 v11, v11, v15
	v_cndmask_b32_e32 v15, v11, v38, vcc
	v_and_b32_e32 v11, 0x7f800000, v15
	v_cmp_ne_u32_e64 s[28:29], s87, v11
                                        ; implicit-def: $vgpr11
	s_and_saveexec_b64 s[58:59], s[28:29]
	s_xor_b64 s[28:29], exec, s[58:59]
; %bb.451:                              ;   in Loop: Header=BB10_390 Depth=4
	v_bfe_u32 v11, v15, 16, 1
	v_add3_u32 v11, v15, v11, s88
                                        ; implicit-def: $vgpr15
; %bb.452:                              ;   in Loop: Header=BB10_390 Depth=4
	s_andn2_saveexec_b64 s[58:59], s[28:29]
	s_cbranch_execz .LBB10_389
; %bb.453:                              ;   in Loop: Header=BB10_390 Depth=4
	v_or_b32_e32 v11, 0x10000, v15
	v_cmp_eq_u32_sdwa s[28:29], v15, v52 src0_sel:WORD_0 src1_sel:DWORD
	v_cndmask_b32_e64 v11, v11, v15, s[28:29]
	s_branch .LBB10_389
.LBB10_454:                             ;   in Loop: Header=BB10_274 Depth=3
	s_or_b64 exec, exec, s[58:59]
	v_accvgpr_read_b32 v59, a13
	v_accvgpr_read_b32 v58, a12
	;; [unrolled: 1-line block ×4, first 2 shown]
	v_mov_b32_e32 v57, 1
.LBB10_455:                             ;   in Loop: Header=BB10_274 Depth=3
	s_or_b64 exec, exec, s[56:57]
	v_lshlrev_b32_e32 v4, 10, v15
	v_cmp_ne_u32_e32 vcc, v25, v4
	s_and_saveexec_b64 s[56:57], vcc
	s_cbranch_execz .LBB10_463
; %bb.456:                              ;   in Loop: Header=BB10_274 Depth=3
	v_add_u32_e32 v5, v12, v14
	v_and_b32_e32 v5, 0xffffffc0, v5
	v_sub_u32_e32 v5, v12, v5
	v_lshlrev_b32_e32 v8, 6, v13
	v_sub_u32_e32 v5, v5, v8
	v_ashrrev_i32_e32 v8, 31, v5
	v_lshrrev_b32_e32 v8, 26, v8
	v_add_u32_e32 v8, v5, v8
	v_and_b32_e32 v9, 0x7fffffc0, v8
	v_sub_u32_e32 v5, v5, v9
	v_lshlrev_b32_e32 v8, 1, v8
	v_and_b32_e32 v8, 0xffffff80, v8
	v_lshlrev_b32_e32 v5, 1, v5
	v_add3_u32 v4, v8, v5, v4
	v_sub_u32_e32 v12, v25, v4
	v_cmp_lt_i32_e32 vcc, 1, v12
	s_and_b64 exec, exec, vcc
	s_cbranch_execz .LBB10_463
; %bb.457:                              ;   in Loop: Header=BB10_274 Depth=3
	s_trap 2
	ds_read_b128 v[8:11], v0
	v_add_u32_e32 v0, v4, v0
	ds_read_b64 v[14:15], v0
	v_ashrrev_i32_e32 v13, 31, v0
	s_and_b32 s46, s64, 1
	s_waitcnt lgkmcnt(0)
	v_add_co_u32_e32 v4, vcc, v8, v0
	v_addc_co_u32_e32 v5, vcc, v9, v13, vcc
	v_add_co_u32_e32 v8, vcc, v10, v0
	v_addc_co_u32_e32 v9, vcc, v11, v13, vcc
	;; [unrolled: 2-line block ×3, first 2 shown]
	s_cmp_eq_u64 s[46:47], 0
	s_mov_b64 s[58:59], 0
	s_cselect_b64 vcc, -1, 0
	s_branch .LBB10_459
.LBB10_458:                             ;   in Loop: Header=BB10_459 Depth=4
	s_or_b64 exec, exec, s[60:61]
	v_add_co_u32_e64 v4, s[28:29], v4, v44
	v_addc_co_u32_e64 v5, s[28:29], v5, v45, s[28:29]
	v_add_co_u32_e64 v8, s[28:29], v8, v44
	v_addc_co_u32_e64 v9, s[28:29], v9, v45, s[28:29]
	v_sub_u32_e32 v12, v12, v61
	v_cmp_gt_i32_e64 s[28:29], 2, v12
	flat_store_short_d16_hi v[10:11], v13 glc slc
	s_or_b64 s[58:59], s[28:29], s[58:59]
	v_add_co_u32_e64 v10, s[28:29], v10, v44
	v_addc_co_u32_e64 v11, s[28:29], v11, v45, s[28:29]
	s_andn2_b64 exec, exec, s[58:59]
	s_cbranch_execz .LBB10_463
.LBB10_459:                             ;   Parent Loop BB10_47 Depth=1
                                        ;     Parent Loop BB10_271 Depth=2
                                        ;       Parent Loop BB10_274 Depth=3
                                        ; =>      This Inner Loop Header: Depth=4
	flat_load_ushort v0, v[4:5] glc slc
	flat_load_ushort v13, v[8:9] glc slc
	s_waitcnt vmcnt(0) lgkmcnt(0)
	v_lshlrev_b32_e32 v0, 16, v0
	v_lshlrev_b32_e32 v13, 16, v13
	v_max_f32_e32 v13, v13, v13
	v_max_f32_e32 v0, v0, v0
	v_min_f32_e32 v14, v0, v13
	v_max_f32_e32 v0, v0, v13
	v_cndmask_b32_e32 v0, v0, v14, vcc
	v_and_b32_e32 v13, 0x7f800000, v0
	v_cmp_ne_u32_e64 s[28:29], s87, v13
                                        ; implicit-def: $vgpr13
	s_and_saveexec_b64 s[60:61], s[28:29]
	s_xor_b64 s[28:29], exec, s[60:61]
; %bb.460:                              ;   in Loop: Header=BB10_459 Depth=4
	v_bfe_u32 v13, v0, 16, 1
	v_add3_u32 v13, v0, v13, s88
                                        ; implicit-def: $vgpr0
; %bb.461:                              ;   in Loop: Header=BB10_459 Depth=4
	s_andn2_saveexec_b64 s[60:61], s[28:29]
	s_cbranch_execz .LBB10_458
; %bb.462:                              ;   in Loop: Header=BB10_459 Depth=4
	v_or_b32_e32 v13, 0x10000, v0
	v_cmp_eq_u32_sdwa s[28:29], v0, v52 src0_sel:WORD_0 src1_sel:DWORD
	v_cndmask_b32_e64 v13, v13, v0, s[28:29]
	s_branch .LBB10_458
.LBB10_463:                             ;   in Loop: Header=BB10_274 Depth=3
	s_or_b64 exec, exec, s[56:57]
	s_or_b64 exec, exec, s[30:31]
	s_and_saveexec_b64 s[28:29], s[10:11]
	s_cbranch_execz .LBB10_383
	s_branch .LBB10_507
.LBB10_464:                             ;   in Loop: Header=BB10_274 Depth=3
	s_or_b64 exec, exec, s[56:57]
	v_accvgpr_read_b32 v59, a13
	v_accvgpr_read_b32 v58, a12
	;; [unrolled: 1-line block ×3, first 2 shown]
	v_mov_b32_e32 v57, 1
.LBB10_465:                             ;   in Loop: Header=BB10_274 Depth=3
	s_or_b64 exec, exec, s[30:31]
	v_lshlrev_b32_e32 v20, 11, v53
	v_cmp_ne_u32_e32 vcc, v25, v20
	s_mov_b64 s[28:29], 0
	v_mov_b32_e32 v0, 0
                                        ; implicit-def: $vgpr12
                                        ; implicit-def: $vgpr4
	s_and_saveexec_b64 s[56:57], vcc
	s_cbranch_execz .LBB10_505
; %bb.466:                              ;   in Loop: Header=BB10_274 Depth=3
	v_lshlrev_b32_e32 v0, 6, v27
	v_accvgpr_read_b32 v4, a22
	v_sub_u32_e32 v0, v4, v0
	v_sub_u32_e32 v5, v25, v20
	v_ashrrev_i32_e32 v4, 31, v0
	v_lshrrev_b32_e32 v4, 26, v4
	v_ashrrev_i32_e32 v9, 31, v5
	v_add_u32_e32 v4, v0, v4
	v_lshrrev_b32_e32 v9, 22, v9
	v_ashrrev_i32_e32 v8, 6, v4
	v_and_b32_e32 v4, 0xffffffc0, v4
	v_add_u32_e32 v9, v5, v9
	v_sub_u32_e32 v21, v0, v4
	v_and_b32_e32 v22, 0xfffffc00, v9
	v_lshlrev_b32_e32 v0, 4, v21
	v_sub_u32_e32 v27, v5, v22
	v_lshl_add_u32 v4, v8, 10, v0
	v_ashrrev_i32_e32 v10, 10, v9
	v_cmp_lt_i32_e32 vcc, 15, v27
	v_sub_u32_e32 v0, v5, v4
	v_addc_co_u32_e64 v5, s[28:29], 0, v10, vcc
	v_sub_u32_e32 v23, v5, v8
	v_cmp_lt_i32_e64 s[28:29], 15, v0
	s_and_saveexec_b64 s[58:59], s[28:29]
	s_cbranch_execz .LBB10_502
; %bb.467:                              ;   in Loop: Header=BB10_274 Depth=3
	s_trap 2
	ds_read_b128 v[8:11], v0
	ds_read_b64 v[12:13], v0
	v_add_u32_e32 v14, v4, v20
	v_ashrrev_i32_e32 v15, 31, v14
	s_and_b32 s46, s64, 1
	s_waitcnt lgkmcnt(0)
	v_add_co_u32_e64 v4, s[28:29], v8, v14
	v_addc_co_u32_e64 v5, s[28:29], v9, v15, s[28:29]
	v_add_co_u32_e64 v16, s[28:29], v10, v14
	v_addc_co_u32_e64 v17, s[28:29], v11, v15, s[28:29]
	;; [unrolled: 2-line block ×3, first 2 shown]
	s_cmp_eq_u64 s[46:47], 0
	s_mov_b64 s[60:61], 0
	s_cselect_b64 s[28:29], -1, 0
	s_branch .LBB10_469
.LBB10_468:                             ;   in Loop: Header=BB10_469 Depth=4
	s_or_b64 exec, exec, s[62:63]
	v_lshrrev_b32_e32 v12, 16, v12
	v_and_or_b32 v9, v9, s89, v12
	v_lshrrev_b32_e32 v12, 16, v53
	v_add_co_u32_e64 v4, s[30:31], v4, v42
	v_and_or_b32 v8, v8, s89, v12
	v_lshrrev_b32_e32 v12, 16, v13
	v_addc_co_u32_e64 v5, s[30:31], v5, v43, s[30:31]
	v_and_or_b32 v10, v10, s89, v12
	v_lshrrev_b32_e32 v12, 16, v14
	v_add_co_u32_e64 v16, s[30:31], v16, v42
	v_and_or_b32 v11, v11, s89, v12
	v_addc_co_u32_e64 v17, s[30:31], v17, v43, s[30:31]
	global_store_dwordx4 v[18:19], v[8:11], off glc slc
	v_add_co_u32_e64 v18, s[30:31], v18, v42
	v_addc_co_u32_e64 v19, s[30:31], v19, v43, s[30:31]
	v_sub_u32_e32 v0, v0, v46
	v_cmp_gt_i32_e64 s[30:31], 16, v0
	s_or_b64 s[60:61], s[30:31], s[60:61]
	v_sub_u32_e32 v23, v23, v54
	s_andn2_b64 exec, exec, s[60:61]
	s_cbranch_execz .LBB10_501
.LBB10_469:                             ;   Parent Loop BB10_47 Depth=1
                                        ;     Parent Loop BB10_271 Depth=2
                                        ;       Parent Loop BB10_274 Depth=3
                                        ; =>      This Inner Loop Header: Depth=4
	global_load_dwordx4 v[8:11], v[4:5], off glc slc
	global_load_dwordx4 v[12:15], v[16:17], off glc slc
	s_waitcnt vmcnt(0)
	v_lshlrev_b32_e32 v38, 16, v8
	v_lshlrev_b32_e32 v39, 16, v12
	v_max_f32_e32 v39, v39, v39
	v_max_f32_e32 v38, v38, v38
	v_min_f32_e32 v53, v38, v39
	v_max_f32_e32 v38, v38, v39
	v_cndmask_b32_e64 v56, v38, v53, s[28:29]
	v_and_b32_e32 v38, 0x7f800000, v56
	v_cmp_ne_u32_e64 s[30:31], s87, v38
                                        ; implicit-def: $vgpr53
	s_and_saveexec_b64 s[62:63], s[30:31]
	s_xor_b64 s[30:31], exec, s[62:63]
; %bb.470:                              ;   in Loop: Header=BB10_469 Depth=4
	v_bfe_u32 v38, v56, 16, 1
	v_add3_u32 v53, v56, v38, s88
                                        ; implicit-def: $vgpr56
; %bb.471:                              ;   in Loop: Header=BB10_469 Depth=4
	s_andn2_saveexec_b64 s[62:63], s[30:31]
; %bb.472:                              ;   in Loop: Header=BB10_469 Depth=4
	v_or_b32_e32 v38, 0x10000, v56
	v_cmp_eq_u32_sdwa s[30:31], v56, v52 src0_sel:WORD_0 src1_sel:DWORD
	v_cndmask_b32_e64 v53, v38, v56, s[30:31]
; %bb.473:                              ;   in Loop: Header=BB10_469 Depth=4
	s_or_b64 exec, exec, s[62:63]
	v_and_b32_e32 v8, 0xffff0000, v8
	v_and_b32_e32 v12, 0xffff0000, v12
	v_max_f32_e32 v12, v12, v12
	v_max_f32_e32 v8, v8, v8
	v_min_f32_e32 v38, v8, v12
	v_max_f32_e32 v8, v8, v12
	v_cndmask_b32_e64 v12, v8, v38, s[28:29]
	v_and_b32_e32 v8, 0x7f800000, v12
	v_cmp_ne_u32_e64 s[30:31], s87, v8
                                        ; implicit-def: $vgpr8
	s_and_saveexec_b64 s[62:63], s[30:31]
	s_xor_b64 s[30:31], exec, s[62:63]
; %bb.474:                              ;   in Loop: Header=BB10_469 Depth=4
	v_bfe_u32 v8, v12, 16, 1
	v_add3_u32 v8, v12, v8, s88
                                        ; implicit-def: $vgpr12
; %bb.475:                              ;   in Loop: Header=BB10_469 Depth=4
	s_andn2_saveexec_b64 s[62:63], s[30:31]
; %bb.476:                              ;   in Loop: Header=BB10_469 Depth=4
	v_or_b32_e32 v8, 0x10000, v12
	v_cmp_eq_u32_sdwa s[30:31], v12, v52 src0_sel:WORD_0 src1_sel:DWORD
	v_cndmask_b32_e64 v8, v8, v12, s[30:31]
; %bb.477:                              ;   in Loop: Header=BB10_469 Depth=4
	s_or_b64 exec, exec, s[62:63]
	v_lshlrev_b32_e32 v12, 16, v9
	v_lshlrev_b32_e32 v38, 16, v13
	v_max_f32_e32 v38, v38, v38
	v_max_f32_e32 v12, v12, v12
	v_min_f32_e32 v39, v12, v38
	v_max_f32_e32 v12, v12, v38
	v_cndmask_b32_e64 v56, v12, v39, s[28:29]
	v_and_b32_e32 v12, 0x7f800000, v56
	v_cmp_ne_u32_e64 s[30:31], s87, v12
                                        ; implicit-def: $vgpr12
	s_and_saveexec_b64 s[62:63], s[30:31]
	s_xor_b64 s[30:31], exec, s[62:63]
; %bb.478:                              ;   in Loop: Header=BB10_469 Depth=4
	v_bfe_u32 v12, v56, 16, 1
	v_add3_u32 v12, v56, v12, s88
                                        ; implicit-def: $vgpr56
; %bb.479:                              ;   in Loop: Header=BB10_469 Depth=4
	s_andn2_saveexec_b64 s[62:63], s[30:31]
; %bb.480:                              ;   in Loop: Header=BB10_469 Depth=4
	v_or_b32_e32 v12, 0x10000, v56
	v_cmp_eq_u32_sdwa s[30:31], v56, v52 src0_sel:WORD_0 src1_sel:DWORD
	v_cndmask_b32_e64 v12, v12, v56, s[30:31]
; %bb.481:                              ;   in Loop: Header=BB10_469 Depth=4
	s_or_b64 exec, exec, s[62:63]
	v_and_b32_e32 v9, 0xffff0000, v9
	v_and_b32_e32 v13, 0xffff0000, v13
	v_max_f32_e32 v13, v13, v13
	v_max_f32_e32 v9, v9, v9
	v_min_f32_e32 v38, v9, v13
	v_max_f32_e32 v9, v9, v13
	v_cndmask_b32_e64 v13, v9, v38, s[28:29]
	v_and_b32_e32 v9, 0x7f800000, v13
	v_cmp_ne_u32_e64 s[30:31], s87, v9
                                        ; implicit-def: $vgpr9
	s_and_saveexec_b64 s[62:63], s[30:31]
	s_xor_b64 s[30:31], exec, s[62:63]
; %bb.482:                              ;   in Loop: Header=BB10_469 Depth=4
	v_bfe_u32 v9, v13, 16, 1
	v_add3_u32 v9, v13, v9, s88
                                        ; implicit-def: $vgpr13
; %bb.483:                              ;   in Loop: Header=BB10_469 Depth=4
	s_andn2_saveexec_b64 s[62:63], s[30:31]
; %bb.484:                              ;   in Loop: Header=BB10_469 Depth=4
	v_or_b32_e32 v9, 0x10000, v13
	v_cmp_eq_u32_sdwa s[30:31], v13, v52 src0_sel:WORD_0 src1_sel:DWORD
	v_cndmask_b32_e64 v9, v9, v13, s[30:31]
; %bb.485:                              ;   in Loop: Header=BB10_469 Depth=4
	s_or_b64 exec, exec, s[62:63]
	v_lshlrev_b32_e32 v13, 16, v10
	v_lshlrev_b32_e32 v38, 16, v14
	v_max_f32_e32 v38, v38, v38
	v_max_f32_e32 v13, v13, v13
	v_min_f32_e32 v39, v13, v38
	v_max_f32_e32 v13, v13, v38
	v_cndmask_b32_e64 v56, v13, v39, s[28:29]
	v_and_b32_e32 v13, 0x7f800000, v56
	v_cmp_ne_u32_e64 s[30:31], s87, v13
                                        ; implicit-def: $vgpr13
	s_and_saveexec_b64 s[62:63], s[30:31]
	s_xor_b64 s[30:31], exec, s[62:63]
; %bb.486:                              ;   in Loop: Header=BB10_469 Depth=4
	v_bfe_u32 v13, v56, 16, 1
	v_add3_u32 v13, v56, v13, s88
                                        ; implicit-def: $vgpr56
; %bb.487:                              ;   in Loop: Header=BB10_469 Depth=4
	s_andn2_saveexec_b64 s[62:63], s[30:31]
; %bb.488:                              ;   in Loop: Header=BB10_469 Depth=4
	v_or_b32_e32 v13, 0x10000, v56
	v_cmp_eq_u32_sdwa s[30:31], v56, v52 src0_sel:WORD_0 src1_sel:DWORD
	v_cndmask_b32_e64 v13, v13, v56, s[30:31]
; %bb.489:                              ;   in Loop: Header=BB10_469 Depth=4
	s_or_b64 exec, exec, s[62:63]
	v_and_b32_e32 v10, 0xffff0000, v10
	v_and_b32_e32 v14, 0xffff0000, v14
	v_max_f32_e32 v14, v14, v14
	v_max_f32_e32 v10, v10, v10
	v_min_f32_e32 v38, v10, v14
	v_max_f32_e32 v10, v10, v14
	v_cndmask_b32_e64 v14, v10, v38, s[28:29]
	v_and_b32_e32 v10, 0x7f800000, v14
	v_cmp_ne_u32_e64 s[30:31], s87, v10
                                        ; implicit-def: $vgpr10
	s_and_saveexec_b64 s[62:63], s[30:31]
	s_xor_b64 s[30:31], exec, s[62:63]
; %bb.490:                              ;   in Loop: Header=BB10_469 Depth=4
	v_bfe_u32 v10, v14, 16, 1
	v_add3_u32 v10, v14, v10, s88
                                        ; implicit-def: $vgpr14
; %bb.491:                              ;   in Loop: Header=BB10_469 Depth=4
	s_andn2_saveexec_b64 s[62:63], s[30:31]
; %bb.492:                              ;   in Loop: Header=BB10_469 Depth=4
	v_or_b32_e32 v10, 0x10000, v14
	v_cmp_eq_u32_sdwa s[30:31], v14, v52 src0_sel:WORD_0 src1_sel:DWORD
	v_cndmask_b32_e64 v10, v10, v14, s[30:31]
; %bb.493:                              ;   in Loop: Header=BB10_469 Depth=4
	s_or_b64 exec, exec, s[62:63]
	v_lshlrev_b32_e32 v14, 16, v11
	v_lshlrev_b32_e32 v38, 16, v15
	v_max_f32_e32 v38, v38, v38
	v_max_f32_e32 v14, v14, v14
	v_min_f32_e32 v39, v14, v38
	v_max_f32_e32 v14, v14, v38
	v_cndmask_b32_e64 v56, v14, v39, s[28:29]
	v_and_b32_e32 v14, 0x7f800000, v56
	v_cmp_ne_u32_e64 s[30:31], s87, v14
                                        ; implicit-def: $vgpr14
	s_and_saveexec_b64 s[62:63], s[30:31]
	s_xor_b64 s[30:31], exec, s[62:63]
; %bb.494:                              ;   in Loop: Header=BB10_469 Depth=4
	v_bfe_u32 v14, v56, 16, 1
	v_add3_u32 v14, v56, v14, s88
                                        ; implicit-def: $vgpr56
; %bb.495:                              ;   in Loop: Header=BB10_469 Depth=4
	s_andn2_saveexec_b64 s[62:63], s[30:31]
; %bb.496:                              ;   in Loop: Header=BB10_469 Depth=4
	v_or_b32_e32 v14, 0x10000, v56
	v_cmp_eq_u32_sdwa s[30:31], v56, v52 src0_sel:WORD_0 src1_sel:DWORD
	v_cndmask_b32_e64 v14, v14, v56, s[30:31]
; %bb.497:                              ;   in Loop: Header=BB10_469 Depth=4
	s_or_b64 exec, exec, s[62:63]
	v_and_b32_e32 v11, 0xffff0000, v11
	v_and_b32_e32 v15, 0xffff0000, v15
	v_max_f32_e32 v15, v15, v15
	v_max_f32_e32 v11, v11, v11
	v_min_f32_e32 v38, v11, v15
	v_max_f32_e32 v11, v11, v15
	v_cndmask_b32_e64 v15, v11, v38, s[28:29]
	v_and_b32_e32 v11, 0x7f800000, v15
	v_cmp_ne_u32_e64 s[30:31], s87, v11
                                        ; implicit-def: $vgpr11
	s_and_saveexec_b64 s[62:63], s[30:31]
	s_xor_b64 s[30:31], exec, s[62:63]
; %bb.498:                              ;   in Loop: Header=BB10_469 Depth=4
	v_bfe_u32 v11, v15, 16, 1
	v_add3_u32 v11, v15, v11, s88
                                        ; implicit-def: $vgpr15
; %bb.499:                              ;   in Loop: Header=BB10_469 Depth=4
	s_andn2_saveexec_b64 s[62:63], s[30:31]
	s_cbranch_execz .LBB10_468
; %bb.500:                              ;   in Loop: Header=BB10_469 Depth=4
	v_or_b32_e32 v11, 0x10000, v15
	v_cmp_eq_u32_sdwa s[30:31], v15, v52 src0_sel:WORD_0 src1_sel:DWORD
	v_cndmask_b32_e64 v11, v11, v15, s[30:31]
	s_branch .LBB10_468
.LBB10_501:                             ;   in Loop: Header=BB10_274 Depth=3
	s_or_b64 exec, exec, s[60:61]
.LBB10_502:                             ;   in Loop: Header=BB10_274 Depth=3
	s_or_b64 exec, exec, s[58:59]
	v_and_b32_e32 v5, 14, v25
	v_cndmask_b32_e32 v25, v27, v5, vcc
	v_cmp_ne_u32_e64 s[28:29], 0, v25
	s_mov_b64 s[30:31], 0
	v_mov_b32_e32 v0, 0
                                        ; implicit-def: $vgpr12
                                        ; implicit-def: $vgpr4
	s_and_saveexec_b64 s[58:59], s[28:29]
	s_cbranch_execz .LBB10_504
; %bb.503:                              ;   in Loop: Header=BB10_274 Depth=3
	v_sub_u32_e32 v0, v27, v5
	v_cndmask_b32_e32 v0, 0, v0, vcc
	v_cmp_lt_i32_e32 vcc, 0, v23
	v_cndmask_b32_e32 v4, 0, v54, vcc
	v_sub_u32_e32 v4, v4, v23
	v_lshl_add_u32 v12, v4, 6, v21
	v_ashrrev_i32_e32 v4, 31, v12
	v_lshrrev_b32_e32 v4, 26, v4
	v_add_u32_e32 v4, v12, v4
	s_mov_b64 s[30:31], exec
	v_add3_u32 v0, v22, v20, v0
	v_ashrrev_i32_e32 v4, 6, v4
.LBB10_504:                             ;   in Loop: Header=BB10_274 Depth=3
	s_or_b64 exec, exec, s[58:59]
	s_and_b64 s[28:29], s[30:31], exec
.LBB10_505:                             ;   in Loop: Header=BB10_274 Depth=3
	s_or_b64 exec, exec, s[56:57]
	s_and_saveexec_b64 s[30:31], s[28:29]
	s_cbranch_execnz .LBB10_347
.LBB10_506:                             ;   in Loop: Header=BB10_274 Depth=3
	s_or_b64 exec, exec, s[30:31]
	s_and_saveexec_b64 s[28:29], s[10:11]
	s_cbranch_execz .LBB10_383
.LBB10_507:                             ;   in Loop: Header=BB10_274 Depth=3
	s_and_saveexec_b64 vcc, s[48:49]
	s_xor_b64 s[30:31], exec, vcc
	s_cbranch_execz .LBB10_522
; %bb.508:                              ;   in Loop: Header=BB10_274 Depth=3
	s_and_saveexec_b64 s[56:57], s[16:17]
	s_cbranch_execz .LBB10_521
; %bb.509:                              ;   in Loop: Header=BB10_274 Depth=3
	s_mov_b64 s[60:61], exec
	v_mbcnt_lo_u32_b32 v0, s60, 0
	v_mbcnt_hi_u32_b32 v0, s61, v0
	v_cmp_eq_u32_e32 vcc, 0, v0
	s_waitcnt vmcnt(0) lgkmcnt(0)
	buffer_wbinvl1_vol
	s_and_saveexec_b64 s[58:59], vcc
	s_cbranch_execz .LBB10_511
; %bb.510:                              ;   in Loop: Header=BB10_274 Depth=3
	s_bcnt1_i32_b64 vcc_lo, s[60:61]
	v_mov_b32_e32 v4, vcc_lo
	v_mov_b32_e32 v5, v52
	ds_add_u64 v0, v[4:5]
	s_trap 2
.LBB10_511:                             ;   in Loop: Header=BB10_274 Depth=3
	s_or_b64 exec, exec, s[58:59]
	s_trap 2
	ds_read_b64 v[4:5], v0
	v_add_co_u32_e32 v48, vcc, v48, v54
	v_addc_co_u32_e32 v49, vcc, 0, v49, vcc
	s_waitcnt lgkmcnt(0)
	v_cmp_lt_u64_e32 vcc, v[4:5], v[48:49]
	s_and_saveexec_b64 s[58:59], vcc
	s_cbranch_execz .LBB10_520
; %bb.512:                              ;   in Loop: Header=BB10_274 Depth=3
	s_mov_b32 s46, 0
	s_mov_b64 s[60:61], 0
                                        ; implicit-def: $sgpr62_sgpr63
                                        ; implicit-def: $sgpr64_sgpr65
	s_branch .LBB10_514
.LBB10_513:                             ;   in Loop: Header=BB10_514 Depth=4
	s_or_b64 exec, exec, s[68:69]
	s_and_b64 vcc, exec, vcc
	s_or_b64 s[60:61], vcc, s[60:61]
	s_andn2_b64 vcc, s[62:63], exec
	s_and_b64 s[62:63], s[64:65], exec
	s_or_b64 s[62:63], vcc, s[62:63]
	s_andn2_b64 exec, exec, s[60:61]
	s_cbranch_execz .LBB10_518
.LBB10_514:                             ;   Parent Loop BB10_47 Depth=1
                                        ;     Parent Loop BB10_271 Depth=2
                                        ;       Parent Loop BB10_274 Depth=3
                                        ; =>      This Inner Loop Header: Depth=4
	s_add_i32 s46, s46, 1
	s_cmpk_lg_i32 s46, 0x2710
	s_cselect_b64 s[66:67], -1, 0
	s_and_b64 vcc, exec, s[66:67]
                                        ; implicit-def: $sgpr68_sgpr69
	s_cbranch_vccnz .LBB10_516
; %bb.515:                              ;   in Loop: Header=BB10_514 Depth=4
	s_trap 2
	ds_read_b64 v[4:5], v0
	s_andn2_b64 s[66:67], s[66:67], exec
	s_mov_b32 s46, 0
	s_mov_b64 s[68:69], -1
	s_waitcnt lgkmcnt(0)
	flat_load_dword v0, v[4:5] glc
	s_waitcnt vmcnt(0) lgkmcnt(0)
	buffer_invl2
	buffer_wbinvl1_vol
	v_cmp_eq_u32_e32 vcc, 0, v0
	s_and_b64 vcc, vcc, exec
	s_or_b64 s[66:67], s[66:67], vcc
.LBB10_516:                             ;   in Loop: Header=BB10_514 Depth=4
	s_andn2_b64 s[64:65], s[64:65], exec
	s_and_b64 s[68:69], s[68:69], exec
	s_mov_b64 vcc, -1
	s_or_b64 s[64:65], s[64:65], s[68:69]
	s_and_saveexec_b64 s[68:69], s[66:67]
	s_cbranch_execz .LBB10_513
; %bb.517:                              ;   in Loop: Header=BB10_514 Depth=4
	s_sleep 1
	s_trap 2
	ds_read_b64 v[4:5], v0
	s_andn2_b64 s[64:65], s[64:65], exec
	s_waitcnt lgkmcnt(0)
	v_cmp_ge_u64_e32 vcc, v[4:5], v[48:49]
	s_orn2_b64 vcc, vcc, exec
	s_branch .LBB10_513
.LBB10_518:                             ;   in Loop: Header=BB10_274 Depth=3
	s_or_b64 exec, exec, s[60:61]
	s_and_saveexec_b64 vcc, s[62:63]
	s_xor_b64 vcc, exec, vcc
	s_cbranch_execz .LBB10_520
; %bb.519:                              ;   in Loop: Header=BB10_274 Depth=3
	ds_write_b32 v0, v57
	s_trap 2
.LBB10_520:                             ;   in Loop: Header=BB10_274 Depth=3
	s_or_b64 exec, exec, s[58:59]
	;;#ASMSTART
	s_wakeup
	;;#ASMEND
.LBB10_521:                             ;   in Loop: Header=BB10_274 Depth=3
	s_or_b64 exec, exec, s[56:57]
.LBB10_522:                             ;   in Loop: Header=BB10_274 Depth=3
	s_andn2_saveexec_b64 vcc, s[30:31]
	s_cbranch_execz .LBB10_524
; %bb.523:                              ;   in Loop: Header=BB10_274 Depth=3
	s_waitcnt vmcnt(0) lgkmcnt(0)
	buffer_wbinvl1_vol
	s_barrier
.LBB10_524:                             ;   in Loop: Header=BB10_274 Depth=3
	s_or_b64 exec, exec, vcc
	s_or_b64 exec, exec, s[28:29]
                                        ; implicit-def: $vgpr0
	s_and_saveexec_b64 s[28:29], s[22:23]
	s_xor_b64 s[30:31], exec, s[28:29]
	s_cbranch_execnz .LBB10_384
.LBB10_525:                             ;   in Loop: Header=BB10_274 Depth=3
	s_andn2_saveexec_b64 s[28:29], s[30:31]
	s_cbranch_execz .LBB10_544
.LBB10_526:                             ;   in Loop: Header=BB10_274 Depth=3
	s_and_saveexec_b64 vcc, s[48:49]
	s_xor_b64 s[30:31], exec, vcc
	s_cbranch_execz .LBB10_541
; %bb.527:                              ;   in Loop: Header=BB10_274 Depth=3
	s_and_saveexec_b64 s[56:57], s[16:17]
	s_cbranch_execz .LBB10_540
; %bb.528:                              ;   in Loop: Header=BB10_274 Depth=3
	s_mov_b64 s[60:61], exec
	v_mbcnt_lo_u32_b32 v0, s60, 0
	v_mbcnt_hi_u32_b32 v0, s61, v0
	v_cmp_eq_u32_e32 vcc, 0, v0
	;;#ASMSTART
	s_waitcnt lgkmcnt(0) vmcnt(0)
	;;#ASMEND
	s_and_saveexec_b64 s[58:59], vcc
	s_cbranch_execz .LBB10_530
; %bb.529:                              ;   in Loop: Header=BB10_274 Depth=3
	s_bcnt1_i32_b64 vcc_lo, s[60:61]
	v_mov_b32_e32 v4, vcc_lo
	v_mov_b32_e32 v5, v52
	ds_add_u64 v0, v[4:5]
	s_trap 2
.LBB10_530:                             ;   in Loop: Header=BB10_274 Depth=3
	s_or_b64 exec, exec, s[58:59]
	s_trap 2
	ds_read_b64 v[4:5], v0
	v_add_co_u32_e32 v48, vcc, v48, v54
	v_addc_co_u32_e32 v49, vcc, 0, v49, vcc
	s_waitcnt lgkmcnt(0)
	v_cmp_lt_u64_e32 vcc, v[4:5], v[48:49]
	s_and_saveexec_b64 s[58:59], vcc
	s_cbranch_execz .LBB10_539
; %bb.531:                              ;   in Loop: Header=BB10_274 Depth=3
	s_mov_b32 s46, 0
	s_mov_b64 s[60:61], 0
                                        ; implicit-def: $sgpr62_sgpr63
                                        ; implicit-def: $sgpr64_sgpr65
	s_branch .LBB10_533
.LBB10_532:                             ;   in Loop: Header=BB10_533 Depth=4
	s_or_b64 exec, exec, s[68:69]
	s_and_b64 vcc, exec, vcc
	s_or_b64 s[60:61], vcc, s[60:61]
	s_andn2_b64 vcc, s[62:63], exec
	s_and_b64 s[62:63], s[64:65], exec
	s_or_b64 s[62:63], vcc, s[62:63]
	s_andn2_b64 exec, exec, s[60:61]
	s_cbranch_execz .LBB10_537
.LBB10_533:                             ;   Parent Loop BB10_47 Depth=1
                                        ;     Parent Loop BB10_271 Depth=2
                                        ;       Parent Loop BB10_274 Depth=3
                                        ; =>      This Inner Loop Header: Depth=4
	s_add_i32 s46, s46, 1
	s_cmpk_lg_i32 s46, 0x2710
	s_cselect_b64 s[66:67], -1, 0
	s_and_b64 vcc, exec, s[66:67]
                                        ; implicit-def: $sgpr68_sgpr69
	s_cbranch_vccnz .LBB10_535
; %bb.534:                              ;   in Loop: Header=BB10_533 Depth=4
	s_trap 2
	ds_read_b64 v[4:5], v0
	s_andn2_b64 s[66:67], s[66:67], exec
	s_mov_b32 s46, 0
	s_mov_b64 s[68:69], -1
	s_waitcnt vmcnt(0) lgkmcnt(0)
	flat_load_dword v0, v[4:5] glc
	s_waitcnt vmcnt(0) lgkmcnt(0)
	buffer_invl2
	buffer_wbinvl1_vol
	v_cmp_eq_u32_e32 vcc, 0, v0
	s_and_b64 vcc, vcc, exec
	s_or_b64 s[66:67], s[66:67], vcc
.LBB10_535:                             ;   in Loop: Header=BB10_533 Depth=4
	s_andn2_b64 s[64:65], s[64:65], exec
	s_and_b64 s[68:69], s[68:69], exec
	s_mov_b64 vcc, -1
	s_or_b64 s[64:65], s[64:65], s[68:69]
	s_and_saveexec_b64 s[68:69], s[66:67]
	s_cbranch_execz .LBB10_532
; %bb.536:                              ;   in Loop: Header=BB10_533 Depth=4
	s_sleep 1
	s_trap 2
	ds_read_b64 v[4:5], v0
	s_andn2_b64 s[64:65], s[64:65], exec
	s_waitcnt lgkmcnt(0)
	v_cmp_ge_u64_e32 vcc, v[4:5], v[48:49]
	s_orn2_b64 vcc, vcc, exec
	s_branch .LBB10_532
.LBB10_537:                             ;   in Loop: Header=BB10_274 Depth=3
	s_or_b64 exec, exec, s[60:61]
	s_and_saveexec_b64 vcc, s[62:63]
	s_xor_b64 vcc, exec, vcc
	s_cbranch_execz .LBB10_539
; %bb.538:                              ;   in Loop: Header=BB10_274 Depth=3
	ds_write_b32 v0, v57
	s_trap 2
.LBB10_539:                             ;   in Loop: Header=BB10_274 Depth=3
	s_or_b64 exec, exec, s[58:59]
	;;#ASMSTART
	s_wakeup
	;;#ASMEND
.LBB10_540:                             ;   in Loop: Header=BB10_274 Depth=3
	s_or_b64 exec, exec, s[56:57]
.LBB10_541:                             ;   in Loop: Header=BB10_274 Depth=3
	s_andn2_saveexec_b64 vcc, s[30:31]
	s_cbranch_execz .LBB10_543
; %bb.542:                              ;   in Loop: Header=BB10_274 Depth=3
	;;#ASMSTART
	s_waitcnt lgkmcnt(0) vmcnt(0)
	;;#ASMEND
	s_barrier
.LBB10_543:                             ;   in Loop: Header=BB10_274 Depth=3
	s_or_b64 exec, exec, vcc
	v_and_b32_e32 v0, 16, v55
.LBB10_544:                             ;   in Loop: Header=BB10_274 Depth=3
	s_or_b64 exec, exec, s[28:29]
	v_cmp_ne_u32_e32 vcc, 0, v0
	s_xor_b64 s[28:29], s[12:13], -1
	s_and_b64 vcc, vcc, s[28:29]
	s_and_saveexec_b64 s[28:29], vcc
	s_cbranch_execz .LBB10_546
; %bb.545:                              ;   in Loop: Header=BB10_274 Depth=3
	flat_store_dword v[58:59], v57
.LBB10_546:                             ;   in Loop: Header=BB10_274 Depth=3
	s_or_b64 exec, exec, s[28:29]
	v_and_b32_e32 v0, 48, v55
	v_cmp_ne_u32_e32 vcc, 0, v0
	s_and_saveexec_b64 s[28:29], vcc
	s_cbranch_execz .LBB10_273
; %bb.547:                              ;   in Loop: Header=BB10_274 Depth=3
	v_add_co_u32_e32 v32, vcc, 2, v32
	v_addc_co_u32_e32 v33, vcc, 0, v33, vcc
	flat_store_dwordx2 v[34:35], v[32:33]
	s_branch .LBB10_273
.LBB10_548:                             ;   in Loop: Header=BB10_271 Depth=2
	s_or_b64 exec, exec, s[36:37]
.LBB10_549:                             ;   in Loop: Header=BB10_271 Depth=2
	s_or_b64 exec, exec, s[34:35]
	v_cmp_gt_i32_e32 vcc, 2, v0
	s_and_saveexec_b64 s[30:31], vcc
	s_cbranch_execz .LBB10_270
; %bb.550:                              ;   in Loop: Header=BB10_271 Depth=2
	v_cmp_eq_u32_e64 s[28:29], 0, v0
	s_mov_b64 s[34:35], 0
	s_branch .LBB10_552
.LBB10_551:                             ;   in Loop: Header=BB10_552 Depth=3
	s_or_b64 exec, exec, s[28:29]
	v_add_u32_e32 v24, v2, v24
	s_mov_b64 s[28:29], 0
	s_andn2_b64 exec, exec, s[34:35]
	s_cbranch_execz .LBB10_269
.LBB10_552:                             ;   Parent Loop BB10_47 Depth=1
                                        ;     Parent Loop BB10_271 Depth=2
                                        ; =>    This Loop Header: Depth=3
                                        ;         Child Loop BB10_558 Depth 4
                                        ;         Child Loop BB10_598 Depth 4
	;; [unrolled: 1-line block ×3, first 2 shown]
	v_and_b32_e32 v0, 12, v55
	s_mov_b64 s[38:39], -1
	v_cmp_ne_u32_e32 vcc, 0, v0
	s_and_saveexec_b64 s[36:37], vcc
	s_cbranch_execz .LBB10_564
; %bb.553:                              ;   in Loop: Header=BB10_552 Depth=3
	v_and_b32_e32 v4, 8, v55
	v_add_co_u32_e32 v10, vcc, v50, v4
	v_addc_co_u32_e32 v11, vcc, 0, v51, vcc
	v_add_co_u32_e32 v8, vcc, 2, v32
	v_addc_co_u32_e32 v9, vcc, 0, v33, vcc
	v_cmp_lt_u64_e32 vcc, v[10:11], v[8:9]
	v_mov_b32_e32 v0, 1
	s_and_saveexec_b64 s[38:39], vcc
	s_cbranch_execz .LBB10_563
; %bb.554:                              ;   in Loop: Header=BB10_552 Depth=3
	s_mov_b64 s[56:57], 0
	v_mov_b32_e32 v0, 0
                                        ; implicit-def: $sgpr58_sgpr59
	s_branch .LBB10_558
.LBB10_555:                             ;   in Loop: Header=BB10_558 Depth=4
	s_or_b64 exec, exec, s[66:67]
	v_mov_b32_e32 v3, 0
	s_orn2_b64 s[64:65], s[64:65], exec
.LBB10_556:                             ;   in Loop: Header=BB10_558 Depth=4
	s_or_b64 exec, exec, s[62:63]
	s_andn2_b64 vcc, s[58:59], exec
	s_and_b64 s[58:59], s[64:65], exec
	s_or_b64 s[58:59], vcc, s[58:59]
	v_mov_b32_e32 v0, v3
.LBB10_557:                             ;   in Loop: Header=BB10_558 Depth=4
	s_or_b64 exec, exec, s[60:61]
	s_waitcnt vmcnt(0) lgkmcnt(0)
	v_add_co_u32_e32 v10, vcc, v50, v4
	v_addc_co_u32_e32 v11, vcc, 0, v51, vcc
	v_cmp_ge_u64_e32 vcc, v[10:11], v[8:9]
	s_xor_b64 s[60:61], s[58:59], -1
	s_or_b64 vcc, s[60:61], vcc
	s_and_b64 vcc, exec, vcc
	s_or_b64 s[56:57], vcc, s[56:57]
	s_andn2_b64 exec, exec, s[56:57]
	s_cbranch_execz .LBB10_562
.LBB10_558:                             ;   Parent Loop BB10_47 Depth=1
                                        ;     Parent Loop BB10_271 Depth=2
                                        ;       Parent Loop BB10_552 Depth=3
                                        ; =>      This Inner Loop Header: Depth=4
	s_sleep 1
	flat_load_dwordx2 v[50:51], v[34:35] glc
	v_and_b32_e32 v3, 64, v55
	v_cmp_eq_u32_e32 vcc, 0, v3
	s_andn2_b64 s[58:59], s[58:59], exec
	s_and_saveexec_b64 s[60:61], vcc
	s_cbranch_execz .LBB10_557
; %bb.559:                              ;   in Loop: Header=BB10_558 Depth=4
	v_add_u32_e32 v3, 1, v0
	v_cmp_lt_i32_e32 vcc, s85, v0
	s_mov_b64 s[64:65], -1
	s_and_saveexec_b64 s[62:63], vcc
	s_cbranch_execz .LBB10_556
; %bb.560:                              ;   in Loop: Header=BB10_558 Depth=4
	s_trap 2
	ds_read_b64 v[10:11], v0
	s_waitcnt vmcnt(0) lgkmcnt(0)
	flat_load_dword v0, v[10:11] glc
	s_waitcnt vmcnt(0) lgkmcnt(0)
	buffer_invl2
	buffer_wbinvl1_vol
	v_cmp_ne_u32_e32 vcc, 0, v0
	s_and_saveexec_b64 s[66:67], vcc
	s_cbranch_execz .LBB10_555
; %bb.561:                              ;   in Loop: Header=BB10_558 Depth=4
	v_or_b32_e32 v55, 64, v55
	s_xor_b64 s[64:65], exec, -1
	ds_write_b32 v0, v0
	s_trap 2
	s_branch .LBB10_555
.LBB10_562:                             ;   in Loop: Header=BB10_552 Depth=3
	s_or_b64 exec, exec, s[56:57]
	v_and_b32_e32 v0, 12, v55
.LBB10_563:                             ;   in Loop: Header=BB10_552 Depth=3
	s_or_b64 exec, exec, s[38:39]
	v_cmp_eq_u32_e32 vcc, 0, v0
	s_orn2_b64 s[38:39], vcc, exec
	;;#ASMSTART
	s_wakeup
	;;#ASMEND
.LBB10_564:                             ;   in Loop: Header=BB10_552 Depth=3
	s_or_b64 exec, exec, s[36:37]
	s_xor_b64 s[28:29], s[28:29], -1
	s_and_b64 s[28:29], exec, s[28:29]
	s_or_b64 s[34:35], s[28:29], s[34:35]
	v_sub_u32_e32 v0, v26, v24
	s_xor_b64 s[28:29], s[38:39], -1
	v_min_i32_e32 v2, v2, v0
	s_and_saveexec_b64 s[36:37], s[28:29]
	s_cbranch_execz .LBB10_590
; %bb.565:                              ;   in Loop: Header=BB10_552 Depth=3
	v_and_b32_e32 v0, 0x108, v55
	v_cmp_ne_u32_e32 vcc, s86, v0
	v_and_b32_e32 v4, 7, v32
	s_and_saveexec_b64 s[28:29], vcc
	s_xor_b64 s[28:29], exec, s[28:29]
                                        ; implicit-def: $vgpr8_vgpr9
; %bb.566:                              ;   in Loop: Header=BB10_552 Depth=3
	v_mov_b32_e32 v9, v52
; %bb.567:                              ;   in Loop: Header=BB10_552 Depth=3
	s_andn2_saveexec_b64 s[28:29], s[28:29]
	s_cbranch_execz .LBB10_569
; %bb.568:                              ;   in Loop: Header=BB10_552 Depth=3
	v_ashrrev_i32_e32 v3, 31, v2
	v_mov_b32_e32 v9, v52
	v_mad_u64_u32 v[10:11], vcc, v4, 24, v[6:7]
	v_lshlrev_b64 v[12:13], 1, v[2:3]
	flat_store_dwordx2 v[10:11], v[12:13] offset:8
.LBB10_569:                             ;   in Loop: Header=BB10_552 Depth=3
	s_or_b64 exec, exec, s[28:29]
	v_and_b32_e32 v0, 0x100, v55
	v_cmp_ne_u32_e32 vcc, 0, v0
	s_mov_b64 s[28:29], -1
                                        ; implicit-def: $vgpr10_vgpr11
	s_and_saveexec_b64 s[38:39], vcc
	s_cbranch_execz .LBB10_573
; %bb.570:                              ;   in Loop: Header=BB10_552 Depth=3
	v_mad_u64_u32 v[12:13], s[28:29], v4, 24, v[6:7]
	v_mov_b32_e32 v0, v13
	v_mad_u64_u32 v[10:11], s[28:29], v9, 24, v[0:1]
	v_mov_b32_e32 v13, v10
	flat_load_dword v0, v[12:13]
                                        ; implicit-def: $vgpr10_vgpr11
	s_waitcnt vmcnt(0) lgkmcnt(0)
	v_cmp_ne_u32_e32 vcc, 1, v0
	v_cmp_eq_u32_e64 s[28:29], 1, v0
	s_and_saveexec_b64 s[56:57], s[28:29]
	s_cbranch_execz .LBB10_572
; %bb.571:                              ;   in Loop: Header=BB10_552 Depth=3
	flat_load_dword v10, v[12:13] offset:4 glc
	s_waitcnt vmcnt(0) lgkmcnt(0)
	v_ashrrev_i32_e32 v11, 31, v10
	v_lshrrev_b64 v[10:11], 1, v[10:11]
.LBB10_572:                             ;   in Loop: Header=BB10_552 Depth=3
	s_or_b64 exec, exec, s[56:57]
	s_orn2_b64 s[28:29], vcc, exec
.LBB10_573:                             ;   in Loop: Header=BB10_552 Depth=3
	s_or_b64 exec, exec, s[38:39]
	s_and_saveexec_b64 vcc, s[28:29]
; %bb.574:                              ;   in Loop: Header=BB10_552 Depth=3
	v_accvgpr_read_b32 v3, a15
	v_mul_lo_u32 v0, v9, v30
	v_mul_lo_u32 v3, v4, v3
	v_mad_u64_u32 v[10:11], s[28:29], v4, v30, 0
	v_add3_u32 v11, v11, v3, v0
; %bb.575:                              ;   in Loop: Header=BB10_552 Depth=3
	s_or_b64 exec, exec, vcc
	v_lshlrev_b64 v[4:5], 1, v[10:11]
	v_add_co_u32_e32 v4, vcc, v36, v4
	v_addc_co_u32_e32 v5, vcc, v37, v5, vcc
	s_trap 2
	ds_write_b64 v0, v[4:5]
	v_and_b32_e32 v0, 0x2000, v55
	v_cmp_ne_u32_e32 vcc, 0, v0
	s_and_saveexec_b64 s[28:29], vcc
	s_cbranch_execz .LBB10_577
; %bb.576:                              ;   in Loop: Header=BB10_552 Depth=3
	ds_read_b64 v[4:5], v0 offset:584
	s_waitcnt lgkmcnt(0)
	v_add_co_u32_e32 v4, vcc, 1, v4
	v_addc_co_u32_e32 v5, vcc, 0, v5, vcc
	ds_write_b64 v0, v[4:5] offset:584
.LBB10_577:                             ;   in Loop: Header=BB10_552 Depth=3
	s_or_b64 exec, exec, s[28:29]
	v_add_co_u32_e32 v32, vcc, 2, v32
	v_addc_co_u32_e32 v33, vcc, 0, v33, vcc
	s_or_b64 exec, exec, s[36:37]
	s_and_saveexec_b64 s[28:29], s[10:11]
	s_cbranch_execnz .LBB10_591
.LBB10_578:                             ;   in Loop: Header=BB10_552 Depth=3
	s_or_b64 exec, exec, s[28:29]
                                        ; implicit-def: $vgpr0
	s_and_saveexec_b64 s[28:29], s[52:53]
	s_xor_b64 s[28:29], exec, s[28:29]
	s_cbranch_execz .LBB10_616
.LBB10_579:                             ;   in Loop: Header=BB10_552 Depth=3
	s_and_saveexec_b64 vcc, s[48:49]
	s_xor_b64 s[36:37], exec, vcc
	s_cbranch_execz .LBB10_606
; %bb.580:                              ;   in Loop: Header=BB10_552 Depth=3
	s_and_saveexec_b64 s[38:39], s[16:17]
	s_cbranch_execz .LBB10_605
; %bb.581:                              ;   in Loop: Header=BB10_552 Depth=3
	s_mov_b64 s[58:59], exec
	v_mbcnt_lo_u32_b32 v0, s58, 0
	v_mbcnt_hi_u32_b32 v0, s59, v0
	v_cmp_eq_u32_e32 vcc, 0, v0
	;;#ASMSTART
	s_waitcnt lgkmcnt(0) vmcnt(0)
	;;#ASMEND
	s_and_saveexec_b64 s[56:57], vcc
	s_cbranch_execz .LBB10_583
; %bb.582:                              ;   in Loop: Header=BB10_552 Depth=3
	s_bcnt1_i32_b64 vcc_lo, s[58:59]
	v_mov_b32_e32 v4, vcc_lo
	v_mov_b32_e32 v5, v52
	ds_add_u64 v0, v[4:5]
	s_trap 2
.LBB10_583:                             ;   in Loop: Header=BB10_552 Depth=3
	s_or_b64 exec, exec, s[56:57]
	s_trap 2
	ds_read_b64 v[4:5], v0
	v_add_co_u32_e32 v48, vcc, v48, v54
	v_addc_co_u32_e32 v49, vcc, 0, v49, vcc
	s_waitcnt lgkmcnt(0)
	v_cmp_lt_u64_e32 vcc, v[4:5], v[48:49]
	s_and_saveexec_b64 s[56:57], vcc
	s_cbranch_execz .LBB10_604
; %bb.584:                              ;   in Loop: Header=BB10_552 Depth=3
	s_mov_b32 s46, 0
	s_mov_b64 s[58:59], 0
                                        ; implicit-def: $sgpr60_sgpr61
                                        ; implicit-def: $sgpr62_sgpr63
	s_branch .LBB10_586
.LBB10_585:                             ;   in Loop: Header=BB10_586 Depth=4
	s_or_b64 exec, exec, s[66:67]
	s_and_b64 vcc, exec, vcc
	s_or_b64 s[58:59], vcc, s[58:59]
	s_andn2_b64 vcc, s[60:61], exec
	s_and_b64 s[60:61], s[62:63], exec
	s_or_b64 s[60:61], vcc, s[60:61]
	s_andn2_b64 exec, exec, s[58:59]
	s_cbranch_execz .LBB10_602
.LBB10_586:                             ;   Parent Loop BB10_47 Depth=1
                                        ;     Parent Loop BB10_271 Depth=2
                                        ;       Parent Loop BB10_552 Depth=3
                                        ; =>      This Inner Loop Header: Depth=4
	s_add_i32 s46, s46, 1
	s_cmpk_lg_i32 s46, 0x2710
	s_cselect_b64 s[64:65], -1, 0
	s_and_b64 vcc, exec, s[64:65]
                                        ; implicit-def: $sgpr66_sgpr67
	s_cbranch_vccnz .LBB10_588
; %bb.587:                              ;   in Loop: Header=BB10_586 Depth=4
	s_trap 2
	ds_read_b64 v[4:5], v0
	s_andn2_b64 s[64:65], s[64:65], exec
	s_mov_b32 s46, 0
	s_mov_b64 s[66:67], -1
	s_waitcnt vmcnt(0) lgkmcnt(0)
	flat_load_dword v0, v[4:5] glc
	s_waitcnt vmcnt(0) lgkmcnt(0)
	buffer_invl2
	buffer_wbinvl1_vol
	v_cmp_eq_u32_e32 vcc, 0, v0
	s_and_b64 vcc, vcc, exec
	s_or_b64 s[64:65], s[64:65], vcc
.LBB10_588:                             ;   in Loop: Header=BB10_586 Depth=4
	s_andn2_b64 s[62:63], s[62:63], exec
	s_and_b64 s[66:67], s[66:67], exec
	s_mov_b64 vcc, -1
	s_or_b64 s[62:63], s[62:63], s[66:67]
	s_and_saveexec_b64 s[66:67], s[64:65]
	s_cbranch_execz .LBB10_585
; %bb.589:                              ;   in Loop: Header=BB10_586 Depth=4
	s_sleep 1
	s_trap 2
	ds_read_b64 v[4:5], v0
	s_andn2_b64 s[62:63], s[62:63], exec
	s_waitcnt lgkmcnt(0)
	v_cmp_ge_u64_e32 vcc, v[4:5], v[48:49]
	s_orn2_b64 vcc, vcc, exec
	s_branch .LBB10_585
.LBB10_590:                             ;   in Loop: Header=BB10_552 Depth=3
	s_or_b64 exec, exec, s[36:37]
	s_and_saveexec_b64 s[28:29], s[10:11]
	s_cbranch_execz .LBB10_578
.LBB10_591:                             ;   in Loop: Header=BB10_552 Depth=3
	s_and_saveexec_b64 vcc, s[48:49]
	s_xor_b64 s[36:37], exec, vcc
	s_cbranch_execz .LBB10_613
; %bb.592:                              ;   in Loop: Header=BB10_552 Depth=3
	s_and_saveexec_b64 s[38:39], s[16:17]
	s_cbranch_execz .LBB10_612
; %bb.593:                              ;   in Loop: Header=BB10_552 Depth=3
	s_mov_b64 s[58:59], exec
	v_mbcnt_lo_u32_b32 v0, s58, 0
	v_mbcnt_hi_u32_b32 v0, s59, v0
	v_cmp_eq_u32_e32 vcc, 0, v0
	s_waitcnt vmcnt(0) lgkmcnt(0)
	buffer_wbinvl1_vol
	s_and_saveexec_b64 s[56:57], vcc
	s_cbranch_execz .LBB10_595
; %bb.594:                              ;   in Loop: Header=BB10_552 Depth=3
	s_bcnt1_i32_b64 vcc_lo, s[58:59]
	v_mov_b32_e32 v4, vcc_lo
	v_mov_b32_e32 v5, v52
	ds_add_u64 v0, v[4:5]
	s_trap 2
.LBB10_595:                             ;   in Loop: Header=BB10_552 Depth=3
	s_or_b64 exec, exec, s[56:57]
	s_trap 2
	ds_read_b64 v[4:5], v0
	v_add_co_u32_e32 v48, vcc, v48, v54
	v_addc_co_u32_e32 v49, vcc, 0, v49, vcc
	s_waitcnt lgkmcnt(0)
	v_cmp_lt_u64_e32 vcc, v[4:5], v[48:49]
	s_and_saveexec_b64 s[56:57], vcc
	s_cbranch_execz .LBB10_611
; %bb.596:                              ;   in Loop: Header=BB10_552 Depth=3
	s_mov_b32 s46, 0
	s_mov_b64 s[58:59], 0
                                        ; implicit-def: $sgpr60_sgpr61
                                        ; implicit-def: $sgpr62_sgpr63
	s_branch .LBB10_598
.LBB10_597:                             ;   in Loop: Header=BB10_598 Depth=4
	s_or_b64 exec, exec, s[66:67]
	s_and_b64 vcc, exec, vcc
	s_or_b64 s[58:59], vcc, s[58:59]
	s_andn2_b64 vcc, s[60:61], exec
	s_and_b64 s[60:61], s[62:63], exec
	s_or_b64 s[60:61], vcc, s[60:61]
	s_andn2_b64 exec, exec, s[58:59]
	s_cbranch_execz .LBB10_609
.LBB10_598:                             ;   Parent Loop BB10_47 Depth=1
                                        ;     Parent Loop BB10_271 Depth=2
                                        ;       Parent Loop BB10_552 Depth=3
                                        ; =>      This Inner Loop Header: Depth=4
	s_add_i32 s46, s46, 1
	s_cmpk_lg_i32 s46, 0x2710
	s_cselect_b64 s[64:65], -1, 0
	s_and_b64 vcc, exec, s[64:65]
                                        ; implicit-def: $sgpr66_sgpr67
	s_cbranch_vccnz .LBB10_600
; %bb.599:                              ;   in Loop: Header=BB10_598 Depth=4
	s_trap 2
	ds_read_b64 v[4:5], v0
	s_andn2_b64 s[64:65], s[64:65], exec
	s_mov_b32 s46, 0
	s_mov_b64 s[66:67], -1
	s_waitcnt lgkmcnt(0)
	flat_load_dword v0, v[4:5] glc
	s_waitcnt vmcnt(0) lgkmcnt(0)
	buffer_invl2
	buffer_wbinvl1_vol
	v_cmp_eq_u32_e32 vcc, 0, v0
	s_and_b64 vcc, vcc, exec
	s_or_b64 s[64:65], s[64:65], vcc
.LBB10_600:                             ;   in Loop: Header=BB10_598 Depth=4
	s_andn2_b64 s[62:63], s[62:63], exec
	s_and_b64 s[66:67], s[66:67], exec
	s_mov_b64 vcc, -1
	s_or_b64 s[62:63], s[62:63], s[66:67]
	s_and_saveexec_b64 s[66:67], s[64:65]
	s_cbranch_execz .LBB10_597
; %bb.601:                              ;   in Loop: Header=BB10_598 Depth=4
	s_sleep 1
	s_trap 2
	ds_read_b64 v[4:5], v0
	s_andn2_b64 s[62:63], s[62:63], exec
	s_waitcnt lgkmcnt(0)
	v_cmp_ge_u64_e32 vcc, v[4:5], v[48:49]
	s_orn2_b64 vcc, vcc, exec
	s_branch .LBB10_597
.LBB10_602:                             ;   in Loop: Header=BB10_552 Depth=3
	s_or_b64 exec, exec, s[58:59]
	s_and_saveexec_b64 vcc, s[60:61]
	s_xor_b64 vcc, exec, vcc
	s_cbranch_execz .LBB10_604
; %bb.603:                              ;   in Loop: Header=BB10_552 Depth=3
	ds_write_b32 v0, v57
	s_trap 2
.LBB10_604:                             ;   in Loop: Header=BB10_552 Depth=3
	s_or_b64 exec, exec, s[56:57]
	;;#ASMSTART
	s_wakeup
	;;#ASMEND
.LBB10_605:                             ;   in Loop: Header=BB10_552 Depth=3
	s_or_b64 exec, exec, s[38:39]
.LBB10_606:                             ;   in Loop: Header=BB10_552 Depth=3
	s_andn2_saveexec_b64 vcc, s[36:37]
	s_cbranch_execz .LBB10_608
; %bb.607:                              ;   in Loop: Header=BB10_552 Depth=3
	;;#ASMSTART
	s_waitcnt lgkmcnt(0) vmcnt(0)
	;;#ASMEND
	s_barrier
.LBB10_608:                             ;   in Loop: Header=BB10_552 Depth=3
	s_or_b64 exec, exec, vcc
	v_and_b32_e32 v0, 16, v55
	s_andn2_saveexec_b64 s[28:29], s[28:29]
	s_cbranch_execz .LBB10_620
	s_branch .LBB10_617
.LBB10_609:                             ;   in Loop: Header=BB10_552 Depth=3
	s_or_b64 exec, exec, s[58:59]
	s_and_saveexec_b64 vcc, s[60:61]
	s_xor_b64 vcc, exec, vcc
	s_cbranch_execz .LBB10_611
; %bb.610:                              ;   in Loop: Header=BB10_552 Depth=3
	ds_write_b32 v0, v57
	s_trap 2
.LBB10_611:                             ;   in Loop: Header=BB10_552 Depth=3
	s_or_b64 exec, exec, s[56:57]
	;;#ASMSTART
	s_wakeup
	;;#ASMEND
.LBB10_612:                             ;   in Loop: Header=BB10_552 Depth=3
	s_or_b64 exec, exec, s[38:39]
.LBB10_613:                             ;   in Loop: Header=BB10_552 Depth=3
	s_andn2_saveexec_b64 vcc, s[36:37]
	s_cbranch_execz .LBB10_615
; %bb.614:                              ;   in Loop: Header=BB10_552 Depth=3
	s_waitcnt vmcnt(0) lgkmcnt(0)
	buffer_wbinvl1_vol
	s_barrier
.LBB10_615:                             ;   in Loop: Header=BB10_552 Depth=3
	s_or_b64 exec, exec, vcc
	s_or_b64 exec, exec, s[28:29]
                                        ; implicit-def: $vgpr0
	s_and_saveexec_b64 s[28:29], s[52:53]
	s_xor_b64 s[28:29], exec, s[28:29]
	s_cbranch_execnz .LBB10_579
.LBB10_616:                             ;   in Loop: Header=BB10_552 Depth=3
	s_andn2_saveexec_b64 s[28:29], s[28:29]
	s_cbranch_execz .LBB10_620
.LBB10_617:                             ;   in Loop: Header=BB10_552 Depth=3
	s_trap 2
	ds_read_b32 v3, v0
	v_cmp_lt_i32_e32 vcc, 0, v2
	v_and_b32_e32 v4, 16, v55
	v_and_b32_e32 v0, 16, v55
	s_waitcnt lgkmcnt(0)
	v_readfirstlane_b32 s36, v3
	s_cmp_eq_u32 s36, 0
	s_cselect_b64 s[36:37], -1, 0
	s_and_b64 s[36:37], vcc, s[36:37]
	v_cmp_ne_u32_e32 vcc, 0, v4
	s_and_b64 s[36:37], vcc, s[36:37]
	s_and_saveexec_b64 vcc, s[36:37]
	s_cbranch_execz .LBB10_619
; %bb.618:                              ;   in Loop: Header=BB10_552 Depth=3
	v_mov_b32_e32 v0, 1
	s_waitcnt vmcnt(0)
	buffer_wbinvl1_vol
.LBB10_619:                             ;   in Loop: Header=BB10_552 Depth=3
	s_or_b64 exec, exec, vcc
.LBB10_620:                             ;   in Loop: Header=BB10_552 Depth=3
	s_or_b64 exec, exec, s[28:29]
	v_cmp_ne_u32_e32 vcc, 0, v0
	s_xor_b64 s[28:29], s[12:13], -1
	s_and_b64 vcc, vcc, s[28:29]
	s_and_saveexec_b64 s[28:29], vcc
	s_cbranch_execz .LBB10_622
; %bb.621:                              ;   in Loop: Header=BB10_552 Depth=3
	flat_store_dword v[58:59], v57
.LBB10_622:                             ;   in Loop: Header=BB10_552 Depth=3
	s_or_b64 exec, exec, s[28:29]
	v_and_b32_e32 v0, 48, v55
	v_cmp_ne_u32_e32 vcc, 0, v0
	s_and_saveexec_b64 s[28:29], vcc
	s_cbranch_execz .LBB10_551
; %bb.623:                              ;   in Loop: Header=BB10_552 Depth=3
	v_add_co_u32_e32 v32, vcc, 2, v32
	v_addc_co_u32_e32 v33, vcc, 0, v33, vcc
	flat_store_dwordx2 v[34:35], v[32:33]
	s_branch .LBB10_551
.LBB10_624:                             ;   in Loop: Header=BB10_47 Depth=1
	v_accvgpr_read_b32 v8, a30
	v_accvgpr_read_b32 v9, a31
	v_mul_lo_u32 v0, v9, s72
	v_mul_lo_u32 v2, v8, s73
	v_mad_u64_u32 v[4:5], s[28:29], v8, s72, 0
	v_add3_u32 v5, v5, v2, v0
	v_accvgpr_read_b32 v2, a32
	v_accvgpr_read_b32 v3, a33
	v_sub_co_u32_e32 v2, vcc, v2, v4
	v_subb_co_u32_e32 v3, vcc, v3, v5, vcc
	v_cmp_lt_i64_e32 vcc, v[8:9], v[2:3]
	v_cndmask_b32_e32 v0, v2, v8, vcc
	v_max_i32_e32 v14, 0, v0
	v_add_u32_e32 v2, 31, v14
	v_lshrrev_b32_e32 v2, 1, v2
	v_and_b32_e32 v2, 0x3ffffff0, v2
	v_cmp_lt_i32_e32 vcc, 0, v0
	v_max_i32_e32 v2, s81, v2
	s_and_b64 s[28:29], s[54:55], vcc
	v_mov_b32_e32 v0, 0
	v_mov_b32_e32 v24, 0
	s_and_saveexec_b64 s[56:57], s[28:29]
	s_cbranch_execz .LBB10_1070
; %bb.625:                              ;   in Loop: Header=BB10_47 Depth=1
	v_accvgpr_read_b32 v8, a34
	v_accvgpr_read_b32 v9, a35
	v_add_co_u32_e32 v4, vcc, v4, v8
	v_addc_co_u32_e32 v5, vcc, v5, v9, vcc
	v_lshlrev_b64 v[4:5], 1, v[4:5]
	v_accvgpr_write_b32 a37, v5
	s_mov_b32 s96, 1
	s_mov_b64 s[60:61], -1
	s_mov_b64 s[58:59], 0
	v_mov_b32_e32 v24, 0
	v_accvgpr_write_b32 a36, v4
	v_accvgpr_write_b32 a3, v14
	s_branch .LBB10_627
.LBB10_626:                             ;   in Loop: Header=BB10_627 Depth=2
	s_or_b64 exec, exec, s[28:29]
	v_add_u32_e32 v24, v2, v24
	v_cmp_ge_i32_e32 vcc, v24, v14
	s_xor_b64 s[28:29], s[60:61], -1
	s_or_b64 s[28:29], s[28:29], vcc
	s_and_b64 s[28:29], exec, s[28:29]
	s_or_b64 s[58:59], s[28:29], s[58:59]
	s_mov_b64 s[60:61], 0
	v_mov_b32_e32 v0, s96
	s_mov_b32 s96, 2
	s_andn2_b64 exec, exec, s[58:59]
	s_cbranch_execz .LBB10_1069
.LBB10_627:                             ;   Parent Loop BB10_47 Depth=1
                                        ; =>  This Loop Header: Depth=2
                                        ;       Child Loop BB10_635 Depth 3
                                        ;       Child Loop BB10_663 Depth 3
	;; [unrolled: 1-line block ×9, first 2 shown]
                                        ;         Child Loop BB10_854 Depth 4
                                        ;       Child Loop BB10_864 Depth 3
                                        ;       Child Loop BB10_900 Depth 3
                                        ;         Child Loop BB10_905 Depth 4
                                        ;       Child Loop BB10_715 Depth 3
                                        ;       Child Loop BB10_802 Depth 3
	s_and_saveexec_b64 s[28:29], s[4:5]
	s_cbranch_execz .LBB10_629
; %bb.628:                              ;   in Loop: Header=BB10_627 Depth=2
	s_trap 2
	ds_read2_b64 v[8:11], v0 offset1:1
	ds_read_b64 v[4:5], v0
	v_accvgpr_read_b32 v16, a36
	v_accvgpr_read_b32 v17, a37
	v_ashrrev_i32_e32 v25, 31, v24
	s_waitcnt lgkmcnt(0)
	v_add_co_u32_e32 v0, vcc, v8, v16
	v_addc_co_u32_e32 v3, vcc, v9, v17, vcc
	v_lshlrev_b64 v[8:9], 1, v[24:25]
	v_add_co_u32_e32 v12, vcc, v0, v8
	v_addc_co_u32_e32 v13, vcc, v3, v9, vcc
	ds_write_b64 v0, v[12:13]
	v_add_co_u32_e32 v0, vcc, v10, v16
	v_addc_co_u32_e32 v3, vcc, v11, v17, vcc
	v_add_co_u32_e32 v10, vcc, v0, v8
	v_addc_co_u32_e32 v11, vcc, v3, v9, vcc
	ds_write_b64 v0, v[10:11]
	v_add_co_u32_e32 v0, vcc, v4, v16
	v_addc_co_u32_e32 v3, vcc, v5, v17, vcc
	v_add_co_u32_e32 v0, vcc, v0, v8
	v_addc_co_u32_e32 v3, vcc, v3, v9, vcc
	v_cmp_ne_u64_e32 vcc, 0, v[4:5]
	v_accvgpr_read_b32 v14, a3
	v_cndmask_b32_e32 v5, 0, v3, vcc
	v_cndmask_b32_e32 v4, 0, v0, vcc
	ds_write_b64 v0, v[4:5]
.LBB10_629:                             ;   in Loop: Header=BB10_627 Depth=2
	s_or_b64 exec, exec, s[28:29]
	v_and_b32_e32 v0, 12, v55
	v_cmp_ne_u32_e32 vcc, 0, v0
	s_mov_b64 s[30:31], -1
	s_and_saveexec_b64 s[28:29], vcc
	s_cbranch_execz .LBB10_641
; %bb.630:                              ;   in Loop: Header=BB10_627 Depth=2
	v_and_b32_e32 v4, 8, v55
	v_add_co_u32_e32 v10, vcc, v50, v4
	v_addc_co_u32_e32 v11, vcc, 0, v51, vcc
	v_add_co_u32_e32 v8, vcc, 2, v32
	v_addc_co_u32_e32 v9, vcc, 0, v33, vcc
	v_cmp_lt_u64_e32 vcc, v[10:11], v[8:9]
	v_mov_b32_e32 v0, 1
	s_and_saveexec_b64 s[30:31], vcc
	s_cbranch_execz .LBB10_640
; %bb.631:                              ;   in Loop: Header=BB10_627 Depth=2
	s_mov_b64 s[34:35], 0
	v_mov_b32_e32 v0, 0
                                        ; implicit-def: $sgpr36_sgpr37
	s_branch .LBB10_635
.LBB10_632:                             ;   in Loop: Header=BB10_635 Depth=3
	s_or_b64 exec, exec, s[66:67]
	v_mov_b32_e32 v3, 0
	s_orn2_b64 s[64:65], s[64:65], exec
.LBB10_633:                             ;   in Loop: Header=BB10_635 Depth=3
	s_or_b64 exec, exec, s[62:63]
	s_andn2_b64 vcc, s[36:37], exec
	s_and_b64 s[36:37], s[64:65], exec
	s_or_b64 s[36:37], vcc, s[36:37]
	v_mov_b32_e32 v0, v3
.LBB10_634:                             ;   in Loop: Header=BB10_635 Depth=3
	s_or_b64 exec, exec, s[38:39]
	s_waitcnt vmcnt(0) lgkmcnt(0)
	v_add_co_u32_e32 v10, vcc, v50, v4
	v_addc_co_u32_e32 v11, vcc, 0, v51, vcc
	v_cmp_ge_u64_e32 vcc, v[10:11], v[8:9]
	s_xor_b64 s[38:39], s[36:37], -1
	s_or_b64 vcc, s[38:39], vcc
	s_and_b64 vcc, exec, vcc
	s_or_b64 s[34:35], vcc, s[34:35]
	s_andn2_b64 exec, exec, s[34:35]
	s_cbranch_execz .LBB10_639
.LBB10_635:                             ;   Parent Loop BB10_47 Depth=1
                                        ;     Parent Loop BB10_627 Depth=2
                                        ; =>    This Inner Loop Header: Depth=3
	s_sleep 1
	flat_load_dwordx2 v[50:51], v[34:35] glc
	v_and_b32_e32 v3, 64, v55
	v_cmp_eq_u32_e32 vcc, 0, v3
	s_andn2_b64 s[36:37], s[36:37], exec
	s_and_saveexec_b64 s[38:39], vcc
	s_cbranch_execz .LBB10_634
; %bb.636:                              ;   in Loop: Header=BB10_635 Depth=3
	v_add_u32_e32 v3, 1, v0
	v_cmp_lt_i32_e32 vcc, s85, v0
	s_mov_b64 s[64:65], -1
	s_and_saveexec_b64 s[62:63], vcc
	s_cbranch_execz .LBB10_633
; %bb.637:                              ;   in Loop: Header=BB10_635 Depth=3
	s_trap 2
	ds_read_b64 v[10:11], v0
	s_waitcnt vmcnt(0) lgkmcnt(0)
	flat_load_dword v0, v[10:11] glc
	s_waitcnt vmcnt(0) lgkmcnt(0)
	buffer_invl2
	buffer_wbinvl1_vol
	v_cmp_ne_u32_e32 vcc, 0, v0
	s_and_saveexec_b64 s[66:67], vcc
	s_cbranch_execz .LBB10_632
; %bb.638:                              ;   in Loop: Header=BB10_635 Depth=3
	v_or_b32_e32 v55, 64, v55
	s_xor_b64 s[64:65], exec, -1
	ds_write_b32 v0, v0
	s_trap 2
	s_branch .LBB10_632
.LBB10_639:                             ;   in Loop: Header=BB10_627 Depth=2
	s_or_b64 exec, exec, s[34:35]
	v_and_b32_e32 v0, 12, v55
.LBB10_640:                             ;   in Loop: Header=BB10_627 Depth=2
	s_or_b64 exec, exec, s[30:31]
	v_cmp_eq_u32_e32 vcc, 0, v0
	s_orn2_b64 s[30:31], vcc, exec
	;;#ASMSTART
	s_wakeup
	;;#ASMEND
.LBB10_641:                             ;   in Loop: Header=BB10_627 Depth=2
	s_or_b64 exec, exec, s[28:29]
	v_sub_u32_e32 v0, v14, v24
	s_xor_b64 s[28:29], s[30:31], -1
	v_min_i32_e32 v2, v2, v0
	s_and_saveexec_b64 s[30:31], s[28:29]
	s_cbranch_execz .LBB10_655
; %bb.642:                              ;   in Loop: Header=BB10_627 Depth=2
	v_and_b32_e32 v0, 0x108, v55
	v_cmp_ne_u32_e32 vcc, s86, v0
	v_and_b32_e32 v4, 7, v32
	s_and_saveexec_b64 s[28:29], vcc
	s_xor_b64 s[28:29], exec, s[28:29]
                                        ; implicit-def: $vgpr8_vgpr9
; %bb.643:                              ;   in Loop: Header=BB10_627 Depth=2
	v_mov_b32_e32 v9, v52
; %bb.644:                              ;   in Loop: Header=BB10_627 Depth=2
	s_andn2_saveexec_b64 s[28:29], s[28:29]
	s_cbranch_execz .LBB10_646
; %bb.645:                              ;   in Loop: Header=BB10_627 Depth=2
	v_ashrrev_i32_e32 v3, 31, v2
	v_mov_b32_e32 v9, v52
	v_mad_u64_u32 v[10:11], vcc, v4, 24, v[6:7]
	v_lshlrev_b64 v[12:13], 1, v[2:3]
	flat_store_dwordx2 v[10:11], v[12:13] offset:8
.LBB10_646:                             ;   in Loop: Header=BB10_627 Depth=2
	s_or_b64 exec, exec, s[28:29]
	v_and_b32_e32 v0, 0x100, v55
	v_cmp_ne_u32_e32 vcc, 0, v0
	s_mov_b64 s[28:29], -1
                                        ; implicit-def: $vgpr10_vgpr11
	s_and_saveexec_b64 s[34:35], vcc
	s_cbranch_execz .LBB10_650
; %bb.647:                              ;   in Loop: Header=BB10_627 Depth=2
	v_mad_u64_u32 v[12:13], s[28:29], v4, 24, v[6:7]
	v_mov_b32_e32 v0, v13
	v_mad_u64_u32 v[10:11], s[28:29], v9, 24, v[0:1]
	v_mov_b32_e32 v13, v10
	flat_load_dword v0, v[12:13]
                                        ; implicit-def: $vgpr10_vgpr11
	s_waitcnt vmcnt(0) lgkmcnt(0)
	v_cmp_ne_u32_e32 vcc, 1, v0
	v_cmp_eq_u32_e64 s[28:29], 1, v0
	s_and_saveexec_b64 s[36:37], s[28:29]
	s_cbranch_execz .LBB10_649
; %bb.648:                              ;   in Loop: Header=BB10_627 Depth=2
	flat_load_dword v10, v[12:13] offset:4 glc
	s_waitcnt vmcnt(0) lgkmcnt(0)
	v_ashrrev_i32_e32 v11, 31, v10
	v_lshrrev_b64 v[10:11], 1, v[10:11]
.LBB10_649:                             ;   in Loop: Header=BB10_627 Depth=2
	s_or_b64 exec, exec, s[36:37]
	s_orn2_b64 s[28:29], vcc, exec
.LBB10_650:                             ;   in Loop: Header=BB10_627 Depth=2
	s_or_b64 exec, exec, s[34:35]
	s_and_saveexec_b64 vcc, s[28:29]
; %bb.651:                              ;   in Loop: Header=BB10_627 Depth=2
	v_accvgpr_read_b32 v3, a15
	v_mul_lo_u32 v0, v9, v30
	v_mul_lo_u32 v3, v4, v3
	v_mad_u64_u32 v[10:11], s[28:29], v4, v30, 0
	v_add3_u32 v11, v11, v3, v0
; %bb.652:                              ;   in Loop: Header=BB10_627 Depth=2
	s_or_b64 exec, exec, vcc
	v_lshlrev_b64 v[4:5], 1, v[10:11]
	v_add_co_u32_e32 v4, vcc, v36, v4
	v_addc_co_u32_e32 v5, vcc, v37, v5, vcc
	s_trap 2
	ds_write_b64 v0, v[4:5]
	v_and_b32_e32 v0, 0x2000, v55
	v_cmp_ne_u32_e32 vcc, 0, v0
	s_and_saveexec_b64 s[28:29], vcc
	s_cbranch_execz .LBB10_654
; %bb.653:                              ;   in Loop: Header=BB10_627 Depth=2
	ds_read_b64 v[4:5], v0 offset:584
	s_waitcnt lgkmcnt(0)
	v_add_co_u32_e32 v4, vcc, 1, v4
	v_addc_co_u32_e32 v5, vcc, 0, v5, vcc
	ds_write_b64 v0, v[4:5] offset:584
.LBB10_654:                             ;   in Loop: Header=BB10_627 Depth=2
	s_or_b64 exec, exec, s[28:29]
	v_add_co_u32_e32 v32, vcc, 2, v32
	v_addc_co_u32_e32 v33, vcc, 0, v33, vcc
.LBB10_655:                             ;   in Loop: Header=BB10_627 Depth=2
	s_or_b64 exec, exec, s[30:31]
	s_and_saveexec_b64 s[28:29], s[10:11]
	s_cbranch_execz .LBB10_674
; %bb.656:                              ;   in Loop: Header=BB10_627 Depth=2
	s_and_saveexec_b64 vcc, s[48:49]
	s_xor_b64 s[30:31], exec, vcc
	s_cbranch_execz .LBB10_671
; %bb.657:                              ;   in Loop: Header=BB10_627 Depth=2
	s_and_saveexec_b64 s[34:35], s[16:17]
	s_cbranch_execz .LBB10_670
; %bb.658:                              ;   in Loop: Header=BB10_627 Depth=2
	s_mov_b64 s[38:39], exec
	v_mbcnt_lo_u32_b32 v0, s38, 0
	v_mbcnt_hi_u32_b32 v0, s39, v0
	v_cmp_eq_u32_e32 vcc, 0, v0
	s_waitcnt vmcnt(0) lgkmcnt(0)
	buffer_wbinvl1_vol
	s_and_saveexec_b64 s[36:37], vcc
	s_cbranch_execz .LBB10_660
; %bb.659:                              ;   in Loop: Header=BB10_627 Depth=2
	s_bcnt1_i32_b64 vcc_lo, s[38:39]
	v_mov_b32_e32 v4, vcc_lo
	v_mov_b32_e32 v5, v52
	ds_add_u64 v0, v[4:5]
	s_trap 2
.LBB10_660:                             ;   in Loop: Header=BB10_627 Depth=2
	s_or_b64 exec, exec, s[36:37]
	s_trap 2
	ds_read_b64 v[4:5], v0
	v_add_co_u32_e32 v48, vcc, v48, v54
	v_addc_co_u32_e32 v49, vcc, 0, v49, vcc
	s_waitcnt lgkmcnt(0)
	v_cmp_lt_u64_e32 vcc, v[4:5], v[48:49]
	s_and_saveexec_b64 s[36:37], vcc
	s_cbranch_execz .LBB10_669
; %bb.661:                              ;   in Loop: Header=BB10_627 Depth=2
	s_mov_b32 s46, 0
	s_mov_b64 s[38:39], 0
                                        ; implicit-def: $sgpr62_sgpr63
                                        ; implicit-def: $sgpr64_sgpr65
	s_branch .LBB10_663
.LBB10_662:                             ;   in Loop: Header=BB10_663 Depth=3
	s_or_b64 exec, exec, s[68:69]
	s_and_b64 vcc, exec, vcc
	s_or_b64 s[38:39], vcc, s[38:39]
	s_andn2_b64 vcc, s[62:63], exec
	s_and_b64 s[62:63], s[64:65], exec
	s_or_b64 s[62:63], vcc, s[62:63]
	s_andn2_b64 exec, exec, s[38:39]
	s_cbranch_execz .LBB10_667
.LBB10_663:                             ;   Parent Loop BB10_47 Depth=1
                                        ;     Parent Loop BB10_627 Depth=2
                                        ; =>    This Inner Loop Header: Depth=3
	s_add_i32 s46, s46, 1
	s_cmpk_lg_i32 s46, 0x2710
	s_cselect_b64 s[66:67], -1, 0
	s_and_b64 vcc, exec, s[66:67]
                                        ; implicit-def: $sgpr68_sgpr69
	s_cbranch_vccnz .LBB10_665
; %bb.664:                              ;   in Loop: Header=BB10_663 Depth=3
	s_trap 2
	ds_read_b64 v[4:5], v0
	s_andn2_b64 s[66:67], s[66:67], exec
	s_mov_b32 s46, 0
	s_mov_b64 s[68:69], -1
	s_waitcnt lgkmcnt(0)
	flat_load_dword v0, v[4:5] glc
	s_waitcnt vmcnt(0) lgkmcnt(0)
	buffer_invl2
	buffer_wbinvl1_vol
	v_cmp_eq_u32_e32 vcc, 0, v0
	s_and_b64 vcc, vcc, exec
	s_or_b64 s[66:67], s[66:67], vcc
.LBB10_665:                             ;   in Loop: Header=BB10_663 Depth=3
	s_andn2_b64 s[64:65], s[64:65], exec
	s_and_b64 s[68:69], s[68:69], exec
	s_mov_b64 vcc, -1
	s_or_b64 s[64:65], s[64:65], s[68:69]
	s_and_saveexec_b64 s[68:69], s[66:67]
	s_cbranch_execz .LBB10_662
; %bb.666:                              ;   in Loop: Header=BB10_663 Depth=3
	s_sleep 1
	s_trap 2
	ds_read_b64 v[4:5], v0
	s_andn2_b64 s[64:65], s[64:65], exec
	s_waitcnt lgkmcnt(0)
	v_cmp_ge_u64_e32 vcc, v[4:5], v[48:49]
	s_orn2_b64 vcc, vcc, exec
	s_branch .LBB10_662
.LBB10_667:                             ;   in Loop: Header=BB10_627 Depth=2
	s_or_b64 exec, exec, s[38:39]
	s_and_saveexec_b64 vcc, s[62:63]
	s_xor_b64 vcc, exec, vcc
	s_cbranch_execz .LBB10_669
; %bb.668:                              ;   in Loop: Header=BB10_627 Depth=2
	ds_write_b32 v0, v57
	s_trap 2
.LBB10_669:                             ;   in Loop: Header=BB10_627 Depth=2
	s_or_b64 exec, exec, s[36:37]
	;;#ASMSTART
	s_wakeup
	;;#ASMEND
.LBB10_670:                             ;   in Loop: Header=BB10_627 Depth=2
	s_or_b64 exec, exec, s[34:35]
.LBB10_671:                             ;   in Loop: Header=BB10_627 Depth=2
	s_andn2_saveexec_b64 vcc, s[30:31]
	s_cbranch_execz .LBB10_673
; %bb.672:                              ;   in Loop: Header=BB10_627 Depth=2
	s_waitcnt vmcnt(0) lgkmcnt(0)
	buffer_wbinvl1_vol
	s_barrier
.LBB10_673:                             ;   in Loop: Header=BB10_627 Depth=2
	s_or_b64 exec, exec, vcc
.LBB10_674:                             ;   in Loop: Header=BB10_627 Depth=2
	s_or_b64 exec, exec, s[28:29]
	s_trap 2
	ds_read_b32 v0, v0
	v_and_b32_e32 v3, 0x4000, v55
	v_cmp_ne_u32_e32 vcc, 0, v3
	s_xor_b64 s[28:29], s[6:7], -1
	s_and_b64 vcc, s[28:29], vcc
	s_and_saveexec_b64 s[28:29], vcc
	s_cbranch_execz .LBB10_693
; %bb.675:                              ;   in Loop: Header=BB10_627 Depth=2
	s_and_saveexec_b64 vcc, s[48:49]
	s_xor_b64 s[30:31], exec, vcc
	s_cbranch_execz .LBB10_690
; %bb.676:                              ;   in Loop: Header=BB10_627 Depth=2
	s_and_saveexec_b64 s[34:35], s[16:17]
	s_cbranch_execz .LBB10_689
; %bb.677:                              ;   in Loop: Header=BB10_627 Depth=2
	s_mov_b64 s[38:39], exec
	v_mbcnt_lo_u32_b32 v3, s38, 0
	v_mbcnt_hi_u32_b32 v3, s39, v3
	v_cmp_eq_u32_e32 vcc, 0, v3
	s_waitcnt vmcnt(0) lgkmcnt(0)
	buffer_wbinvl1_vol
	s_and_saveexec_b64 s[36:37], vcc
	s_cbranch_execz .LBB10_679
; %bb.678:                              ;   in Loop: Header=BB10_627 Depth=2
	s_bcnt1_i32_b64 vcc_lo, s[38:39]
	v_mov_b32_e32 v4, vcc_lo
	v_mov_b32_e32 v5, v52
	ds_add_u64 v0, v[4:5]
	s_trap 2
.LBB10_679:                             ;   in Loop: Header=BB10_627 Depth=2
	s_or_b64 exec, exec, s[36:37]
	s_trap 2
	ds_read_b64 v[4:5], v0
	v_add_co_u32_e32 v48, vcc, v48, v54
	v_addc_co_u32_e32 v49, vcc, 0, v49, vcc
	s_waitcnt lgkmcnt(0)
	v_cmp_lt_u64_e32 vcc, v[4:5], v[48:49]
	s_and_saveexec_b64 s[36:37], vcc
	s_cbranch_execz .LBB10_688
; %bb.680:                              ;   in Loop: Header=BB10_627 Depth=2
	s_mov_b32 s46, 0
	s_mov_b64 s[38:39], 0
                                        ; implicit-def: $sgpr62_sgpr63
                                        ; implicit-def: $sgpr64_sgpr65
	s_branch .LBB10_682
.LBB10_681:                             ;   in Loop: Header=BB10_682 Depth=3
	s_or_b64 exec, exec, s[68:69]
	s_and_b64 vcc, exec, vcc
	s_or_b64 s[38:39], vcc, s[38:39]
	s_andn2_b64 vcc, s[62:63], exec
	s_and_b64 s[62:63], s[64:65], exec
	s_or_b64 s[62:63], vcc, s[62:63]
	s_andn2_b64 exec, exec, s[38:39]
	s_cbranch_execz .LBB10_686
.LBB10_682:                             ;   Parent Loop BB10_47 Depth=1
                                        ;     Parent Loop BB10_627 Depth=2
                                        ; =>    This Inner Loop Header: Depth=3
	s_add_i32 s46, s46, 1
	s_cmpk_lg_i32 s46, 0x2710
	s_cselect_b64 s[66:67], -1, 0
	s_and_b64 vcc, exec, s[66:67]
                                        ; implicit-def: $sgpr68_sgpr69
	s_cbranch_vccnz .LBB10_684
; %bb.683:                              ;   in Loop: Header=BB10_682 Depth=3
	s_trap 2
	ds_read_b64 v[4:5], v0
	s_andn2_b64 s[66:67], s[66:67], exec
	s_mov_b32 s46, 0
	s_mov_b64 s[68:69], -1
	s_waitcnt lgkmcnt(0)
	flat_load_dword v3, v[4:5] glc
	s_waitcnt vmcnt(0) lgkmcnt(0)
	buffer_invl2
	buffer_wbinvl1_vol
	v_cmp_eq_u32_e32 vcc, 0, v3
	s_and_b64 vcc, vcc, exec
	s_or_b64 s[66:67], s[66:67], vcc
.LBB10_684:                             ;   in Loop: Header=BB10_682 Depth=3
	s_andn2_b64 s[64:65], s[64:65], exec
	s_and_b64 s[68:69], s[68:69], exec
	s_mov_b64 vcc, -1
	s_or_b64 s[64:65], s[64:65], s[68:69]
	s_and_saveexec_b64 s[68:69], s[66:67]
	s_cbranch_execz .LBB10_681
; %bb.685:                              ;   in Loop: Header=BB10_682 Depth=3
	s_sleep 1
	s_trap 2
	ds_read_b64 v[4:5], v0
	s_andn2_b64 s[64:65], s[64:65], exec
	s_waitcnt lgkmcnt(0)
	v_cmp_ge_u64_e32 vcc, v[4:5], v[48:49]
	s_orn2_b64 vcc, vcc, exec
	s_branch .LBB10_681
.LBB10_686:                             ;   in Loop: Header=BB10_627 Depth=2
	s_or_b64 exec, exec, s[38:39]
	s_and_saveexec_b64 vcc, s[62:63]
	s_xor_b64 vcc, exec, vcc
	s_cbranch_execz .LBB10_688
; %bb.687:                              ;   in Loop: Header=BB10_627 Depth=2
	ds_write_b32 v0, v57
	s_trap 2
.LBB10_688:                             ;   in Loop: Header=BB10_627 Depth=2
	s_or_b64 exec, exec, s[36:37]
	;;#ASMSTART
	s_wakeup
	;;#ASMEND
.LBB10_689:                             ;   in Loop: Header=BB10_627 Depth=2
	s_or_b64 exec, exec, s[34:35]
.LBB10_690:                             ;   in Loop: Header=BB10_627 Depth=2
	s_andn2_saveexec_b64 vcc, s[30:31]
	s_cbranch_execz .LBB10_692
; %bb.691:                              ;   in Loop: Header=BB10_627 Depth=2
	s_waitcnt vmcnt(0) lgkmcnt(0)
	buffer_wbinvl1_vol
	s_barrier
.LBB10_692:                             ;   in Loop: Header=BB10_627 Depth=2
	s_or_b64 exec, exec, vcc
.LBB10_693:                             ;   in Loop: Header=BB10_627 Depth=2
	s_or_b64 exec, exec, s[28:29]
	s_trap 2
	s_waitcnt lgkmcnt(0)
	ds_read_b64 v[4:5], v0
	v_mov_b32_e32 v3, 0
	s_waitcnt lgkmcnt(0)
	v_readfirstlane_b32 s28, v4
	v_readfirstlane_b32 s29, v5
	s_cmp_eq_u64 s[28:29], 0
	s_cselect_b64 s[28:29], -1, 0
	s_or_b64 s[28:29], s[28:29], s[28:29]
	s_and_b64 vcc, exec, s[28:29]
	s_cbranch_vccnz .LBB10_707
; %bb.694:                              ;   in Loop: Header=BB10_627 Depth=2
	s_trap 2
	ds_read_b64 v[4:5], v0
	v_cmp_eq_u32_e32 vcc, 0, v0
	v_cndmask_b32_e32 v3, 0, v2, vcc
	v_lshlrev_b32_e32 v25, 1, v3
	s_waitcnt lgkmcnt(0)
	v_cmp_ne_u64_e32 vcc, 0, v[4:5]
	v_readfirstlane_b32 s97, v4
	s_cbranch_vccz .LBB10_719
; %bb.695:                              ;   in Loop: Header=BB10_627 Depth=2
	s_mov_b64 s[30:31], -1
	s_and_saveexec_b64 s[28:29], s[24:25]
	s_cbranch_execz .LBB10_697
; %bb.696:                              ;   in Loop: Header=BB10_627 Depth=2
	ds_read_b32 v0, v0 offset:720
	s_waitcnt lgkmcnt(0)
	v_and_b32_e32 v0, 15, v0
	v_cmp_eq_u32_e32 vcc, 0, v0
	s_orn2_b64 s[30:31], vcc, exec
.LBB10_697:                             ;   in Loop: Header=BB10_627 Depth=2
	s_or_b64 exec, exec, s[28:29]
	s_and_saveexec_b64 s[28:29], s[24:25]
	s_cbranch_execz .LBB10_699
; %bb.698:                              ;   in Loop: Header=BB10_627 Depth=2
	ds_read_b32 v0, v0 offset:784
	s_waitcnt lgkmcnt(0)
	v_and_b32_e32 v0, 15, v0
	v_cmp_eq_u32_e32 vcc, 0, v0
	s_and_b64 vcc, s[30:31], vcc
	s_andn2_b64 s[30:31], s[30:31], exec
	s_and_b64 vcc, vcc, exec
	s_or_b64 s[30:31], s[30:31], vcc
.LBB10_699:                             ;   in Loop: Header=BB10_627 Depth=2
	s_or_b64 exec, exec, s[28:29]
	s_xor_b64 vcc, s[30:31], -1
	v_cndmask_b32_e64 v0, 0, 1, vcc
	;;#ASMSTART
	;;#ASMEND
	s_mov_b64 s[28:29], -1
	v_cmp_ne_u32_e32 vcc, 0, v0
	v_mov_b32_e32 v0, 0
	v_mov_b32_e32 v14, v25
	;; [unrolled: 1-line block ×4, first 2 shown]
	s_cbranch_vccz .LBB10_720
; %bb.700:                              ;   in Loop: Header=BB10_627 Depth=2
	s_and_saveexec_b64 s[38:39], s[28:29]
	s_cbranch_execnz .LBB10_861
.LBB10_701:                             ;   in Loop: Header=BB10_627 Depth=2
	s_or_b64 exec, exec, s[38:39]
.LBB10_702:                             ;   in Loop: Header=BB10_627 Depth=2
	v_accvgpr_read_b32 v14, a3
	s_and_saveexec_b64 s[28:29], s[10:11]
	s_cbranch_execnz .LBB10_708
.LBB10_703:                             ;   in Loop: Header=BB10_627 Depth=2
	s_or_b64 exec, exec, s[28:29]
                                        ; implicit-def: $vgpr0
	s_and_saveexec_b64 s[28:29], s[22:23]
	s_xor_b64 s[30:31], exec, s[28:29]
	s_cbranch_execz .LBB10_794
.LBB10_704:                             ;   in Loop: Header=BB10_627 Depth=2
	v_cmp_lt_i32_e32 vcc, 0, v3
	v_and_b32_e32 v3, 16, v55
	v_cmp_ne_u32_e64 s[28:29], 0, v3
	v_and_b32_e32 v0, 16, v55
	s_and_b64 vcc, s[28:29], vcc
	s_and_saveexec_b64 s[28:29], vcc
	s_cbranch_execz .LBB10_706
; %bb.705:                              ;   in Loop: Header=BB10_627 Depth=2
	v_mov_b32_e32 v0, 1
	s_waitcnt vmcnt(0) lgkmcnt(0)
	buffer_wbinvl1_vol
.LBB10_706:                             ;   in Loop: Header=BB10_627 Depth=2
	s_or_b64 exec, exec, s[28:29]
	s_andn2_saveexec_b64 s[28:29], s[30:31]
	s_cbranch_execz .LBB10_813
	s_branch .LBB10_795
.LBB10_707:                             ;   in Loop: Header=BB10_627 Depth=2
	s_and_saveexec_b64 s[28:29], s[10:11]
	s_cbranch_execz .LBB10_703
.LBB10_708:                             ;   in Loop: Header=BB10_627 Depth=2
	s_and_saveexec_b64 vcc, s[48:49]
	s_xor_b64 s[30:31], exec, vcc
	s_cbranch_execz .LBB10_791
; %bb.709:                              ;   in Loop: Header=BB10_627 Depth=2
	s_and_saveexec_b64 s[34:35], s[16:17]
	s_cbranch_execz .LBB10_790
; %bb.710:                              ;   in Loop: Header=BB10_627 Depth=2
	s_mov_b64 s[38:39], exec
	v_mbcnt_lo_u32_b32 v0, s38, 0
	v_mbcnt_hi_u32_b32 v0, s39, v0
	v_cmp_eq_u32_e32 vcc, 0, v0
	s_waitcnt vmcnt(0) lgkmcnt(0)
	buffer_wbinvl1_vol
	s_and_saveexec_b64 s[36:37], vcc
	s_cbranch_execz .LBB10_712
; %bb.711:                              ;   in Loop: Header=BB10_627 Depth=2
	s_bcnt1_i32_b64 vcc_lo, s[38:39]
	v_mov_b32_e32 v4, vcc_lo
	v_mov_b32_e32 v5, v52
	ds_add_u64 v0, v[4:5]
	s_trap 2
.LBB10_712:                             ;   in Loop: Header=BB10_627 Depth=2
	s_or_b64 exec, exec, s[36:37]
	s_trap 2
	ds_read_b64 v[4:5], v0
	v_add_co_u32_e32 v48, vcc, v48, v54
	v_addc_co_u32_e32 v49, vcc, 0, v49, vcc
	s_waitcnt lgkmcnt(0)
	v_cmp_lt_u64_e32 vcc, v[4:5], v[48:49]
	s_and_saveexec_b64 s[36:37], vcc
	s_cbranch_execz .LBB10_789
; %bb.713:                              ;   in Loop: Header=BB10_627 Depth=2
	s_mov_b32 s46, 0
	s_mov_b64 s[38:39], 0
                                        ; implicit-def: $sgpr62_sgpr63
                                        ; implicit-def: $sgpr64_sgpr65
	s_branch .LBB10_715
.LBB10_714:                             ;   in Loop: Header=BB10_715 Depth=3
	s_or_b64 exec, exec, s[68:69]
	s_and_b64 vcc, exec, vcc
	s_or_b64 s[38:39], vcc, s[38:39]
	s_andn2_b64 vcc, s[62:63], exec
	s_and_b64 s[62:63], s[64:65], exec
	s_or_b64 s[62:63], vcc, s[62:63]
	s_andn2_b64 exec, exec, s[38:39]
	s_cbranch_execz .LBB10_787
.LBB10_715:                             ;   Parent Loop BB10_47 Depth=1
                                        ;     Parent Loop BB10_627 Depth=2
                                        ; =>    This Inner Loop Header: Depth=3
	s_add_i32 s46, s46, 1
	s_cmpk_lg_i32 s46, 0x2710
	s_cselect_b64 s[66:67], -1, 0
	s_and_b64 vcc, exec, s[66:67]
                                        ; implicit-def: $sgpr68_sgpr69
	s_cbranch_vccnz .LBB10_717
; %bb.716:                              ;   in Loop: Header=BB10_715 Depth=3
	s_trap 2
	ds_read_b64 v[4:5], v0
	s_andn2_b64 s[66:67], s[66:67], exec
	s_mov_b32 s46, 0
	s_mov_b64 s[68:69], -1
	s_waitcnt lgkmcnt(0)
	flat_load_dword v0, v[4:5] glc
	s_waitcnt vmcnt(0) lgkmcnt(0)
	buffer_invl2
	buffer_wbinvl1_vol
	v_cmp_eq_u32_e32 vcc, 0, v0
	s_and_b64 vcc, vcc, exec
	s_or_b64 s[66:67], s[66:67], vcc
.LBB10_717:                             ;   in Loop: Header=BB10_715 Depth=3
	s_andn2_b64 s[64:65], s[64:65], exec
	s_and_b64 s[68:69], s[68:69], exec
	s_mov_b64 vcc, -1
	s_or_b64 s[64:65], s[64:65], s[68:69]
	s_and_saveexec_b64 s[68:69], s[66:67]
	s_cbranch_execz .LBB10_714
; %bb.718:                              ;   in Loop: Header=BB10_715 Depth=3
	s_sleep 1
	s_trap 2
	ds_read_b64 v[4:5], v0
	s_andn2_b64 s[64:65], s[64:65], exec
	s_waitcnt lgkmcnt(0)
	v_cmp_ge_u64_e32 vcc, v[4:5], v[48:49]
	s_orn2_b64 vcc, vcc, exec
	s_branch .LBB10_714
.LBB10_719:                             ;   in Loop: Header=BB10_627 Depth=2
	s_cbranch_execnz .LBB10_908
	s_branch .LBB10_702
.LBB10_720:                             ;   in Loop: Header=BB10_627 Depth=2
	v_ashrrev_i32_e32 v0, 31, v25
	v_lshrrev_b32_e32 v0, 21, v0
	v_add_u32_e32 v0, v25, v0
	v_ashrrev_i32_e32 v41, 11, v0
	v_sub_u32_e32 v53, v41, v60
	v_cmp_lt_i32_e32 vcc, 0, v53
	s_and_saveexec_b64 s[30:31], vcc
	s_cbranch_execz .LBB10_818
; %bb.721:                              ;   in Loop: Header=BB10_627 Depth=2
	s_trap 2
	ds_read_b128 v[8:11], v0
	v_accvgpr_read_b32 v0, a26
	v_accvgpr_read_b32 v13, a27
	s_and_b32 s46, s97, 1
	s_cmp_eq_u64 s[46:47], 0
	s_waitcnt lgkmcnt(0)
	v_add_co_u32_e32 v4, vcc, v8, v0
	v_addc_co_u32_e32 v5, vcc, v9, v13, vcc
	v_add_co_u32_e32 v26, vcc, v10, v0
	v_addc_co_u32_e32 v27, vcc, v11, v13, vcc
	s_mov_b64 s[34:35], 0
	s_cselect_b64 vcc, -1, 0
	v_pk_mov_b32 v[56:57], v[4:5], v[4:5] op_sel:[0,1]
	v_pk_mov_b32 v[58:59], v[26:27], v[26:27] op_sel:[0,1]
	s_branch .LBB10_723
.LBB10_722:                             ;   in Loop: Header=BB10_723 Depth=3
	s_or_b64 exec, exec, s[36:37]
	v_lshrrev_b32_e32 v15, 16, v16
	v_and_or_b32 v17, v17, s89, v15
	v_lshrrev_b32_e32 v15, 16, v40
	v_and_or_b32 v16, v0, s89, v15
	;; [unrolled: 2-line block ×4, first 2 shown]
	v_lshrrev_b32_e32 v0, 16, v12
	v_add_co_u32_e64 v4, s[28:29], v4, v28
	v_and_or_b32 v9, v9, s89, v0
	v_lshrrev_b32_e32 v0, 16, v22
	v_addc_co_u32_e64 v5, s[28:29], v5, v29, s[28:29]
	v_and_or_b32 v8, v8, s89, v0
	v_lshrrev_b32_e32 v0, 16, v13
	v_add_co_u32_e64 v26, s[28:29], v26, v28
	v_and_or_b32 v10, v10, s89, v0
	v_lshrrev_b32_e32 v0, 16, v14
	v_addc_co_u32_e64 v27, s[28:29], v27, v29, s[28:29]
	v_and_or_b32 v11, v11, s89, v0
	global_store_dwordx4 v[56:57], v[16:19], off glc slc
	global_store_dwordx4 v[56:57], v[8:11], off offset:1024 glc slc
	global_store_dwordx4 v[58:59], v[16:19], off glc slc
	global_store_dwordx4 v[58:59], v[8:11], off offset:1024 glc slc
	v_add_co_u32_e64 v56, s[28:29], v56, v28
	v_addc_co_u32_e64 v57, s[28:29], v57, v29, s[28:29]
	v_sub_u32_e32 v53, v53, v54
	v_cmp_gt_i32_e64 s[28:29], 1, v53
	s_or_b64 s[34:35], s[28:29], s[34:35]
	v_add_co_u32_e64 v58, s[28:29], v58, v28
	v_addc_co_u32_e64 v59, s[28:29], v59, v29, s[28:29]
	s_andn2_b64 exec, exec, s[34:35]
	s_cbranch_execz .LBB10_817
.LBB10_723:                             ;   Parent Loop BB10_47 Depth=1
                                        ;     Parent Loop BB10_627 Depth=2
                                        ; =>    This Inner Loop Header: Depth=3
	global_load_dwordx4 v[16:19], v[4:5], off glc slc
	global_load_dwordx4 v[20:23], v[26:27], off glc slc
	global_load_dwordx4 v[8:11], v[4:5], off offset:1024 glc slc
	global_load_dwordx4 v[12:15], v[26:27], off offset:1024 glc slc
                                        ; implicit-def: $vgpr40
	s_waitcnt vmcnt(0)
	v_lshlrev_b32_e32 v0, 16, v16
	v_lshlrev_b32_e32 v38, 16, v20
	v_max_f32_e32 v38, v38, v38
	v_max_f32_e32 v0, v0, v0
	v_min_f32_e32 v39, v0, v38
	v_max_f32_e32 v0, v0, v38
	v_cndmask_b32_e32 v0, v0, v39, vcc
	v_and_b32_e32 v38, 0x7f800000, v0
	v_cmp_ne_u32_e64 s[28:29], s87, v38
	s_and_saveexec_b64 s[36:37], s[28:29]
	s_xor_b64 s[28:29], exec, s[36:37]
; %bb.724:                              ;   in Loop: Header=BB10_723 Depth=3
	v_bfe_u32 v38, v0, 16, 1
	v_add3_u32 v40, v0, v38, s88
                                        ; implicit-def: $vgpr0
; %bb.725:                              ;   in Loop: Header=BB10_723 Depth=3
	s_andn2_saveexec_b64 s[36:37], s[28:29]
; %bb.726:                              ;   in Loop: Header=BB10_723 Depth=3
	v_or_b32_e32 v38, 0x10000, v0
	v_cmp_eq_u32_sdwa s[28:29], v0, v52 src0_sel:WORD_0 src1_sel:DWORD
	v_cndmask_b32_e64 v40, v38, v0, s[28:29]
; %bb.727:                              ;   in Loop: Header=BB10_723 Depth=3
	s_or_b64 exec, exec, s[36:37]
	v_and_b32_e32 v0, 0xffff0000, v16
	v_and_b32_e32 v16, 0xffff0000, v20
	v_max_f32_e32 v16, v16, v16
	v_max_f32_e32 v0, v0, v0
	v_min_f32_e32 v20, v0, v16
	v_max_f32_e32 v0, v0, v16
	v_cndmask_b32_e32 v16, v0, v20, vcc
	v_and_b32_e32 v0, 0x7f800000, v16
	v_cmp_ne_u32_e64 s[28:29], s87, v0
                                        ; implicit-def: $vgpr0
	s_and_saveexec_b64 s[36:37], s[28:29]
	s_xor_b64 s[28:29], exec, s[36:37]
; %bb.728:                              ;   in Loop: Header=BB10_723 Depth=3
	v_bfe_u32 v0, v16, 16, 1
	v_add3_u32 v0, v16, v0, s88
                                        ; implicit-def: $vgpr16
; %bb.729:                              ;   in Loop: Header=BB10_723 Depth=3
	s_andn2_saveexec_b64 s[36:37], s[28:29]
; %bb.730:                              ;   in Loop: Header=BB10_723 Depth=3
	v_or_b32_e32 v0, 0x10000, v16
	v_cmp_eq_u32_sdwa s[28:29], v16, v52 src0_sel:WORD_0 src1_sel:DWORD
	v_cndmask_b32_e64 v0, v0, v16, s[28:29]
; %bb.731:                              ;   in Loop: Header=BB10_723 Depth=3
	s_or_b64 exec, exec, s[36:37]
	v_lshlrev_b32_e32 v16, 16, v17
	v_lshlrev_b32_e32 v20, 16, v21
	v_max_f32_e32 v20, v20, v20
	v_max_f32_e32 v16, v16, v16
	v_min_f32_e32 v38, v16, v20
	v_max_f32_e32 v16, v16, v20
	v_cndmask_b32_e32 v20, v16, v38, vcc
	v_and_b32_e32 v16, 0x7f800000, v20
	v_cmp_ne_u32_e64 s[28:29], s87, v16
                                        ; implicit-def: $vgpr16
	s_and_saveexec_b64 s[36:37], s[28:29]
	s_xor_b64 s[28:29], exec, s[36:37]
; %bb.732:                              ;   in Loop: Header=BB10_723 Depth=3
	v_bfe_u32 v16, v20, 16, 1
	v_add3_u32 v16, v20, v16, s88
                                        ; implicit-def: $vgpr20
; %bb.733:                              ;   in Loop: Header=BB10_723 Depth=3
	s_andn2_saveexec_b64 s[36:37], s[28:29]
; %bb.734:                              ;   in Loop: Header=BB10_723 Depth=3
	v_or_b32_e32 v16, 0x10000, v20
	v_cmp_eq_u32_sdwa s[28:29], v20, v52 src0_sel:WORD_0 src1_sel:DWORD
	v_cndmask_b32_e64 v16, v16, v20, s[28:29]
; %bb.735:                              ;   in Loop: Header=BB10_723 Depth=3
	s_or_b64 exec, exec, s[36:37]
	v_and_b32_e32 v17, 0xffff0000, v17
	v_and_b32_e32 v20, 0xffff0000, v21
	v_max_f32_e32 v20, v20, v20
	v_max_f32_e32 v17, v17, v17
	v_min_f32_e32 v21, v17, v20
	v_max_f32_e32 v17, v17, v20
	v_cndmask_b32_e32 v20, v17, v21, vcc
	v_and_b32_e32 v17, 0x7f800000, v20
	v_cmp_ne_u32_e64 s[28:29], s87, v17
                                        ; implicit-def: $vgpr17
	s_and_saveexec_b64 s[36:37], s[28:29]
	s_xor_b64 s[28:29], exec, s[36:37]
; %bb.736:                              ;   in Loop: Header=BB10_723 Depth=3
	v_bfe_u32 v17, v20, 16, 1
	v_add3_u32 v17, v20, v17, s88
                                        ; implicit-def: $vgpr20
; %bb.737:                              ;   in Loop: Header=BB10_723 Depth=3
	s_andn2_saveexec_b64 s[36:37], s[28:29]
; %bb.738:                              ;   in Loop: Header=BB10_723 Depth=3
	v_or_b32_e32 v17, 0x10000, v20
	v_cmp_eq_u32_sdwa s[28:29], v20, v52 src0_sel:WORD_0 src1_sel:DWORD
	v_cndmask_b32_e64 v17, v17, v20, s[28:29]
; %bb.739:                              ;   in Loop: Header=BB10_723 Depth=3
	s_or_b64 exec, exec, s[36:37]
	v_lshlrev_b32_e32 v20, 16, v18
	v_lshlrev_b32_e32 v21, 16, v22
	v_max_f32_e32 v21, v21, v21
	v_max_f32_e32 v20, v20, v20
	v_min_f32_e32 v38, v20, v21
	v_max_f32_e32 v20, v20, v21
	v_cndmask_b32_e32 v21, v20, v38, vcc
	v_and_b32_e32 v20, 0x7f800000, v21
	v_cmp_ne_u32_e64 s[28:29], s87, v20
                                        ; implicit-def: $vgpr20
	s_and_saveexec_b64 s[36:37], s[28:29]
	s_xor_b64 s[28:29], exec, s[36:37]
; %bb.740:                              ;   in Loop: Header=BB10_723 Depth=3
	v_bfe_u32 v20, v21, 16, 1
	v_add3_u32 v20, v21, v20, s88
                                        ; implicit-def: $vgpr21
; %bb.741:                              ;   in Loop: Header=BB10_723 Depth=3
	s_andn2_saveexec_b64 s[36:37], s[28:29]
; %bb.742:                              ;   in Loop: Header=BB10_723 Depth=3
	v_or_b32_e32 v20, 0x10000, v21
	v_cmp_eq_u32_sdwa s[28:29], v21, v52 src0_sel:WORD_0 src1_sel:DWORD
	v_cndmask_b32_e64 v20, v20, v21, s[28:29]
; %bb.743:                              ;   in Loop: Header=BB10_723 Depth=3
	s_or_b64 exec, exec, s[36:37]
	v_and_b32_e32 v18, 0xffff0000, v18
	v_and_b32_e32 v21, 0xffff0000, v22
	v_max_f32_e32 v21, v21, v21
	v_max_f32_e32 v18, v18, v18
	v_min_f32_e32 v22, v18, v21
	v_max_f32_e32 v18, v18, v21
	v_cndmask_b32_e32 v21, v18, v22, vcc
	v_and_b32_e32 v18, 0x7f800000, v21
	v_cmp_ne_u32_e64 s[28:29], s87, v18
                                        ; implicit-def: $vgpr18
	s_and_saveexec_b64 s[36:37], s[28:29]
	s_xor_b64 s[28:29], exec, s[36:37]
; %bb.744:                              ;   in Loop: Header=BB10_723 Depth=3
	v_bfe_u32 v18, v21, 16, 1
	v_add3_u32 v18, v21, v18, s88
                                        ; implicit-def: $vgpr21
; %bb.745:                              ;   in Loop: Header=BB10_723 Depth=3
	s_andn2_saveexec_b64 s[36:37], s[28:29]
; %bb.746:                              ;   in Loop: Header=BB10_723 Depth=3
	v_or_b32_e32 v18, 0x10000, v21
	v_cmp_eq_u32_sdwa s[28:29], v21, v52 src0_sel:WORD_0 src1_sel:DWORD
	v_cndmask_b32_e64 v18, v18, v21, s[28:29]
; %bb.747:                              ;   in Loop: Header=BB10_723 Depth=3
	s_or_b64 exec, exec, s[36:37]
	v_lshlrev_b32_e32 v21, 16, v19
	v_lshlrev_b32_e32 v22, 16, v23
	v_max_f32_e32 v22, v22, v22
	v_max_f32_e32 v21, v21, v21
	v_min_f32_e32 v38, v21, v22
	v_max_f32_e32 v21, v21, v22
	v_cndmask_b32_e32 v22, v21, v38, vcc
	v_and_b32_e32 v21, 0x7f800000, v22
	v_cmp_ne_u32_e64 s[28:29], s87, v21
                                        ; implicit-def: $vgpr21
	s_and_saveexec_b64 s[36:37], s[28:29]
	s_xor_b64 s[28:29], exec, s[36:37]
; %bb.748:                              ;   in Loop: Header=BB10_723 Depth=3
	v_bfe_u32 v21, v22, 16, 1
	v_add3_u32 v21, v22, v21, s88
                                        ; implicit-def: $vgpr22
; %bb.749:                              ;   in Loop: Header=BB10_723 Depth=3
	s_andn2_saveexec_b64 s[36:37], s[28:29]
; %bb.750:                              ;   in Loop: Header=BB10_723 Depth=3
	v_or_b32_e32 v21, 0x10000, v22
	v_cmp_eq_u32_sdwa s[28:29], v22, v52 src0_sel:WORD_0 src1_sel:DWORD
	v_cndmask_b32_e64 v21, v21, v22, s[28:29]
; %bb.751:                              ;   in Loop: Header=BB10_723 Depth=3
	s_or_b64 exec, exec, s[36:37]
	v_and_b32_e32 v19, 0xffff0000, v19
	v_and_b32_e32 v22, 0xffff0000, v23
	v_max_f32_e32 v22, v22, v22
	v_max_f32_e32 v19, v19, v19
	v_min_f32_e32 v23, v19, v22
	v_max_f32_e32 v19, v19, v22
	v_cndmask_b32_e32 v22, v19, v23, vcc
	v_and_b32_e32 v19, 0x7f800000, v22
	v_cmp_ne_u32_e64 s[28:29], s87, v19
                                        ; implicit-def: $vgpr19
	s_and_saveexec_b64 s[36:37], s[28:29]
	s_xor_b64 s[28:29], exec, s[36:37]
; %bb.752:                              ;   in Loop: Header=BB10_723 Depth=3
	v_bfe_u32 v19, v22, 16, 1
	v_add3_u32 v19, v22, v19, s88
                                        ; implicit-def: $vgpr22
; %bb.753:                              ;   in Loop: Header=BB10_723 Depth=3
	s_andn2_saveexec_b64 s[36:37], s[28:29]
; %bb.754:                              ;   in Loop: Header=BB10_723 Depth=3
	v_or_b32_e32 v19, 0x10000, v22
	v_cmp_eq_u32_sdwa s[28:29], v22, v52 src0_sel:WORD_0 src1_sel:DWORD
	v_cndmask_b32_e64 v19, v19, v22, s[28:29]
; %bb.755:                              ;   in Loop: Header=BB10_723 Depth=3
	s_or_b64 exec, exec, s[36:37]
	v_lshlrev_b32_e32 v22, 16, v8
	v_lshlrev_b32_e32 v23, 16, v12
	v_max_f32_e32 v23, v23, v23
	v_max_f32_e32 v22, v22, v22
	v_min_f32_e32 v38, v22, v23
	v_max_f32_e32 v22, v22, v23
	v_cndmask_b32_e32 v23, v22, v38, vcc
	v_and_b32_e32 v22, 0x7f800000, v23
	v_cmp_ne_u32_e64 s[28:29], s87, v22
                                        ; implicit-def: $vgpr22
	s_and_saveexec_b64 s[36:37], s[28:29]
	s_xor_b64 s[28:29], exec, s[36:37]
; %bb.756:                              ;   in Loop: Header=BB10_723 Depth=3
	v_bfe_u32 v22, v23, 16, 1
	v_add3_u32 v22, v23, v22, s88
                                        ; implicit-def: $vgpr23
; %bb.757:                              ;   in Loop: Header=BB10_723 Depth=3
	s_andn2_saveexec_b64 s[36:37], s[28:29]
; %bb.758:                              ;   in Loop: Header=BB10_723 Depth=3
	v_or_b32_e32 v22, 0x10000, v23
	v_cmp_eq_u32_sdwa s[28:29], v23, v52 src0_sel:WORD_0 src1_sel:DWORD
	v_cndmask_b32_e64 v22, v22, v23, s[28:29]
; %bb.759:                              ;   in Loop: Header=BB10_723 Depth=3
	s_or_b64 exec, exec, s[36:37]
	v_and_b32_e32 v8, 0xffff0000, v8
	v_and_b32_e32 v12, 0xffff0000, v12
	v_max_f32_e32 v12, v12, v12
	v_max_f32_e32 v8, v8, v8
	v_min_f32_e32 v23, v8, v12
	v_max_f32_e32 v8, v8, v12
	v_cndmask_b32_e32 v12, v8, v23, vcc
	v_and_b32_e32 v8, 0x7f800000, v12
	v_cmp_ne_u32_e64 s[28:29], s87, v8
                                        ; implicit-def: $vgpr8
	s_and_saveexec_b64 s[36:37], s[28:29]
	s_xor_b64 s[28:29], exec, s[36:37]
; %bb.760:                              ;   in Loop: Header=BB10_723 Depth=3
	v_bfe_u32 v8, v12, 16, 1
	v_add3_u32 v8, v12, v8, s88
                                        ; implicit-def: $vgpr12
; %bb.761:                              ;   in Loop: Header=BB10_723 Depth=3
	s_andn2_saveexec_b64 s[36:37], s[28:29]
; %bb.762:                              ;   in Loop: Header=BB10_723 Depth=3
	v_or_b32_e32 v8, 0x10000, v12
	v_cmp_eq_u32_sdwa s[28:29], v12, v52 src0_sel:WORD_0 src1_sel:DWORD
	v_cndmask_b32_e64 v8, v8, v12, s[28:29]
; %bb.763:                              ;   in Loop: Header=BB10_723 Depth=3
	s_or_b64 exec, exec, s[36:37]
	v_lshlrev_b32_e32 v12, 16, v9
	v_lshlrev_b32_e32 v23, 16, v13
	v_max_f32_e32 v23, v23, v23
	v_max_f32_e32 v12, v12, v12
	v_min_f32_e32 v38, v12, v23
	v_max_f32_e32 v12, v12, v23
	v_cndmask_b32_e32 v23, v12, v38, vcc
	v_and_b32_e32 v12, 0x7f800000, v23
	v_cmp_ne_u32_e64 s[28:29], s87, v12
                                        ; implicit-def: $vgpr12
	s_and_saveexec_b64 s[36:37], s[28:29]
	s_xor_b64 s[28:29], exec, s[36:37]
; %bb.764:                              ;   in Loop: Header=BB10_723 Depth=3
	v_bfe_u32 v12, v23, 16, 1
	v_add3_u32 v12, v23, v12, s88
                                        ; implicit-def: $vgpr23
; %bb.765:                              ;   in Loop: Header=BB10_723 Depth=3
	s_andn2_saveexec_b64 s[36:37], s[28:29]
; %bb.766:                              ;   in Loop: Header=BB10_723 Depth=3
	v_or_b32_e32 v12, 0x10000, v23
	v_cmp_eq_u32_sdwa s[28:29], v23, v52 src0_sel:WORD_0 src1_sel:DWORD
	v_cndmask_b32_e64 v12, v12, v23, s[28:29]
; %bb.767:                              ;   in Loop: Header=BB10_723 Depth=3
	s_or_b64 exec, exec, s[36:37]
	v_and_b32_e32 v9, 0xffff0000, v9
	v_and_b32_e32 v13, 0xffff0000, v13
	v_max_f32_e32 v13, v13, v13
	v_max_f32_e32 v9, v9, v9
	v_min_f32_e32 v23, v9, v13
	v_max_f32_e32 v9, v9, v13
	v_cndmask_b32_e32 v13, v9, v23, vcc
	v_and_b32_e32 v9, 0x7f800000, v13
	v_cmp_ne_u32_e64 s[28:29], s87, v9
                                        ; implicit-def: $vgpr9
	s_and_saveexec_b64 s[36:37], s[28:29]
	s_xor_b64 s[28:29], exec, s[36:37]
; %bb.768:                              ;   in Loop: Header=BB10_723 Depth=3
	v_bfe_u32 v9, v13, 16, 1
	v_add3_u32 v9, v13, v9, s88
                                        ; implicit-def: $vgpr13
; %bb.769:                              ;   in Loop: Header=BB10_723 Depth=3
	s_andn2_saveexec_b64 s[36:37], s[28:29]
; %bb.770:                              ;   in Loop: Header=BB10_723 Depth=3
	v_or_b32_e32 v9, 0x10000, v13
	v_cmp_eq_u32_sdwa s[28:29], v13, v52 src0_sel:WORD_0 src1_sel:DWORD
	v_cndmask_b32_e64 v9, v9, v13, s[28:29]
; %bb.771:                              ;   in Loop: Header=BB10_723 Depth=3
	s_or_b64 exec, exec, s[36:37]
	v_lshlrev_b32_e32 v13, 16, v10
	v_lshlrev_b32_e32 v23, 16, v14
	v_max_f32_e32 v23, v23, v23
	v_max_f32_e32 v13, v13, v13
	v_min_f32_e32 v38, v13, v23
	v_max_f32_e32 v13, v13, v23
	v_cndmask_b32_e32 v23, v13, v38, vcc
	v_and_b32_e32 v13, 0x7f800000, v23
	v_cmp_ne_u32_e64 s[28:29], s87, v13
                                        ; implicit-def: $vgpr13
	s_and_saveexec_b64 s[36:37], s[28:29]
	s_xor_b64 s[28:29], exec, s[36:37]
; %bb.772:                              ;   in Loop: Header=BB10_723 Depth=3
	v_bfe_u32 v13, v23, 16, 1
	v_add3_u32 v13, v23, v13, s88
                                        ; implicit-def: $vgpr23
; %bb.773:                              ;   in Loop: Header=BB10_723 Depth=3
	s_andn2_saveexec_b64 s[36:37], s[28:29]
; %bb.774:                              ;   in Loop: Header=BB10_723 Depth=3
	v_or_b32_e32 v13, 0x10000, v23
	v_cmp_eq_u32_sdwa s[28:29], v23, v52 src0_sel:WORD_0 src1_sel:DWORD
	v_cndmask_b32_e64 v13, v13, v23, s[28:29]
; %bb.775:                              ;   in Loop: Header=BB10_723 Depth=3
	s_or_b64 exec, exec, s[36:37]
	v_and_b32_e32 v10, 0xffff0000, v10
	v_and_b32_e32 v14, 0xffff0000, v14
	v_max_f32_e32 v14, v14, v14
	v_max_f32_e32 v10, v10, v10
	v_min_f32_e32 v23, v10, v14
	v_max_f32_e32 v10, v10, v14
	v_cndmask_b32_e32 v14, v10, v23, vcc
	v_and_b32_e32 v10, 0x7f800000, v14
	v_cmp_ne_u32_e64 s[28:29], s87, v10
                                        ; implicit-def: $vgpr10
	s_and_saveexec_b64 s[36:37], s[28:29]
	s_xor_b64 s[28:29], exec, s[36:37]
; %bb.776:                              ;   in Loop: Header=BB10_723 Depth=3
	v_bfe_u32 v10, v14, 16, 1
	v_add3_u32 v10, v14, v10, s88
                                        ; implicit-def: $vgpr14
; %bb.777:                              ;   in Loop: Header=BB10_723 Depth=3
	s_andn2_saveexec_b64 s[36:37], s[28:29]
; %bb.778:                              ;   in Loop: Header=BB10_723 Depth=3
	v_or_b32_e32 v10, 0x10000, v14
	v_cmp_eq_u32_sdwa s[28:29], v14, v52 src0_sel:WORD_0 src1_sel:DWORD
	v_cndmask_b32_e64 v10, v10, v14, s[28:29]
; %bb.779:                              ;   in Loop: Header=BB10_723 Depth=3
	s_or_b64 exec, exec, s[36:37]
	v_lshlrev_b32_e32 v14, 16, v11
	v_lshlrev_b32_e32 v23, 16, v15
	v_max_f32_e32 v23, v23, v23
	v_max_f32_e32 v14, v14, v14
	v_min_f32_e32 v38, v14, v23
	v_max_f32_e32 v14, v14, v23
	v_cndmask_b32_e32 v23, v14, v38, vcc
	v_and_b32_e32 v14, 0x7f800000, v23
	v_cmp_ne_u32_e64 s[28:29], s87, v14
                                        ; implicit-def: $vgpr14
	s_and_saveexec_b64 s[36:37], s[28:29]
	s_xor_b64 s[28:29], exec, s[36:37]
; %bb.780:                              ;   in Loop: Header=BB10_723 Depth=3
	v_bfe_u32 v14, v23, 16, 1
	v_add3_u32 v14, v23, v14, s88
                                        ; implicit-def: $vgpr23
; %bb.781:                              ;   in Loop: Header=BB10_723 Depth=3
	s_andn2_saveexec_b64 s[36:37], s[28:29]
; %bb.782:                              ;   in Loop: Header=BB10_723 Depth=3
	v_or_b32_e32 v14, 0x10000, v23
	v_cmp_eq_u32_sdwa s[28:29], v23, v52 src0_sel:WORD_0 src1_sel:DWORD
	v_cndmask_b32_e64 v14, v14, v23, s[28:29]
; %bb.783:                              ;   in Loop: Header=BB10_723 Depth=3
	s_or_b64 exec, exec, s[36:37]
	v_and_b32_e32 v11, 0xffff0000, v11
	v_and_b32_e32 v15, 0xffff0000, v15
	v_max_f32_e32 v15, v15, v15
	v_max_f32_e32 v11, v11, v11
	v_min_f32_e32 v23, v11, v15
	v_max_f32_e32 v11, v11, v15
	v_cndmask_b32_e32 v15, v11, v23, vcc
	v_and_b32_e32 v11, 0x7f800000, v15
	v_cmp_ne_u32_e64 s[28:29], s87, v11
                                        ; implicit-def: $vgpr11
	s_and_saveexec_b64 s[36:37], s[28:29]
	s_xor_b64 s[28:29], exec, s[36:37]
; %bb.784:                              ;   in Loop: Header=BB10_723 Depth=3
	v_bfe_u32 v11, v15, 16, 1
	v_add3_u32 v11, v15, v11, s88
                                        ; implicit-def: $vgpr15
; %bb.785:                              ;   in Loop: Header=BB10_723 Depth=3
	s_andn2_saveexec_b64 s[36:37], s[28:29]
	s_cbranch_execz .LBB10_722
; %bb.786:                              ;   in Loop: Header=BB10_723 Depth=3
	v_or_b32_e32 v11, 0x10000, v15
	v_cmp_eq_u32_sdwa s[28:29], v15, v52 src0_sel:WORD_0 src1_sel:DWORD
	v_cndmask_b32_e64 v11, v11, v15, s[28:29]
	s_branch .LBB10_722
.LBB10_787:                             ;   in Loop: Header=BB10_627 Depth=2
	s_or_b64 exec, exec, s[38:39]
	s_and_saveexec_b64 vcc, s[62:63]
	s_xor_b64 vcc, exec, vcc
	s_cbranch_execz .LBB10_789
; %bb.788:                              ;   in Loop: Header=BB10_627 Depth=2
	ds_write_b32 v0, v57
	s_trap 2
.LBB10_789:                             ;   in Loop: Header=BB10_627 Depth=2
	s_or_b64 exec, exec, s[36:37]
	;;#ASMSTART
	s_wakeup
	;;#ASMEND
.LBB10_790:                             ;   in Loop: Header=BB10_627 Depth=2
	s_or_b64 exec, exec, s[34:35]
.LBB10_791:                             ;   in Loop: Header=BB10_627 Depth=2
	s_andn2_saveexec_b64 vcc, s[30:31]
	s_cbranch_execz .LBB10_793
; %bb.792:                              ;   in Loop: Header=BB10_627 Depth=2
	s_waitcnt vmcnt(0) lgkmcnt(0)
	buffer_wbinvl1_vol
	s_barrier
.LBB10_793:                             ;   in Loop: Header=BB10_627 Depth=2
	s_or_b64 exec, exec, vcc
	s_or_b64 exec, exec, s[28:29]
                                        ; implicit-def: $vgpr0
	s_and_saveexec_b64 s[28:29], s[22:23]
	s_xor_b64 s[30:31], exec, s[28:29]
	s_cbranch_execnz .LBB10_704
.LBB10_794:                             ;   in Loop: Header=BB10_627 Depth=2
	s_andn2_saveexec_b64 s[28:29], s[30:31]
	s_cbranch_execz .LBB10_813
.LBB10_795:                             ;   in Loop: Header=BB10_627 Depth=2
	s_and_saveexec_b64 vcc, s[48:49]
	s_xor_b64 s[30:31], exec, vcc
	s_cbranch_execz .LBB10_810
; %bb.796:                              ;   in Loop: Header=BB10_627 Depth=2
	s_and_saveexec_b64 s[34:35], s[16:17]
	s_cbranch_execz .LBB10_809
; %bb.797:                              ;   in Loop: Header=BB10_627 Depth=2
	s_mov_b64 s[38:39], exec
	v_mbcnt_lo_u32_b32 v0, s38, 0
	v_mbcnt_hi_u32_b32 v0, s39, v0
	v_cmp_eq_u32_e32 vcc, 0, v0
	;;#ASMSTART
	s_waitcnt lgkmcnt(0) vmcnt(0)
	;;#ASMEND
	s_and_saveexec_b64 s[36:37], vcc
	s_cbranch_execz .LBB10_799
; %bb.798:                              ;   in Loop: Header=BB10_627 Depth=2
	s_bcnt1_i32_b64 vcc_lo, s[38:39]
	v_mov_b32_e32 v4, vcc_lo
	v_mov_b32_e32 v5, v52
	ds_add_u64 v0, v[4:5]
	s_trap 2
.LBB10_799:                             ;   in Loop: Header=BB10_627 Depth=2
	s_or_b64 exec, exec, s[36:37]
	s_trap 2
	ds_read_b64 v[4:5], v0
	v_add_co_u32_e32 v48, vcc, v48, v54
	v_addc_co_u32_e32 v49, vcc, 0, v49, vcc
	s_waitcnt lgkmcnt(0)
	v_cmp_lt_u64_e32 vcc, v[4:5], v[48:49]
	s_and_saveexec_b64 s[36:37], vcc
	s_cbranch_execz .LBB10_808
; %bb.800:                              ;   in Loop: Header=BB10_627 Depth=2
	s_mov_b32 s46, 0
	s_mov_b64 s[38:39], 0
                                        ; implicit-def: $sgpr62_sgpr63
                                        ; implicit-def: $sgpr64_sgpr65
	s_branch .LBB10_802
.LBB10_801:                             ;   in Loop: Header=BB10_802 Depth=3
	s_or_b64 exec, exec, s[68:69]
	s_and_b64 vcc, exec, vcc
	s_or_b64 s[38:39], vcc, s[38:39]
	s_andn2_b64 vcc, s[62:63], exec
	s_and_b64 s[62:63], s[64:65], exec
	s_or_b64 s[62:63], vcc, s[62:63]
	s_andn2_b64 exec, exec, s[38:39]
	s_cbranch_execz .LBB10_806
.LBB10_802:                             ;   Parent Loop BB10_47 Depth=1
                                        ;     Parent Loop BB10_627 Depth=2
                                        ; =>    This Inner Loop Header: Depth=3
	s_add_i32 s46, s46, 1
	s_cmpk_lg_i32 s46, 0x2710
	s_cselect_b64 s[66:67], -1, 0
	s_and_b64 vcc, exec, s[66:67]
                                        ; implicit-def: $sgpr68_sgpr69
	s_cbranch_vccnz .LBB10_804
; %bb.803:                              ;   in Loop: Header=BB10_802 Depth=3
	s_trap 2
	ds_read_b64 v[4:5], v0
	s_andn2_b64 s[66:67], s[66:67], exec
	s_mov_b32 s46, 0
	s_mov_b64 s[68:69], -1
	s_waitcnt vmcnt(0) lgkmcnt(0)
	flat_load_dword v0, v[4:5] glc
	s_waitcnt vmcnt(0) lgkmcnt(0)
	buffer_invl2
	buffer_wbinvl1_vol
	v_cmp_eq_u32_e32 vcc, 0, v0
	s_and_b64 vcc, vcc, exec
	s_or_b64 s[66:67], s[66:67], vcc
.LBB10_804:                             ;   in Loop: Header=BB10_802 Depth=3
	s_andn2_b64 s[64:65], s[64:65], exec
	s_and_b64 s[68:69], s[68:69], exec
	s_mov_b64 vcc, -1
	s_or_b64 s[64:65], s[64:65], s[68:69]
	s_and_saveexec_b64 s[68:69], s[66:67]
	s_cbranch_execz .LBB10_801
; %bb.805:                              ;   in Loop: Header=BB10_802 Depth=3
	s_sleep 1
	s_trap 2
	ds_read_b64 v[4:5], v0
	s_andn2_b64 s[64:65], s[64:65], exec
	s_waitcnt lgkmcnt(0)
	v_cmp_ge_u64_e32 vcc, v[4:5], v[48:49]
	s_orn2_b64 vcc, vcc, exec
	s_branch .LBB10_801
.LBB10_806:                             ;   in Loop: Header=BB10_627 Depth=2
	s_or_b64 exec, exec, s[38:39]
	s_and_saveexec_b64 vcc, s[62:63]
	s_xor_b64 vcc, exec, vcc
	s_cbranch_execz .LBB10_808
; %bb.807:                              ;   in Loop: Header=BB10_627 Depth=2
	ds_write_b32 v0, v57
	s_trap 2
.LBB10_808:                             ;   in Loop: Header=BB10_627 Depth=2
	s_or_b64 exec, exec, s[36:37]
	;;#ASMSTART
	s_wakeup
	;;#ASMEND
.LBB10_809:                             ;   in Loop: Header=BB10_627 Depth=2
	s_or_b64 exec, exec, s[34:35]
.LBB10_810:                             ;   in Loop: Header=BB10_627 Depth=2
	s_andn2_saveexec_b64 vcc, s[30:31]
	s_cbranch_execz .LBB10_812
; %bb.811:                              ;   in Loop: Header=BB10_627 Depth=2
	;;#ASMSTART
	s_waitcnt lgkmcnt(0) vmcnt(0)
	;;#ASMEND
	s_barrier
.LBB10_812:                             ;   in Loop: Header=BB10_627 Depth=2
	s_or_b64 exec, exec, vcc
	v_and_b32_e32 v0, 16, v55
.LBB10_813:                             ;   in Loop: Header=BB10_627 Depth=2
	s_or_b64 exec, exec, s[28:29]
	v_cmp_ne_u32_e32 vcc, 0, v0
	s_xor_b64 s[28:29], s[12:13], -1
	s_and_b64 vcc, vcc, s[28:29]
	s_and_saveexec_b64 s[28:29], vcc
	s_cbranch_execz .LBB10_815
; %bb.814:                              ;   in Loop: Header=BB10_627 Depth=2
	flat_store_dword v[58:59], v57
.LBB10_815:                             ;   in Loop: Header=BB10_627 Depth=2
	s_or_b64 exec, exec, s[28:29]
	v_and_b32_e32 v0, 48, v55
	v_cmp_ne_u32_e32 vcc, 0, v0
	s_and_saveexec_b64 s[28:29], vcc
	s_cbranch_execz .LBB10_626
; %bb.816:                              ;   in Loop: Header=BB10_627 Depth=2
	v_add_co_u32_e32 v32, vcc, 2, v32
	v_addc_co_u32_e32 v33, vcc, 0, v33, vcc
	flat_store_dwordx2 v[34:35], v[32:33]
	s_branch .LBB10_626
.LBB10_817:                             ;   in Loop: Header=BB10_627 Depth=2
	s_or_b64 exec, exec, s[34:35]
	v_accvgpr_read_b32 v59, a13
	v_accvgpr_read_b32 v58, a12
	v_mov_b32_e32 v57, 1
.LBB10_818:                             ;   in Loop: Header=BB10_627 Depth=2
	s_or_b64 exec, exec, s[30:31]
	v_lshlrev_b32_e32 v22, 11, v41
	v_cmp_ne_u32_e32 vcc, v25, v22
	s_mov_b64 s[28:29], 0
	v_mov_b32_e32 v0, 0
                                        ; implicit-def: $vgpr14
                                        ; implicit-def: $vgpr15
                                        ; implicit-def: $vgpr4
	s_and_saveexec_b64 s[62:63], vcc
	s_cbranch_execz .LBB10_860
; %bb.819:                              ;   in Loop: Header=BB10_627 Depth=2
	v_lshlrev_b32_e32 v0, 6, v53
	v_accvgpr_read_b32 v4, a22
	v_sub_u32_e32 v0, v4, v0
	v_sub_u32_e32 v5, v25, v22
	v_ashrrev_i32_e32 v4, 31, v0
	v_lshrrev_b32_e32 v4, 26, v4
	v_ashrrev_i32_e32 v9, 31, v5
	v_add_u32_e32 v4, v0, v4
	v_lshrrev_b32_e32 v9, 22, v9
	v_ashrrev_i32_e32 v8, 6, v4
	v_and_b32_e32 v4, 0xffffffc0, v4
	v_add_u32_e32 v9, v5, v9
	v_sub_u32_e32 v23, v0, v4
	v_and_b32_e32 v26, 0xfffffc00, v9
	v_lshlrev_b32_e32 v0, 4, v23
	v_sub_u32_e32 v53, v5, v26
	v_lshl_add_u32 v4, v8, 10, v0
	v_ashrrev_i32_e32 v10, 10, v9
	v_cmp_lt_i32_e64 s[28:29], 15, v53
	v_sub_u32_e32 v0, v5, v4
	v_addc_co_u32_e64 v5, vcc, 0, v10, s[28:29]
	v_sub_u32_e32 v27, v5, v8
	v_cmp_lt_i32_e32 vcc, 15, v0
	s_and_saveexec_b64 s[64:65], vcc
	s_cbranch_execz .LBB10_857
; %bb.820:                              ;   in Loop: Header=BB10_627 Depth=2
	s_trap 2
	ds_read_b128 v[8:11], v0
	v_add_u32_e32 v12, v4, v22
	v_ashrrev_i32_e32 v13, 31, v12
	s_and_b32 s46, s97, 1
	s_cmp_eq_u64 s[46:47], 0
	s_waitcnt lgkmcnt(0)
	v_add_co_u32_e32 v4, vcc, v8, v12
	v_addc_co_u32_e32 v5, vcc, v9, v13, vcc
	v_add_co_u32_e32 v16, vcc, v10, v12
	v_addc_co_u32_e32 v17, vcc, v11, v13, vcc
	s_mov_b64 s[66:67], 0
	s_cselect_b64 s[30:31], -1, 0
	v_pk_mov_b32 v[18:19], v[4:5], v[4:5] op_sel:[0,1]
	v_pk_mov_b32 v[20:21], v[16:17], v[16:17] op_sel:[0,1]
.LBB10_821:                             ;   Parent Loop BB10_47 Depth=1
                                        ;     Parent Loop BB10_627 Depth=2
                                        ; =>    This Loop Header: Depth=3
                                        ;         Child Loop BB10_854 Depth 4
	global_load_dwordx4 v[8:11], v[18:19], off glc slc
	global_load_dwordx4 v[12:15], v[20:21], off glc slc
	s_waitcnt vmcnt(0)
	v_lshlrev_b32_e32 v38, 16, v8
	v_lshlrev_b32_e32 v39, 16, v12
	v_max_f32_e32 v39, v39, v39
	v_max_f32_e32 v38, v38, v38
	v_min_f32_e32 v40, v38, v39
	v_max_f32_e32 v38, v38, v39
	v_cndmask_b32_e64 v41, v38, v40, s[30:31]
	v_and_b32_e32 v38, 0x7f800000, v41
	v_cmp_ne_u32_e32 vcc, s87, v38
                                        ; implicit-def: $vgpr40
	s_and_saveexec_b64 s[34:35], vcc
	s_xor_b64 vcc, exec, s[34:35]
; %bb.822:                              ;   in Loop: Header=BB10_821 Depth=3
	v_bfe_u32 v38, v41, 16, 1
	v_add3_u32 v40, v41, v38, s88
                                        ; implicit-def: $vgpr41
; %bb.823:                              ;   in Loop: Header=BB10_821 Depth=3
	s_andn2_saveexec_b64 s[34:35], vcc
; %bb.824:                              ;   in Loop: Header=BB10_821 Depth=3
	v_or_b32_e32 v38, 0x10000, v41
	v_cmp_eq_u32_sdwa vcc, v41, v52 src0_sel:WORD_0 src1_sel:DWORD
	v_cndmask_b32_e32 v40, v38, v41, vcc
; %bb.825:                              ;   in Loop: Header=BB10_821 Depth=3
	s_or_b64 exec, exec, s[34:35]
	v_and_b32_e32 v8, 0xffff0000, v8
	v_and_b32_e32 v12, 0xffff0000, v12
	v_max_f32_e32 v12, v12, v12
	v_max_f32_e32 v8, v8, v8
	v_min_f32_e32 v38, v8, v12
	v_max_f32_e32 v8, v8, v12
	v_cndmask_b32_e64 v12, v8, v38, s[30:31]
	v_and_b32_e32 v8, 0x7f800000, v12
	v_cmp_ne_u32_e32 vcc, s87, v8
                                        ; implicit-def: $vgpr8
	s_and_saveexec_b64 s[34:35], vcc
	s_xor_b64 vcc, exec, s[34:35]
; %bb.826:                              ;   in Loop: Header=BB10_821 Depth=3
	v_bfe_u32 v8, v12, 16, 1
	v_add3_u32 v8, v12, v8, s88
                                        ; implicit-def: $vgpr12
; %bb.827:                              ;   in Loop: Header=BB10_821 Depth=3
	s_andn2_saveexec_b64 s[34:35], vcc
; %bb.828:                              ;   in Loop: Header=BB10_821 Depth=3
	v_or_b32_e32 v8, 0x10000, v12
	v_cmp_eq_u32_sdwa vcc, v12, v52 src0_sel:WORD_0 src1_sel:DWORD
	v_cndmask_b32_e32 v8, v8, v12, vcc
; %bb.829:                              ;   in Loop: Header=BB10_821 Depth=3
	s_or_b64 exec, exec, s[34:35]
	v_lshlrev_b32_e32 v12, 16, v9
	v_lshlrev_b32_e32 v38, 16, v13
	v_max_f32_e32 v38, v38, v38
	v_max_f32_e32 v12, v12, v12
	v_min_f32_e32 v39, v12, v38
	v_max_f32_e32 v12, v12, v38
	v_cndmask_b32_e64 v41, v12, v39, s[30:31]
	v_and_b32_e32 v12, 0x7f800000, v41
	v_cmp_ne_u32_e32 vcc, s87, v12
                                        ; implicit-def: $vgpr12
	s_and_saveexec_b64 s[34:35], vcc
	s_xor_b64 vcc, exec, s[34:35]
; %bb.830:                              ;   in Loop: Header=BB10_821 Depth=3
	v_bfe_u32 v12, v41, 16, 1
	v_add3_u32 v12, v41, v12, s88
                                        ; implicit-def: $vgpr41
; %bb.831:                              ;   in Loop: Header=BB10_821 Depth=3
	s_andn2_saveexec_b64 s[34:35], vcc
; %bb.832:                              ;   in Loop: Header=BB10_821 Depth=3
	v_or_b32_e32 v12, 0x10000, v41
	v_cmp_eq_u32_sdwa vcc, v41, v52 src0_sel:WORD_0 src1_sel:DWORD
	v_cndmask_b32_e32 v12, v12, v41, vcc
; %bb.833:                              ;   in Loop: Header=BB10_821 Depth=3
	s_or_b64 exec, exec, s[34:35]
	v_and_b32_e32 v9, 0xffff0000, v9
	v_and_b32_e32 v13, 0xffff0000, v13
	v_max_f32_e32 v13, v13, v13
	v_max_f32_e32 v9, v9, v9
	v_min_f32_e32 v38, v9, v13
	v_max_f32_e32 v9, v9, v13
	v_cndmask_b32_e64 v13, v9, v38, s[30:31]
	v_and_b32_e32 v9, 0x7f800000, v13
	v_cmp_ne_u32_e32 vcc, s87, v9
                                        ; implicit-def: $vgpr9
	s_and_saveexec_b64 s[34:35], vcc
	s_xor_b64 vcc, exec, s[34:35]
; %bb.834:                              ;   in Loop: Header=BB10_821 Depth=3
	v_bfe_u32 v9, v13, 16, 1
	v_add3_u32 v9, v13, v9, s88
                                        ; implicit-def: $vgpr13
; %bb.835:                              ;   in Loop: Header=BB10_821 Depth=3
	s_andn2_saveexec_b64 s[34:35], vcc
; %bb.836:                              ;   in Loop: Header=BB10_821 Depth=3
	v_or_b32_e32 v9, 0x10000, v13
	v_cmp_eq_u32_sdwa vcc, v13, v52 src0_sel:WORD_0 src1_sel:DWORD
	v_cndmask_b32_e32 v9, v9, v13, vcc
; %bb.837:                              ;   in Loop: Header=BB10_821 Depth=3
	s_or_b64 exec, exec, s[34:35]
	v_lshlrev_b32_e32 v13, 16, v10
	v_lshlrev_b32_e32 v38, 16, v14
	v_max_f32_e32 v38, v38, v38
	v_max_f32_e32 v13, v13, v13
	v_min_f32_e32 v39, v13, v38
	v_max_f32_e32 v13, v13, v38
	v_cndmask_b32_e64 v41, v13, v39, s[30:31]
	v_and_b32_e32 v13, 0x7f800000, v41
	v_cmp_ne_u32_e32 vcc, s87, v13
                                        ; implicit-def: $vgpr13
	s_and_saveexec_b64 s[34:35], vcc
	s_xor_b64 vcc, exec, s[34:35]
; %bb.838:                              ;   in Loop: Header=BB10_821 Depth=3
	v_bfe_u32 v13, v41, 16, 1
	v_add3_u32 v13, v41, v13, s88
                                        ; implicit-def: $vgpr41
; %bb.839:                              ;   in Loop: Header=BB10_821 Depth=3
	s_andn2_saveexec_b64 s[34:35], vcc
; %bb.840:                              ;   in Loop: Header=BB10_821 Depth=3
	v_or_b32_e32 v13, 0x10000, v41
	v_cmp_eq_u32_sdwa vcc, v41, v52 src0_sel:WORD_0 src1_sel:DWORD
	v_cndmask_b32_e32 v13, v13, v41, vcc
; %bb.841:                              ;   in Loop: Header=BB10_821 Depth=3
	s_or_b64 exec, exec, s[34:35]
	v_and_b32_e32 v10, 0xffff0000, v10
	v_and_b32_e32 v14, 0xffff0000, v14
	v_max_f32_e32 v14, v14, v14
	v_max_f32_e32 v10, v10, v10
	v_min_f32_e32 v38, v10, v14
	v_max_f32_e32 v10, v10, v14
	v_cndmask_b32_e64 v14, v10, v38, s[30:31]
	v_and_b32_e32 v10, 0x7f800000, v14
	v_cmp_ne_u32_e32 vcc, s87, v10
                                        ; implicit-def: $vgpr10
	s_and_saveexec_b64 s[34:35], vcc
	s_xor_b64 vcc, exec, s[34:35]
; %bb.842:                              ;   in Loop: Header=BB10_821 Depth=3
	v_bfe_u32 v10, v14, 16, 1
	v_add3_u32 v10, v14, v10, s88
                                        ; implicit-def: $vgpr14
; %bb.843:                              ;   in Loop: Header=BB10_821 Depth=3
	s_andn2_saveexec_b64 s[34:35], vcc
; %bb.844:                              ;   in Loop: Header=BB10_821 Depth=3
	v_or_b32_e32 v10, 0x10000, v14
	v_cmp_eq_u32_sdwa vcc, v14, v52 src0_sel:WORD_0 src1_sel:DWORD
	v_cndmask_b32_e32 v10, v10, v14, vcc
; %bb.845:                              ;   in Loop: Header=BB10_821 Depth=3
	s_or_b64 exec, exec, s[34:35]
	v_lshlrev_b32_e32 v14, 16, v11
	v_lshlrev_b32_e32 v38, 16, v15
	v_max_f32_e32 v38, v38, v38
	v_max_f32_e32 v14, v14, v14
	v_min_f32_e32 v39, v14, v38
	v_max_f32_e32 v14, v14, v38
	v_cndmask_b32_e64 v41, v14, v39, s[30:31]
	v_and_b32_e32 v14, 0x7f800000, v41
	v_cmp_ne_u32_e32 vcc, s87, v14
                                        ; implicit-def: $vgpr14
	s_and_saveexec_b64 s[34:35], vcc
	s_xor_b64 vcc, exec, s[34:35]
; %bb.846:                              ;   in Loop: Header=BB10_821 Depth=3
	v_bfe_u32 v14, v41, 16, 1
	v_add3_u32 v14, v41, v14, s88
                                        ; implicit-def: $vgpr41
; %bb.847:                              ;   in Loop: Header=BB10_821 Depth=3
	s_andn2_saveexec_b64 s[34:35], vcc
; %bb.848:                              ;   in Loop: Header=BB10_821 Depth=3
	v_or_b32_e32 v14, 0x10000, v41
	v_cmp_eq_u32_sdwa vcc, v41, v52 src0_sel:WORD_0 src1_sel:DWORD
	v_cndmask_b32_e32 v14, v14, v41, vcc
; %bb.849:                              ;   in Loop: Header=BB10_821 Depth=3
	s_or_b64 exec, exec, s[34:35]
	v_and_b32_e32 v11, 0xffff0000, v11
	v_and_b32_e32 v15, 0xffff0000, v15
	v_max_f32_e32 v15, v15, v15
	v_max_f32_e32 v11, v11, v11
	v_min_f32_e32 v38, v11, v15
	v_max_f32_e32 v11, v11, v15
	v_cndmask_b32_e64 v15, v11, v38, s[30:31]
	v_and_b32_e32 v11, 0x7f800000, v15
	v_cmp_ne_u32_e32 vcc, s87, v11
                                        ; implicit-def: $vgpr11
	s_and_saveexec_b64 s[34:35], vcc
	s_xor_b64 vcc, exec, s[34:35]
; %bb.850:                              ;   in Loop: Header=BB10_821 Depth=3
	v_bfe_u32 v11, v15, 16, 1
	v_add3_u32 v11, v15, v11, s88
                                        ; implicit-def: $vgpr15
; %bb.851:                              ;   in Loop: Header=BB10_821 Depth=3
	s_andn2_saveexec_b64 s[34:35], vcc
; %bb.852:                              ;   in Loop: Header=BB10_821 Depth=3
	v_or_b32_e32 v11, 0x10000, v15
	v_cmp_eq_u32_sdwa vcc, v15, v52 src0_sel:WORD_0 src1_sel:DWORD
	v_cndmask_b32_e32 v11, v11, v15, vcc
; %bb.853:                              ;   in Loop: Header=BB10_821 Depth=3
	s_or_b64 exec, exec, s[34:35]
	v_lshrrev_b32_e32 v12, 16, v12
	v_and_or_b32 v9, v9, s89, v12
	v_lshrrev_b32_e32 v12, 16, v40
	v_and_or_b32 v8, v8, s89, v12
	;; [unrolled: 2-line block ×4, first 2 shown]
	s_mov_b64 s[68:69], 0
	s_mov_b64 s[70:71], -1
.LBB10_854:                             ;   Parent Loop BB10_47 Depth=1
                                        ;     Parent Loop BB10_627 Depth=2
                                        ;       Parent Loop BB10_821 Depth=3
                                        ; =>      This Inner Loop Header: Depth=4
	s_cmp_eq_u32 s68, 0
	s_cselect_b64 s[34:35], -1, 0
	s_cmp_eq_u32 s68, 1
	v_cndmask_b32_e64 v12, 0, 1, s[70:71]
	s_cselect_b64 s[38:39], -1, 0
	v_cmp_ne_u32_e64 s[36:37], 1, v12
	v_cndmask_b32_e64 v13, v5, v17, s[38:39]
	v_cndmask_b32_e64 v12, v4, v16, s[38:39]
	global_store_dwordx4 v[12:13], v[8:11], off glc slc
	v_add_co_u32_e32 v12, vcc, 0x400, v12
	v_addc_co_u32_e32 v13, vcc, 0, v13, vcc
	s_mov_b64 s[70:71], 0
	s_mov_b64 s[68:69], 1
	v_cndmask_b32_e64 v16, v16, v12, s[38:39]
	s_and_b64 vcc, exec, s[36:37]
	v_cndmask_b32_e64 v17, v17, v13, s[38:39]
	v_cndmask_b32_e64 v5, v5, v13, s[34:35]
	;; [unrolled: 1-line block ×3, first 2 shown]
	s_cbranch_vccz .LBB10_854
; %bb.855:                              ;   in Loop: Header=BB10_821 Depth=3
	v_add_co_u32_e32 v18, vcc, v18, v42
	v_addc_co_u32_e32 v19, vcc, v19, v43, vcc
	v_add_co_u32_e32 v20, vcc, v20, v42
	v_addc_co_u32_e32 v21, vcc, v21, v43, vcc
	v_accvgpr_read_b32 v8, a18
	v_add_co_u32_e32 v4, vcc, v4, v8
	v_accvgpr_read_b32 v9, a21
	v_addc_co_u32_e32 v5, vcc, v5, v9, vcc
	v_add_co_u32_e32 v16, vcc, v16, v8
	v_addc_co_u32_e32 v17, vcc, v17, v9, vcc
	v_sub_u32_e32 v0, v0, v46
	v_cmp_gt_i32_e32 vcc, 16, v0
	s_or_b64 s[66:67], vcc, s[66:67]
	v_sub_u32_e32 v27, v27, v54
	s_andn2_b64 exec, exec, s[66:67]
	s_cbranch_execnz .LBB10_821
; %bb.856:                              ;   in Loop: Header=BB10_627 Depth=2
	s_or_b64 exec, exec, s[66:67]
.LBB10_857:                             ;   in Loop: Header=BB10_627 Depth=2
	s_or_b64 exec, exec, s[64:65]
	v_and_b32_e32 v5, 14, v25
	v_cndmask_b32_e64 v14, v53, v5, s[28:29]
	v_cmp_ne_u32_e32 vcc, 0, v14
	s_mov_b64 s[30:31], 0
	v_mov_b32_e32 v0, 0
                                        ; implicit-def: $vgpr15
                                        ; implicit-def: $vgpr4
	s_and_saveexec_b64 s[34:35], vcc
	s_cbranch_execz .LBB10_859
; %bb.858:                              ;   in Loop: Header=BB10_627 Depth=2
	v_cmp_lt_i32_e32 vcc, 0, v27
	v_cndmask_b32_e32 v4, 0, v54, vcc
	v_sub_u32_e32 v4, v4, v27
	v_lshl_add_u32 v15, v4, 6, v23
	v_ashrrev_i32_e32 v4, 31, v15
	v_sub_u32_e32 v0, v53, v5
	v_lshrrev_b32_e32 v4, 26, v4
	v_cndmask_b32_e64 v0, 0, v0, s[28:29]
	v_add_u32_e32 v4, v15, v4
	s_mov_b64 s[30:31], exec
	v_add3_u32 v0, v26, v22, v0
	v_ashrrev_i32_e32 v4, 6, v4
.LBB10_859:                             ;   in Loop: Header=BB10_627 Depth=2
	s_or_b64 exec, exec, s[34:35]
	s_and_b64 s[28:29], s[30:31], exec
.LBB10_860:                             ;   in Loop: Header=BB10_627 Depth=2
	s_or_b64 exec, exec, s[62:63]
	s_and_saveexec_b64 s[38:39], s[28:29]
	s_cbranch_execz .LBB10_701
.LBB10_861:                             ;   in Loop: Header=BB10_627 Depth=2
	v_ashrrev_i32_e32 v5, 31, v14
	v_lshrrev_b32_e32 v5, 22, v5
	v_add_u32_e32 v5, v14, v5
	v_ashrrev_i32_e32 v18, 10, v5
	v_sub_u32_e32 v16, v18, v4
	v_ashrrev_i32_e32 v5, 31, v15
	v_cmp_lt_i32_e32 vcc, 0, v16
	v_lshrrev_b32_e32 v5, 26, v5
	s_and_saveexec_b64 s[30:31], vcc
	s_cbranch_execz .LBB10_897
; %bb.862:                              ;   in Loop: Header=BB10_627 Depth=2
	s_trap 2
	v_accvgpr_write_b32 a38, v5
	v_add_u32_e32 v5, v15, v5
	ds_read_b128 v[8:11], v0
	v_and_b32_e32 v5, 0x7fffffc0, v5
	v_sub_u32_e32 v5, v15, v5
	v_lshlrev_b32_e32 v5, 1, v5
	v_lshlrev_b32_e32 v4, 10, v4
	v_add3_u32 v12, v5, v0, v4
	v_ashrrev_i32_e32 v13, 31, v12
	s_waitcnt lgkmcnt(0)
	v_add_co_u32_e32 v4, vcc, v8, v12
	v_addc_co_u32_e32 v5, vcc, v9, v13, vcc
	v_add_co_u32_e32 v8, vcc, v10, v12
	s_and_b32 s46, s97, 1
	v_addc_co_u32_e32 v9, vcc, v11, v13, vcc
	s_cmp_eq_u64 s[46:47], 0
	s_mov_b64 s[34:35], 0
	s_cselect_b64 vcc, -1, 0
	v_pk_mov_b32 v[10:11], v[4:5], v[4:5] op_sel:[0,1]
	v_pk_mov_b32 v[12:13], v[8:9], v[8:9] op_sel:[0,1]
	s_branch .LBB10_864
.LBB10_863:                             ;   in Loop: Header=BB10_864 Depth=3
	s_or_b64 exec, exec, s[36:37]
	v_add_co_u32_e64 v4, s[28:29], v4, v42
	v_addc_co_u32_e64 v5, s[28:29], v5, v43, s[28:29]
	v_add_co_u32_e64 v8, s[28:29], v8, v42
	v_lshrrev_b32_e32 v19, 16, v19
	v_addc_co_u32_e64 v9, s[28:29], v9, v43, s[28:29]
	v_lshrrev_b32_e32 v20, 16, v23
	v_lshrrev_b32_e32 v21, 16, v53
	;; [unrolled: 1-line block ×7, first 2 shown]
	flat_store_short v[10:11], v19 glc slc
	flat_store_short v[10:11], v22 offset:128 glc slc
	flat_store_short v[10:11], v27 offset:256 glc slc
	;; [unrolled: 1-line block ×7, first 2 shown]
	flat_store_short v[12:13], v19 glc slc
	flat_store_short v[12:13], v22 offset:128 glc slc
	flat_store_short v[12:13], v27 offset:256 glc slc
	;; [unrolled: 1-line block ×7, first 2 shown]
	v_add_co_u32_e64 v10, s[28:29], v10, v42
	v_addc_co_u32_e64 v11, s[28:29], v11, v43, s[28:29]
	v_sub_u32_e32 v16, v16, v54
	v_cmp_gt_i32_e64 s[28:29], 1, v16
	s_or_b64 s[34:35], s[28:29], s[34:35]
	v_add_co_u32_e64 v12, s[28:29], v12, v42
	v_addc_co_u32_e64 v13, s[28:29], v13, v43, s[28:29]
	s_andn2_b64 exec, exec, s[34:35]
	s_cbranch_execz .LBB10_896
.LBB10_864:                             ;   Parent Loop BB10_47 Depth=1
                                        ;     Parent Loop BB10_627 Depth=2
                                        ; =>    This Inner Loop Header: Depth=3
	flat_load_ushort v27, v[4:5] offset:256 glc slc
	flat_load_ushort v41, v[4:5] offset:384 glc slc
	flat_load_ushort v56, v[4:5] offset:512 glc slc
	flat_load_ushort v53, v[4:5] offset:640 glc slc
	flat_load_ushort v23, v[4:5] offset:768 glc slc
	flat_load_ushort v20, v[4:5] offset:896 glc slc
	flat_load_ushort v59, v[8:9] offset:256 glc slc
	flat_load_ushort v58, v[8:9] offset:384 glc slc
	flat_load_ushort v57, v[8:9] offset:512 glc slc
	flat_load_ushort v40, v[8:9] offset:640 glc slc
	flat_load_ushort v26, v[8:9] offset:768 glc slc
	flat_load_ushort v21, v[8:9] offset:896 glc slc
	flat_load_ushort v19, v[4:5] glc slc
	flat_load_ushort v38, v[8:9] glc slc
	flat_load_ushort v22, v[4:5] offset:128 glc slc
	flat_load_ushort v17, v[8:9] offset:128 glc slc
	s_waitcnt vmcnt(0) lgkmcnt(0)
	v_lshlrev_b32_e32 v19, 16, v19
	v_lshlrev_b32_e32 v38, 16, v38
	v_max_f32_e32 v38, v38, v38
	v_max_f32_e32 v19, v19, v19
	v_min_f32_e32 v39, v19, v38
	v_max_f32_e32 v19, v19, v38
	v_cndmask_b32_e32 v60, v19, v39, vcc
	v_and_b32_e32 v19, 0x7f800000, v60
	v_cmp_ne_u32_e64 s[28:29], s87, v19
                                        ; implicit-def: $vgpr19
	s_and_saveexec_b64 s[36:37], s[28:29]
	s_xor_b64 s[28:29], exec, s[36:37]
; %bb.865:                              ;   in Loop: Header=BB10_864 Depth=3
	v_bfe_u32 v19, v60, 16, 1
	v_add3_u32 v19, v60, v19, s88
                                        ; implicit-def: $vgpr60
; %bb.866:                              ;   in Loop: Header=BB10_864 Depth=3
	s_andn2_saveexec_b64 s[36:37], s[28:29]
; %bb.867:                              ;   in Loop: Header=BB10_864 Depth=3
	v_or_b32_e32 v19, 0x10000, v60
	v_cmp_eq_u32_sdwa s[28:29], v60, v52 src0_sel:WORD_0 src1_sel:DWORD
	v_cndmask_b32_e64 v19, v19, v60, s[28:29]
; %bb.868:                              ;   in Loop: Header=BB10_864 Depth=3
	s_or_b64 exec, exec, s[36:37]
	v_lshlrev_b32_e32 v22, 16, v22
	v_lshlrev_b32_e32 v17, 16, v17
	v_max_f32_e32 v17, v17, v17
	v_max_f32_e32 v22, v22, v22
	v_min_f32_e32 v38, v22, v17
	v_max_f32_e32 v17, v22, v17
	v_cndmask_b32_e32 v17, v17, v38, vcc
	v_and_b32_e32 v22, 0x7f800000, v17
	v_cmp_ne_u32_e64 s[28:29], s87, v22
                                        ; implicit-def: $vgpr22
	s_and_saveexec_b64 s[36:37], s[28:29]
	s_xor_b64 s[28:29], exec, s[36:37]
; %bb.869:                              ;   in Loop: Header=BB10_864 Depth=3
	v_bfe_u32 v22, v17, 16, 1
	v_add3_u32 v22, v17, v22, s88
                                        ; implicit-def: $vgpr17
; %bb.870:                              ;   in Loop: Header=BB10_864 Depth=3
	s_andn2_saveexec_b64 s[36:37], s[28:29]
; %bb.871:                              ;   in Loop: Header=BB10_864 Depth=3
	v_or_b32_e32 v22, 0x10000, v17
	v_cmp_eq_u32_sdwa s[28:29], v17, v52 src0_sel:WORD_0 src1_sel:DWORD
	v_cndmask_b32_e64 v22, v22, v17, s[28:29]
; %bb.872:                              ;   in Loop: Header=BB10_864 Depth=3
	s_or_b64 exec, exec, s[36:37]
	v_lshlrev_b32_e32 v17, 16, v27
	v_lshlrev_b32_e32 v27, 16, v59
	v_max_f32_e32 v27, v27, v27
	v_max_f32_e32 v17, v17, v17
	v_min_f32_e32 v38, v17, v27
	v_max_f32_e32 v17, v17, v27
	v_cndmask_b32_e32 v17, v17, v38, vcc
	v_and_b32_e32 v27, 0x7f800000, v17
	v_cmp_ne_u32_e64 s[28:29], s87, v27
                                        ; implicit-def: $vgpr27
	s_and_saveexec_b64 s[36:37], s[28:29]
	s_xor_b64 s[28:29], exec, s[36:37]
; %bb.873:                              ;   in Loop: Header=BB10_864 Depth=3
	v_bfe_u32 v27, v17, 16, 1
	v_add3_u32 v27, v17, v27, s88
                                        ; implicit-def: $vgpr17
; %bb.874:                              ;   in Loop: Header=BB10_864 Depth=3
	s_andn2_saveexec_b64 s[36:37], s[28:29]
; %bb.875:                              ;   in Loop: Header=BB10_864 Depth=3
	v_or_b32_e32 v27, 0x10000, v17
	v_cmp_eq_u32_sdwa s[28:29], v17, v52 src0_sel:WORD_0 src1_sel:DWORD
	v_cndmask_b32_e64 v27, v27, v17, s[28:29]
; %bb.876:                              ;   in Loop: Header=BB10_864 Depth=3
	s_or_b64 exec, exec, s[36:37]
	v_lshlrev_b32_e32 v17, 16, v41
	v_lshlrev_b32_e32 v38, 16, v58
	v_max_f32_e32 v38, v38, v38
	v_max_f32_e32 v17, v17, v17
	v_min_f32_e32 v39, v17, v38
	v_max_f32_e32 v17, v17, v38
	v_cndmask_b32_e32 v17, v17, v39, vcc
	v_and_b32_e32 v38, 0x7f800000, v17
	v_cmp_ne_u32_e64 s[28:29], s87, v38
                                        ; implicit-def: $vgpr41
	s_and_saveexec_b64 s[36:37], s[28:29]
	s_xor_b64 s[28:29], exec, s[36:37]
; %bb.877:                              ;   in Loop: Header=BB10_864 Depth=3
	v_bfe_u32 v38, v17, 16, 1
	v_add3_u32 v41, v17, v38, s88
                                        ; implicit-def: $vgpr17
; %bb.878:                              ;   in Loop: Header=BB10_864 Depth=3
	s_andn2_saveexec_b64 s[36:37], s[28:29]
; %bb.879:                              ;   in Loop: Header=BB10_864 Depth=3
	v_or_b32_e32 v38, 0x10000, v17
	v_cmp_eq_u32_sdwa s[28:29], v17, v52 src0_sel:WORD_0 src1_sel:DWORD
	v_cndmask_b32_e64 v41, v38, v17, s[28:29]
; %bb.880:                              ;   in Loop: Header=BB10_864 Depth=3
	s_or_b64 exec, exec, s[36:37]
	v_lshlrev_b32_e32 v17, 16, v56
	v_lshlrev_b32_e32 v38, 16, v57
	v_max_f32_e32 v38, v38, v38
	v_max_f32_e32 v17, v17, v17
	v_min_f32_e32 v39, v17, v38
	v_max_f32_e32 v17, v17, v38
	v_cndmask_b32_e32 v17, v17, v39, vcc
	v_and_b32_e32 v38, 0x7f800000, v17
	v_cmp_ne_u32_e64 s[28:29], s87, v38
                                        ; implicit-def: $vgpr56
	s_and_saveexec_b64 s[36:37], s[28:29]
	s_xor_b64 s[28:29], exec, s[36:37]
; %bb.881:                              ;   in Loop: Header=BB10_864 Depth=3
	v_bfe_u32 v38, v17, 16, 1
	v_add3_u32 v56, v17, v38, s88
                                        ; implicit-def: $vgpr17
; %bb.882:                              ;   in Loop: Header=BB10_864 Depth=3
	s_andn2_saveexec_b64 s[36:37], s[28:29]
; %bb.883:                              ;   in Loop: Header=BB10_864 Depth=3
	v_or_b32_e32 v38, 0x10000, v17
	v_cmp_eq_u32_sdwa s[28:29], v17, v52 src0_sel:WORD_0 src1_sel:DWORD
	v_cndmask_b32_e64 v56, v38, v17, s[28:29]
; %bb.884:                              ;   in Loop: Header=BB10_864 Depth=3
	s_or_b64 exec, exec, s[36:37]
	v_lshlrev_b32_e32 v17, 16, v53
	v_lshlrev_b32_e32 v38, 16, v40
	v_max_f32_e32 v38, v38, v38
	v_max_f32_e32 v17, v17, v17
	v_min_f32_e32 v39, v17, v38
	v_max_f32_e32 v17, v17, v38
	v_cndmask_b32_e32 v17, v17, v39, vcc
	v_and_b32_e32 v38, 0x7f800000, v17
	v_cmp_ne_u32_e64 s[28:29], s87, v38
                                        ; implicit-def: $vgpr53
	s_and_saveexec_b64 s[36:37], s[28:29]
	s_xor_b64 s[28:29], exec, s[36:37]
; %bb.885:                              ;   in Loop: Header=BB10_864 Depth=3
	v_bfe_u32 v38, v17, 16, 1
	v_add3_u32 v53, v17, v38, s88
                                        ; implicit-def: $vgpr17
; %bb.886:                              ;   in Loop: Header=BB10_864 Depth=3
	s_andn2_saveexec_b64 s[36:37], s[28:29]
; %bb.887:                              ;   in Loop: Header=BB10_864 Depth=3
	v_or_b32_e32 v38, 0x10000, v17
	v_cmp_eq_u32_sdwa s[28:29], v17, v52 src0_sel:WORD_0 src1_sel:DWORD
	v_cndmask_b32_e64 v53, v38, v17, s[28:29]
; %bb.888:                              ;   in Loop: Header=BB10_864 Depth=3
	s_or_b64 exec, exec, s[36:37]
	v_lshlrev_b32_e32 v17, 16, v23
	v_lshlrev_b32_e32 v23, 16, v26
	v_max_f32_e32 v23, v23, v23
	v_max_f32_e32 v17, v17, v17
	v_min_f32_e32 v26, v17, v23
	v_max_f32_e32 v17, v17, v23
	v_cndmask_b32_e32 v17, v17, v26, vcc
	v_and_b32_e32 v23, 0x7f800000, v17
	v_cmp_ne_u32_e64 s[28:29], s87, v23
                                        ; implicit-def: $vgpr23
	s_and_saveexec_b64 s[36:37], s[28:29]
	s_xor_b64 s[28:29], exec, s[36:37]
; %bb.889:                              ;   in Loop: Header=BB10_864 Depth=3
	v_bfe_u32 v23, v17, 16, 1
	v_add3_u32 v23, v17, v23, s88
                                        ; implicit-def: $vgpr17
; %bb.890:                              ;   in Loop: Header=BB10_864 Depth=3
	s_andn2_saveexec_b64 s[36:37], s[28:29]
; %bb.891:                              ;   in Loop: Header=BB10_864 Depth=3
	v_or_b32_e32 v23, 0x10000, v17
	v_cmp_eq_u32_sdwa s[28:29], v17, v52 src0_sel:WORD_0 src1_sel:DWORD
	v_cndmask_b32_e64 v23, v23, v17, s[28:29]
; %bb.892:                              ;   in Loop: Header=BB10_864 Depth=3
	s_or_b64 exec, exec, s[36:37]
	v_lshlrev_b32_e32 v17, 16, v20
	v_lshlrev_b32_e32 v20, 16, v21
	v_max_f32_e32 v20, v20, v20
	v_max_f32_e32 v17, v17, v17
	v_min_f32_e32 v21, v17, v20
	v_max_f32_e32 v17, v17, v20
	v_cndmask_b32_e32 v20, v17, v21, vcc
	v_and_b32_e32 v17, 0x7f800000, v20
	v_cmp_ne_u32_e64 s[28:29], s87, v17
                                        ; implicit-def: $vgpr17
	s_and_saveexec_b64 s[36:37], s[28:29]
	s_xor_b64 s[28:29], exec, s[36:37]
; %bb.893:                              ;   in Loop: Header=BB10_864 Depth=3
	v_bfe_u32 v17, v20, 16, 1
	v_add3_u32 v17, v20, v17, s88
                                        ; implicit-def: $vgpr20
; %bb.894:                              ;   in Loop: Header=BB10_864 Depth=3
	s_andn2_saveexec_b64 s[36:37], s[28:29]
	s_cbranch_execz .LBB10_863
; %bb.895:                              ;   in Loop: Header=BB10_864 Depth=3
	v_or_b32_e32 v17, 0x10000, v20
	v_cmp_eq_u32_sdwa s[28:29], v20, v52 src0_sel:WORD_0 src1_sel:DWORD
	v_cndmask_b32_e64 v17, v17, v20, s[28:29]
	s_branch .LBB10_863
.LBB10_896:                             ;   in Loop: Header=BB10_627 Depth=2
	s_or_b64 exec, exec, s[34:35]
	v_accvgpr_read_b32 v59, a13
	v_accvgpr_read_b32 v58, a12
	;; [unrolled: 1-line block ×3, first 2 shown]
	v_mov_b32_e32 v57, 1
	v_accvgpr_read_b32 v5, a38
.LBB10_897:                             ;   in Loop: Header=BB10_627 Depth=2
	s_or_b64 exec, exec, s[30:31]
	v_lshlrev_b32_e32 v4, 10, v18
	v_cmp_ne_u32_e32 vcc, v14, v4
	s_and_saveexec_b64 s[62:63], vcc
	s_cbranch_execz .LBB10_907
; %bb.898:                              ;   in Loop: Header=BB10_627 Depth=2
	v_add_u32_e32 v5, v15, v5
	v_and_b32_e32 v5, 0xffffffc0, v5
	v_sub_u32_e32 v5, v15, v5
	v_lshlrev_b32_e32 v8, 6, v16
	v_sub_u32_e32 v5, v5, v8
	v_ashrrev_i32_e32 v8, 31, v5
	v_lshrrev_b32_e32 v8, 26, v8
	v_add_u32_e32 v8, v5, v8
	v_and_b32_e32 v9, 0x7fffffc0, v8
	v_sub_u32_e32 v5, v5, v9
	v_lshlrev_b32_e32 v8, 1, v8
	v_and_b32_e32 v8, 0xffffff80, v8
	v_lshlrev_b32_e32 v5, 1, v5
	v_add3_u32 v4, v8, v5, v4
	v_sub_u32_e32 v14, v14, v4
	v_cmp_lt_i32_e32 vcc, 1, v14
	s_and_b64 exec, exec, vcc
	s_cbranch_execz .LBB10_907
; %bb.899:                              ;   in Loop: Header=BB10_627 Depth=2
	s_trap 2
	ds_read_b128 v[8:11], v0
	v_add_u32_e32 v0, v4, v0
	v_ashrrev_i32_e32 v12, 31, v0
	s_and_b32 s46, s97, 1
	s_cmp_eq_u64 s[46:47], 0
	s_waitcnt lgkmcnt(0)
	v_add_co_u32_e32 v4, vcc, v8, v0
	v_addc_co_u32_e32 v5, vcc, v9, v12, vcc
	v_add_co_u32_e32 v8, vcc, v10, v0
	v_addc_co_u32_e32 v9, vcc, v11, v12, vcc
	s_mov_b64 s[64:65], 0
	s_cselect_b64 s[28:29], -1, 0
	v_pk_mov_b32 v[10:11], v[4:5], v[4:5] op_sel:[0,1]
	v_pk_mov_b32 v[12:13], v[8:9], v[8:9] op_sel:[0,1]
.LBB10_900:                             ;   Parent Loop BB10_47 Depth=1
                                        ;     Parent Loop BB10_627 Depth=2
                                        ; =>    This Loop Header: Depth=3
                                        ;         Child Loop BB10_905 Depth 4
	flat_load_ushort v0, v[10:11] glc slc
	flat_load_ushort v15, v[12:13] glc slc
	s_waitcnt vmcnt(0) lgkmcnt(0)
	v_lshlrev_b32_e32 v0, 16, v0
	v_lshlrev_b32_e32 v15, 16, v15
	v_max_f32_e32 v15, v15, v15
	v_max_f32_e32 v0, v0, v0
	v_min_f32_e32 v16, v0, v15
	v_max_f32_e32 v0, v0, v15
	v_cndmask_b32_e64 v0, v0, v16, s[28:29]
	v_and_b32_e32 v15, 0x7f800000, v0
	v_cmp_ne_u32_e32 vcc, s87, v15
                                        ; implicit-def: $vgpr15
	s_and_saveexec_b64 s[30:31], vcc
	s_xor_b64 vcc, exec, s[30:31]
; %bb.901:                              ;   in Loop: Header=BB10_900 Depth=3
	v_bfe_u32 v15, v0, 16, 1
	v_add3_u32 v15, v0, v15, s88
                                        ; implicit-def: $vgpr0
; %bb.902:                              ;   in Loop: Header=BB10_900 Depth=3
	s_andn2_saveexec_b64 s[30:31], vcc
; %bb.903:                              ;   in Loop: Header=BB10_900 Depth=3
	v_or_b32_e32 v15, 0x10000, v0
	v_cmp_eq_u32_sdwa vcc, v0, v52 src0_sel:WORD_0 src1_sel:DWORD
	v_cndmask_b32_e32 v15, v15, v0, vcc
; %bb.904:                              ;   in Loop: Header=BB10_900 Depth=3
	s_or_b64 exec, exec, s[30:31]
	v_lshrrev_b32_e32 v0, 16, v15
	s_mov_b64 s[66:67], 0
	s_mov_b64 s[68:69], -1
.LBB10_905:                             ;   Parent Loop BB10_47 Depth=1
                                        ;     Parent Loop BB10_627 Depth=2
                                        ;       Parent Loop BB10_900 Depth=3
                                        ; =>      This Inner Loop Header: Depth=4
	s_cmp_eq_u32 s66, 0
	s_cselect_b64 s[30:31], -1, 0
	s_cmp_eq_u32 s66, 1
	s_cselect_b64 s[36:37], -1, 0
	v_cndmask_b32_e64 v15, 0, 1, s[68:69]
	v_cndmask_b32_e64 v16, v4, v8, s[36:37]
	v_cmp_ne_u32_e64 s[34:35], 1, v15
	v_cndmask_b32_e64 v17, v5, v9, s[36:37]
	v_add_co_u32_e32 v15, vcc, 0x80, v16
	flat_store_short v[16:17], v0 glc slc
	v_addc_co_u32_e32 v16, vcc, 0, v17, vcc
	s_mov_b64 s[68:69], 0
	s_mov_b64 s[66:67], 1
	v_cndmask_b32_e64 v8, v8, v15, s[36:37]
	s_and_b64 vcc, exec, s[34:35]
	v_cndmask_b32_e64 v9, v9, v16, s[36:37]
	v_cndmask_b32_e64 v5, v5, v16, s[30:31]
	;; [unrolled: 1-line block ×3, first 2 shown]
	s_cbranch_vccz .LBB10_905
; %bb.906:                              ;   in Loop: Header=BB10_900 Depth=3
	v_add_co_u32_e32 v10, vcc, v10, v44
	v_addc_co_u32_e32 v11, vcc, v11, v45, vcc
	v_add_co_u32_e32 v12, vcc, v12, v44
	v_addc_co_u32_e32 v13, vcc, v13, v45, vcc
	v_accvgpr_read_b32 v0, a20
	v_add_co_u32_e32 v4, vcc, v4, v0
	v_accvgpr_read_b32 v15, a23
	v_addc_co_u32_e32 v5, vcc, v5, v15, vcc
	v_sub_u32_e32 v14, v14, v61
	v_cmp_gt_i32_e32 vcc, 2, v14
	s_or_b64 s[64:65], vcc, s[64:65]
	v_add_co_u32_e32 v8, vcc, v8, v0
	v_addc_co_u32_e32 v9, vcc, v9, v15, vcc
	s_andn2_b64 exec, exec, s[64:65]
	s_cbranch_execnz .LBB10_900
.LBB10_907:                             ;   in Loop: Header=BB10_627 Depth=2
	s_or_b64 exec, exec, s[62:63]
	s_or_b64 exec, exec, s[38:39]
	s_branch .LBB10_702
.LBB10_908:                             ;   in Loop: Header=BB10_627 Depth=2
	s_mov_b64 s[30:31], -1
	s_and_saveexec_b64 s[28:29], s[24:25]
	s_cbranch_execz .LBB10_910
; %bb.909:                              ;   in Loop: Header=BB10_627 Depth=2
	ds_read_b32 v0, v0 offset:720
	s_waitcnt lgkmcnt(0)
	v_and_b32_e32 v0, 15, v0
	v_cmp_eq_u32_e32 vcc, 0, v0
	s_orn2_b64 s[30:31], vcc, exec
.LBB10_910:                             ;   in Loop: Header=BB10_627 Depth=2
	s_or_b64 exec, exec, s[28:29]
	s_and_saveexec_b64 s[28:29], s[18:19]
	s_cbranch_execz .LBB10_912
; %bb.911:                              ;   in Loop: Header=BB10_627 Depth=2
	ds_read_b32 v0, v0 offset:784
	s_waitcnt lgkmcnt(0)
	v_and_b32_e32 v0, 15, v0
	v_cmp_eq_u32_e32 vcc, 0, v0
	s_and_b64 vcc, s[30:31], vcc
	s_andn2_b64 s[30:31], s[30:31], exec
	s_and_b64 vcc, vcc, exec
	s_or_b64 s[30:31], s[30:31], vcc
.LBB10_912:                             ;   in Loop: Header=BB10_627 Depth=2
	s_or_b64 exec, exec, s[28:29]
	s_xor_b64 vcc, s[30:31], -1
	v_cndmask_b32_e64 v0, 0, 1, vcc
	;;#ASMSTART
	;;#ASMEND
	s_mov_b64 s[28:29], -1
	v_cmp_ne_u32_e32 vcc, 0, v0
	v_mov_b32_e32 v0, 0
	s_cbranch_vccz .LBB10_914
; %bb.913:                              ;   in Loop: Header=BB10_627 Depth=2
	v_mov_b32_e32 v12, v47
	v_mov_b32_e32 v4, v60
	s_and_saveexec_b64 s[30:31], s[28:29]
	s_cbranch_execnz .LBB10_1023
	s_branch .LBB10_1068
.LBB10_914:                             ;   in Loop: Header=BB10_627 Depth=2
	v_ashrrev_i32_e32 v0, 31, v25
	v_lshrrev_b32_e32 v0, 21, v0
	v_add_u32_e32 v0, v25, v0
	v_ashrrev_i32_e32 v27, 11, v0
	v_sub_u32_e32 v26, v27, v60
	v_cmp_lt_i32_e32 vcc, 0, v26
	s_and_saveexec_b64 s[30:31], vcc
	s_cbranch_execz .LBB10_982
; %bb.915:                              ;   in Loop: Header=BB10_627 Depth=2
	s_trap 2
	ds_read_b128 v[8:11], v0
	ds_read_b64 v[12:13], v0
	v_accvgpr_read_b32 v0, a26
	v_accvgpr_read_b32 v15, a27
	s_and_b32 s46, s97, 1
	s_waitcnt lgkmcnt(0)
	v_add_co_u32_e32 v4, vcc, v8, v0
	v_addc_co_u32_e32 v5, vcc, v9, v15, vcc
	v_add_co_u32_e32 v58, vcc, v10, v0
	v_addc_co_u32_e32 v59, vcc, v11, v15, vcc
	;; [unrolled: 2-line block ×3, first 2 shown]
	s_cmp_eq_u64 s[46:47], 0
	s_mov_b64 s[34:35], 0
	s_cselect_b64 vcc, -1, 0
	s_branch .LBB10_917
.LBB10_916:                             ;   in Loop: Header=BB10_917 Depth=3
	s_or_b64 exec, exec, s[36:37]
	v_lshrrev_b32_e32 v15, 16, v16
	v_and_or_b32 v17, v17, s89, v15
	v_lshrrev_b32_e32 v15, 16, v53
	v_and_or_b32 v16, v0, s89, v15
	;; [unrolled: 2-line block ×3, first 2 shown]
	v_lshrrev_b32_e32 v0, 16, v21
	v_add_co_u32_e64 v4, s[28:29], v4, v28
	v_and_or_b32 v19, v19, s89, v0
	v_lshrrev_b32_e32 v0, 16, v12
	v_addc_co_u32_e64 v5, s[28:29], v5, v29, s[28:29]
	v_and_or_b32 v9, v9, s89, v0
	v_lshrrev_b32_e32 v0, 16, v22
	v_add_co_u32_e64 v58, s[28:29], v58, v28
	v_and_or_b32 v8, v8, s89, v0
	v_lshrrev_b32_e32 v0, 16, v13
	v_addc_co_u32_e64 v59, s[28:29], v59, v29, s[28:29]
	v_sub_u32_e32 v26, v26, v54
	v_and_or_b32 v10, v10, s89, v0
	v_lshrrev_b32_e32 v0, 16, v14
	v_cmp_gt_i32_e64 s[28:29], 1, v26
	v_and_or_b32 v11, v11, s89, v0
	global_store_dwordx4 v[56:57], v[16:19], off glc slc
	global_store_dwordx4 v[56:57], v[8:11], off offset:1024 glc slc
	s_or_b64 s[34:35], s[28:29], s[34:35]
	v_add_co_u32_e64 v56, s[28:29], v56, v28
	v_addc_co_u32_e64 v57, s[28:29], v57, v29, s[28:29]
	s_andn2_b64 exec, exec, s[34:35]
	s_cbranch_execz .LBB10_981
.LBB10_917:                             ;   Parent Loop BB10_47 Depth=1
                                        ;     Parent Loop BB10_627 Depth=2
                                        ; =>    This Inner Loop Header: Depth=3
	global_load_dwordx4 v[16:19], v[4:5], off glc slc
	global_load_dwordx4 v[20:23], v[58:59], off glc slc
	global_load_dwordx4 v[8:11], v[4:5], off offset:1024 glc slc
	global_load_dwordx4 v[12:15], v[58:59], off offset:1024 glc slc
                                        ; implicit-def: $vgpr53
	s_waitcnt vmcnt(0)
	v_lshlrev_b32_e32 v0, 16, v16
	v_lshlrev_b32_e32 v38, 16, v20
	v_max_f32_e32 v38, v38, v38
	v_max_f32_e32 v0, v0, v0
	v_min_f32_e32 v39, v0, v38
	v_max_f32_e32 v0, v0, v38
	v_cndmask_b32_e32 v0, v0, v39, vcc
	v_and_b32_e32 v38, 0x7f800000, v0
	v_cmp_ne_u32_e64 s[28:29], s87, v38
	s_and_saveexec_b64 s[36:37], s[28:29]
	s_xor_b64 s[28:29], exec, s[36:37]
; %bb.918:                              ;   in Loop: Header=BB10_917 Depth=3
	v_bfe_u32 v38, v0, 16, 1
	v_add3_u32 v53, v0, v38, s88
                                        ; implicit-def: $vgpr0
; %bb.919:                              ;   in Loop: Header=BB10_917 Depth=3
	s_andn2_saveexec_b64 s[36:37], s[28:29]
; %bb.920:                              ;   in Loop: Header=BB10_917 Depth=3
	v_or_b32_e32 v38, 0x10000, v0
	v_cmp_eq_u32_sdwa s[28:29], v0, v52 src0_sel:WORD_0 src1_sel:DWORD
	v_cndmask_b32_e64 v53, v38, v0, s[28:29]
; %bb.921:                              ;   in Loop: Header=BB10_917 Depth=3
	s_or_b64 exec, exec, s[36:37]
	v_and_b32_e32 v0, 0xffff0000, v16
	v_and_b32_e32 v16, 0xffff0000, v20
	v_max_f32_e32 v16, v16, v16
	v_max_f32_e32 v0, v0, v0
	v_min_f32_e32 v20, v0, v16
	v_max_f32_e32 v0, v0, v16
	v_cndmask_b32_e32 v16, v0, v20, vcc
	v_and_b32_e32 v0, 0x7f800000, v16
	v_cmp_ne_u32_e64 s[28:29], s87, v0
                                        ; implicit-def: $vgpr0
	s_and_saveexec_b64 s[36:37], s[28:29]
	s_xor_b64 s[28:29], exec, s[36:37]
; %bb.922:                              ;   in Loop: Header=BB10_917 Depth=3
	v_bfe_u32 v0, v16, 16, 1
	v_add3_u32 v0, v16, v0, s88
                                        ; implicit-def: $vgpr16
; %bb.923:                              ;   in Loop: Header=BB10_917 Depth=3
	s_andn2_saveexec_b64 s[36:37], s[28:29]
; %bb.924:                              ;   in Loop: Header=BB10_917 Depth=3
	v_or_b32_e32 v0, 0x10000, v16
	v_cmp_eq_u32_sdwa s[28:29], v16, v52 src0_sel:WORD_0 src1_sel:DWORD
	v_cndmask_b32_e64 v0, v0, v16, s[28:29]
; %bb.925:                              ;   in Loop: Header=BB10_917 Depth=3
	s_or_b64 exec, exec, s[36:37]
	v_lshlrev_b32_e32 v16, 16, v17
	v_lshlrev_b32_e32 v20, 16, v21
	v_max_f32_e32 v20, v20, v20
	v_max_f32_e32 v16, v16, v16
	v_min_f32_e32 v38, v16, v20
	v_max_f32_e32 v16, v16, v20
	v_cndmask_b32_e32 v20, v16, v38, vcc
	v_and_b32_e32 v16, 0x7f800000, v20
	v_cmp_ne_u32_e64 s[28:29], s87, v16
                                        ; implicit-def: $vgpr16
	s_and_saveexec_b64 s[36:37], s[28:29]
	s_xor_b64 s[28:29], exec, s[36:37]
; %bb.926:                              ;   in Loop: Header=BB10_917 Depth=3
	v_bfe_u32 v16, v20, 16, 1
	v_add3_u32 v16, v20, v16, s88
                                        ; implicit-def: $vgpr20
; %bb.927:                              ;   in Loop: Header=BB10_917 Depth=3
	s_andn2_saveexec_b64 s[36:37], s[28:29]
; %bb.928:                              ;   in Loop: Header=BB10_917 Depth=3
	v_or_b32_e32 v16, 0x10000, v20
	v_cmp_eq_u32_sdwa s[28:29], v20, v52 src0_sel:WORD_0 src1_sel:DWORD
	v_cndmask_b32_e64 v16, v16, v20, s[28:29]
; %bb.929:                              ;   in Loop: Header=BB10_917 Depth=3
	s_or_b64 exec, exec, s[36:37]
	v_and_b32_e32 v17, 0xffff0000, v17
	v_and_b32_e32 v20, 0xffff0000, v21
	v_max_f32_e32 v20, v20, v20
	v_max_f32_e32 v17, v17, v17
	v_min_f32_e32 v21, v17, v20
	v_max_f32_e32 v17, v17, v20
	v_cndmask_b32_e32 v20, v17, v21, vcc
	v_and_b32_e32 v17, 0x7f800000, v20
	v_cmp_ne_u32_e64 s[28:29], s87, v17
                                        ; implicit-def: $vgpr17
	s_and_saveexec_b64 s[36:37], s[28:29]
	s_xor_b64 s[28:29], exec, s[36:37]
; %bb.930:                              ;   in Loop: Header=BB10_917 Depth=3
	v_bfe_u32 v17, v20, 16, 1
	v_add3_u32 v17, v20, v17, s88
                                        ; implicit-def: $vgpr20
; %bb.931:                              ;   in Loop: Header=BB10_917 Depth=3
	s_andn2_saveexec_b64 s[36:37], s[28:29]
; %bb.932:                              ;   in Loop: Header=BB10_917 Depth=3
	v_or_b32_e32 v17, 0x10000, v20
	v_cmp_eq_u32_sdwa s[28:29], v20, v52 src0_sel:WORD_0 src1_sel:DWORD
	v_cndmask_b32_e64 v17, v17, v20, s[28:29]
; %bb.933:                              ;   in Loop: Header=BB10_917 Depth=3
	s_or_b64 exec, exec, s[36:37]
	v_lshlrev_b32_e32 v20, 16, v18
	v_lshlrev_b32_e32 v21, 16, v22
	v_max_f32_e32 v21, v21, v21
	v_max_f32_e32 v20, v20, v20
	v_min_f32_e32 v38, v20, v21
	v_max_f32_e32 v20, v20, v21
	v_cndmask_b32_e32 v21, v20, v38, vcc
	v_and_b32_e32 v20, 0x7f800000, v21
	v_cmp_ne_u32_e64 s[28:29], s87, v20
                                        ; implicit-def: $vgpr20
	s_and_saveexec_b64 s[36:37], s[28:29]
	s_xor_b64 s[28:29], exec, s[36:37]
; %bb.934:                              ;   in Loop: Header=BB10_917 Depth=3
	v_bfe_u32 v20, v21, 16, 1
	v_add3_u32 v20, v21, v20, s88
                                        ; implicit-def: $vgpr21
; %bb.935:                              ;   in Loop: Header=BB10_917 Depth=3
	s_andn2_saveexec_b64 s[36:37], s[28:29]
; %bb.936:                              ;   in Loop: Header=BB10_917 Depth=3
	v_or_b32_e32 v20, 0x10000, v21
	v_cmp_eq_u32_sdwa s[28:29], v21, v52 src0_sel:WORD_0 src1_sel:DWORD
	v_cndmask_b32_e64 v20, v20, v21, s[28:29]
; %bb.937:                              ;   in Loop: Header=BB10_917 Depth=3
	s_or_b64 exec, exec, s[36:37]
	v_and_b32_e32 v18, 0xffff0000, v18
	v_and_b32_e32 v21, 0xffff0000, v22
	v_max_f32_e32 v21, v21, v21
	v_max_f32_e32 v18, v18, v18
	v_min_f32_e32 v22, v18, v21
	v_max_f32_e32 v18, v18, v21
	v_cndmask_b32_e32 v21, v18, v22, vcc
	v_and_b32_e32 v18, 0x7f800000, v21
	v_cmp_ne_u32_e64 s[28:29], s87, v18
                                        ; implicit-def: $vgpr18
	s_and_saveexec_b64 s[36:37], s[28:29]
	s_xor_b64 s[28:29], exec, s[36:37]
; %bb.938:                              ;   in Loop: Header=BB10_917 Depth=3
	v_bfe_u32 v18, v21, 16, 1
	v_add3_u32 v18, v21, v18, s88
                                        ; implicit-def: $vgpr21
; %bb.939:                              ;   in Loop: Header=BB10_917 Depth=3
	s_andn2_saveexec_b64 s[36:37], s[28:29]
; %bb.940:                              ;   in Loop: Header=BB10_917 Depth=3
	v_or_b32_e32 v18, 0x10000, v21
	v_cmp_eq_u32_sdwa s[28:29], v21, v52 src0_sel:WORD_0 src1_sel:DWORD
	v_cndmask_b32_e64 v18, v18, v21, s[28:29]
; %bb.941:                              ;   in Loop: Header=BB10_917 Depth=3
	s_or_b64 exec, exec, s[36:37]
	v_lshlrev_b32_e32 v21, 16, v19
	v_lshlrev_b32_e32 v22, 16, v23
	v_max_f32_e32 v22, v22, v22
	v_max_f32_e32 v21, v21, v21
	v_min_f32_e32 v38, v21, v22
	v_max_f32_e32 v21, v21, v22
	v_cndmask_b32_e32 v22, v21, v38, vcc
	v_and_b32_e32 v21, 0x7f800000, v22
	v_cmp_ne_u32_e64 s[28:29], s87, v21
                                        ; implicit-def: $vgpr21
	s_and_saveexec_b64 s[36:37], s[28:29]
	s_xor_b64 s[28:29], exec, s[36:37]
; %bb.942:                              ;   in Loop: Header=BB10_917 Depth=3
	v_bfe_u32 v21, v22, 16, 1
	v_add3_u32 v21, v22, v21, s88
                                        ; implicit-def: $vgpr22
; %bb.943:                              ;   in Loop: Header=BB10_917 Depth=3
	s_andn2_saveexec_b64 s[36:37], s[28:29]
; %bb.944:                              ;   in Loop: Header=BB10_917 Depth=3
	v_or_b32_e32 v21, 0x10000, v22
	v_cmp_eq_u32_sdwa s[28:29], v22, v52 src0_sel:WORD_0 src1_sel:DWORD
	v_cndmask_b32_e64 v21, v21, v22, s[28:29]
; %bb.945:                              ;   in Loop: Header=BB10_917 Depth=3
	s_or_b64 exec, exec, s[36:37]
	v_and_b32_e32 v19, 0xffff0000, v19
	v_and_b32_e32 v22, 0xffff0000, v23
	v_max_f32_e32 v22, v22, v22
	v_max_f32_e32 v19, v19, v19
	v_min_f32_e32 v23, v19, v22
	v_max_f32_e32 v19, v19, v22
	v_cndmask_b32_e32 v22, v19, v23, vcc
	v_and_b32_e32 v19, 0x7f800000, v22
	v_cmp_ne_u32_e64 s[28:29], s87, v19
                                        ; implicit-def: $vgpr19
	s_and_saveexec_b64 s[36:37], s[28:29]
	s_xor_b64 s[28:29], exec, s[36:37]
; %bb.946:                              ;   in Loop: Header=BB10_917 Depth=3
	v_bfe_u32 v19, v22, 16, 1
	v_add3_u32 v19, v22, v19, s88
                                        ; implicit-def: $vgpr22
; %bb.947:                              ;   in Loop: Header=BB10_917 Depth=3
	s_andn2_saveexec_b64 s[36:37], s[28:29]
; %bb.948:                              ;   in Loop: Header=BB10_917 Depth=3
	v_or_b32_e32 v19, 0x10000, v22
	v_cmp_eq_u32_sdwa s[28:29], v22, v52 src0_sel:WORD_0 src1_sel:DWORD
	v_cndmask_b32_e64 v19, v19, v22, s[28:29]
; %bb.949:                              ;   in Loop: Header=BB10_917 Depth=3
	s_or_b64 exec, exec, s[36:37]
	v_lshlrev_b32_e32 v22, 16, v8
	v_lshlrev_b32_e32 v23, 16, v12
	v_max_f32_e32 v23, v23, v23
	v_max_f32_e32 v22, v22, v22
	v_min_f32_e32 v38, v22, v23
	v_max_f32_e32 v22, v22, v23
	v_cndmask_b32_e32 v23, v22, v38, vcc
	v_and_b32_e32 v22, 0x7f800000, v23
	v_cmp_ne_u32_e64 s[28:29], s87, v22
                                        ; implicit-def: $vgpr22
	s_and_saveexec_b64 s[36:37], s[28:29]
	s_xor_b64 s[28:29], exec, s[36:37]
; %bb.950:                              ;   in Loop: Header=BB10_917 Depth=3
	v_bfe_u32 v22, v23, 16, 1
	v_add3_u32 v22, v23, v22, s88
                                        ; implicit-def: $vgpr23
; %bb.951:                              ;   in Loop: Header=BB10_917 Depth=3
	s_andn2_saveexec_b64 s[36:37], s[28:29]
; %bb.952:                              ;   in Loop: Header=BB10_917 Depth=3
	v_or_b32_e32 v22, 0x10000, v23
	v_cmp_eq_u32_sdwa s[28:29], v23, v52 src0_sel:WORD_0 src1_sel:DWORD
	v_cndmask_b32_e64 v22, v22, v23, s[28:29]
; %bb.953:                              ;   in Loop: Header=BB10_917 Depth=3
	s_or_b64 exec, exec, s[36:37]
	v_and_b32_e32 v8, 0xffff0000, v8
	v_and_b32_e32 v12, 0xffff0000, v12
	v_max_f32_e32 v12, v12, v12
	v_max_f32_e32 v8, v8, v8
	v_min_f32_e32 v23, v8, v12
	v_max_f32_e32 v8, v8, v12
	v_cndmask_b32_e32 v12, v8, v23, vcc
	v_and_b32_e32 v8, 0x7f800000, v12
	v_cmp_ne_u32_e64 s[28:29], s87, v8
                                        ; implicit-def: $vgpr8
	s_and_saveexec_b64 s[36:37], s[28:29]
	s_xor_b64 s[28:29], exec, s[36:37]
; %bb.954:                              ;   in Loop: Header=BB10_917 Depth=3
	v_bfe_u32 v8, v12, 16, 1
	v_add3_u32 v8, v12, v8, s88
                                        ; implicit-def: $vgpr12
; %bb.955:                              ;   in Loop: Header=BB10_917 Depth=3
	s_andn2_saveexec_b64 s[36:37], s[28:29]
; %bb.956:                              ;   in Loop: Header=BB10_917 Depth=3
	v_or_b32_e32 v8, 0x10000, v12
	v_cmp_eq_u32_sdwa s[28:29], v12, v52 src0_sel:WORD_0 src1_sel:DWORD
	v_cndmask_b32_e64 v8, v8, v12, s[28:29]
; %bb.957:                              ;   in Loop: Header=BB10_917 Depth=3
	s_or_b64 exec, exec, s[36:37]
	v_lshlrev_b32_e32 v12, 16, v9
	v_lshlrev_b32_e32 v23, 16, v13
	v_max_f32_e32 v23, v23, v23
	v_max_f32_e32 v12, v12, v12
	v_min_f32_e32 v38, v12, v23
	v_max_f32_e32 v12, v12, v23
	v_cndmask_b32_e32 v23, v12, v38, vcc
	v_and_b32_e32 v12, 0x7f800000, v23
	v_cmp_ne_u32_e64 s[28:29], s87, v12
                                        ; implicit-def: $vgpr12
	s_and_saveexec_b64 s[36:37], s[28:29]
	s_xor_b64 s[28:29], exec, s[36:37]
; %bb.958:                              ;   in Loop: Header=BB10_917 Depth=3
	v_bfe_u32 v12, v23, 16, 1
	v_add3_u32 v12, v23, v12, s88
                                        ; implicit-def: $vgpr23
; %bb.959:                              ;   in Loop: Header=BB10_917 Depth=3
	s_andn2_saveexec_b64 s[36:37], s[28:29]
; %bb.960:                              ;   in Loop: Header=BB10_917 Depth=3
	v_or_b32_e32 v12, 0x10000, v23
	v_cmp_eq_u32_sdwa s[28:29], v23, v52 src0_sel:WORD_0 src1_sel:DWORD
	v_cndmask_b32_e64 v12, v12, v23, s[28:29]
; %bb.961:                              ;   in Loop: Header=BB10_917 Depth=3
	s_or_b64 exec, exec, s[36:37]
	v_and_b32_e32 v9, 0xffff0000, v9
	v_and_b32_e32 v13, 0xffff0000, v13
	v_max_f32_e32 v13, v13, v13
	v_max_f32_e32 v9, v9, v9
	v_min_f32_e32 v23, v9, v13
	v_max_f32_e32 v9, v9, v13
	v_cndmask_b32_e32 v13, v9, v23, vcc
	v_and_b32_e32 v9, 0x7f800000, v13
	v_cmp_ne_u32_e64 s[28:29], s87, v9
                                        ; implicit-def: $vgpr9
	s_and_saveexec_b64 s[36:37], s[28:29]
	s_xor_b64 s[28:29], exec, s[36:37]
; %bb.962:                              ;   in Loop: Header=BB10_917 Depth=3
	v_bfe_u32 v9, v13, 16, 1
	v_add3_u32 v9, v13, v9, s88
                                        ; implicit-def: $vgpr13
; %bb.963:                              ;   in Loop: Header=BB10_917 Depth=3
	s_andn2_saveexec_b64 s[36:37], s[28:29]
; %bb.964:                              ;   in Loop: Header=BB10_917 Depth=3
	v_or_b32_e32 v9, 0x10000, v13
	v_cmp_eq_u32_sdwa s[28:29], v13, v52 src0_sel:WORD_0 src1_sel:DWORD
	v_cndmask_b32_e64 v9, v9, v13, s[28:29]
; %bb.965:                              ;   in Loop: Header=BB10_917 Depth=3
	s_or_b64 exec, exec, s[36:37]
	v_lshlrev_b32_e32 v13, 16, v10
	v_lshlrev_b32_e32 v23, 16, v14
	v_max_f32_e32 v23, v23, v23
	v_max_f32_e32 v13, v13, v13
	v_min_f32_e32 v38, v13, v23
	v_max_f32_e32 v13, v13, v23
	v_cndmask_b32_e32 v23, v13, v38, vcc
	v_and_b32_e32 v13, 0x7f800000, v23
	v_cmp_ne_u32_e64 s[28:29], s87, v13
                                        ; implicit-def: $vgpr13
	s_and_saveexec_b64 s[36:37], s[28:29]
	s_xor_b64 s[28:29], exec, s[36:37]
; %bb.966:                              ;   in Loop: Header=BB10_917 Depth=3
	v_bfe_u32 v13, v23, 16, 1
	v_add3_u32 v13, v23, v13, s88
                                        ; implicit-def: $vgpr23
; %bb.967:                              ;   in Loop: Header=BB10_917 Depth=3
	s_andn2_saveexec_b64 s[36:37], s[28:29]
; %bb.968:                              ;   in Loop: Header=BB10_917 Depth=3
	v_or_b32_e32 v13, 0x10000, v23
	v_cmp_eq_u32_sdwa s[28:29], v23, v52 src0_sel:WORD_0 src1_sel:DWORD
	v_cndmask_b32_e64 v13, v13, v23, s[28:29]
; %bb.969:                              ;   in Loop: Header=BB10_917 Depth=3
	s_or_b64 exec, exec, s[36:37]
	v_and_b32_e32 v10, 0xffff0000, v10
	v_and_b32_e32 v14, 0xffff0000, v14
	v_max_f32_e32 v14, v14, v14
	v_max_f32_e32 v10, v10, v10
	v_min_f32_e32 v23, v10, v14
	v_max_f32_e32 v10, v10, v14
	v_cndmask_b32_e32 v14, v10, v23, vcc
	v_and_b32_e32 v10, 0x7f800000, v14
	v_cmp_ne_u32_e64 s[28:29], s87, v10
                                        ; implicit-def: $vgpr10
	s_and_saveexec_b64 s[36:37], s[28:29]
	s_xor_b64 s[28:29], exec, s[36:37]
; %bb.970:                              ;   in Loop: Header=BB10_917 Depth=3
	v_bfe_u32 v10, v14, 16, 1
	v_add3_u32 v10, v14, v10, s88
                                        ; implicit-def: $vgpr14
; %bb.971:                              ;   in Loop: Header=BB10_917 Depth=3
	s_andn2_saveexec_b64 s[36:37], s[28:29]
; %bb.972:                              ;   in Loop: Header=BB10_917 Depth=3
	v_or_b32_e32 v10, 0x10000, v14
	v_cmp_eq_u32_sdwa s[28:29], v14, v52 src0_sel:WORD_0 src1_sel:DWORD
	v_cndmask_b32_e64 v10, v10, v14, s[28:29]
; %bb.973:                              ;   in Loop: Header=BB10_917 Depth=3
	s_or_b64 exec, exec, s[36:37]
	v_lshlrev_b32_e32 v14, 16, v11
	v_lshlrev_b32_e32 v23, 16, v15
	v_max_f32_e32 v23, v23, v23
	v_max_f32_e32 v14, v14, v14
	v_min_f32_e32 v38, v14, v23
	v_max_f32_e32 v14, v14, v23
	v_cndmask_b32_e32 v23, v14, v38, vcc
	v_and_b32_e32 v14, 0x7f800000, v23
	v_cmp_ne_u32_e64 s[28:29], s87, v14
                                        ; implicit-def: $vgpr14
	s_and_saveexec_b64 s[36:37], s[28:29]
	s_xor_b64 s[28:29], exec, s[36:37]
; %bb.974:                              ;   in Loop: Header=BB10_917 Depth=3
	v_bfe_u32 v14, v23, 16, 1
	v_add3_u32 v14, v23, v14, s88
                                        ; implicit-def: $vgpr23
; %bb.975:                              ;   in Loop: Header=BB10_917 Depth=3
	s_andn2_saveexec_b64 s[36:37], s[28:29]
; %bb.976:                              ;   in Loop: Header=BB10_917 Depth=3
	v_or_b32_e32 v14, 0x10000, v23
	v_cmp_eq_u32_sdwa s[28:29], v23, v52 src0_sel:WORD_0 src1_sel:DWORD
	v_cndmask_b32_e64 v14, v14, v23, s[28:29]
; %bb.977:                              ;   in Loop: Header=BB10_917 Depth=3
	s_or_b64 exec, exec, s[36:37]
	v_and_b32_e32 v11, 0xffff0000, v11
	v_and_b32_e32 v15, 0xffff0000, v15
	v_max_f32_e32 v15, v15, v15
	v_max_f32_e32 v11, v11, v11
	v_min_f32_e32 v23, v11, v15
	v_max_f32_e32 v11, v11, v15
	v_cndmask_b32_e32 v15, v11, v23, vcc
	v_and_b32_e32 v11, 0x7f800000, v15
	v_cmp_ne_u32_e64 s[28:29], s87, v11
                                        ; implicit-def: $vgpr11
	s_and_saveexec_b64 s[36:37], s[28:29]
	s_xor_b64 s[28:29], exec, s[36:37]
; %bb.978:                              ;   in Loop: Header=BB10_917 Depth=3
	v_bfe_u32 v11, v15, 16, 1
	v_add3_u32 v11, v15, v11, s88
                                        ; implicit-def: $vgpr15
; %bb.979:                              ;   in Loop: Header=BB10_917 Depth=3
	s_andn2_saveexec_b64 s[36:37], s[28:29]
	s_cbranch_execz .LBB10_916
; %bb.980:                              ;   in Loop: Header=BB10_917 Depth=3
	v_or_b32_e32 v11, 0x10000, v15
	v_cmp_eq_u32_sdwa s[28:29], v15, v52 src0_sel:WORD_0 src1_sel:DWORD
	v_cndmask_b32_e64 v11, v11, v15, s[28:29]
	s_branch .LBB10_916
.LBB10_981:                             ;   in Loop: Header=BB10_627 Depth=2
	s_or_b64 exec, exec, s[34:35]
	v_accvgpr_read_b32 v59, a13
	v_accvgpr_read_b32 v58, a12
	v_mov_b32_e32 v57, 1
.LBB10_982:                             ;   in Loop: Header=BB10_627 Depth=2
	s_or_b64 exec, exec, s[30:31]
	v_lshlrev_b32_e32 v20, 11, v27
	v_cmp_ne_u32_e32 vcc, v25, v20
	s_mov_b64 s[28:29], 0
	v_mov_b32_e32 v0, 0
                                        ; implicit-def: $vgpr12
                                        ; implicit-def: $vgpr4
	s_and_saveexec_b64 s[34:35], vcc
	s_cbranch_execz .LBB10_1022
; %bb.983:                              ;   in Loop: Header=BB10_627 Depth=2
	v_lshlrev_b32_e32 v0, 6, v26
	v_accvgpr_read_b32 v4, a22
	v_sub_u32_e32 v0, v4, v0
	v_sub_u32_e32 v5, v25, v20
	v_ashrrev_i32_e32 v4, 31, v0
	v_lshrrev_b32_e32 v4, 26, v4
	v_ashrrev_i32_e32 v9, 31, v5
	v_add_u32_e32 v4, v0, v4
	v_lshrrev_b32_e32 v9, 22, v9
	v_ashrrev_i32_e32 v8, 6, v4
	v_and_b32_e32 v4, 0xffffffc0, v4
	v_add_u32_e32 v9, v5, v9
	v_sub_u32_e32 v21, v0, v4
	v_and_b32_e32 v22, 0xfffffc00, v9
	v_lshlrev_b32_e32 v0, 4, v21
	v_sub_u32_e32 v26, v5, v22
	v_lshl_add_u32 v4, v8, 10, v0
	v_ashrrev_i32_e32 v10, 10, v9
	v_cmp_lt_i32_e32 vcc, 15, v26
	v_sub_u32_e32 v0, v5, v4
	v_addc_co_u32_e64 v5, s[28:29], 0, v10, vcc
	v_sub_u32_e32 v23, v5, v8
	v_cmp_lt_i32_e64 s[28:29], 15, v0
	s_and_saveexec_b64 s[36:37], s[28:29]
	s_cbranch_execz .LBB10_1019
; %bb.984:                              ;   in Loop: Header=BB10_627 Depth=2
	s_trap 2
	ds_read_b128 v[8:11], v0
	ds_read_b64 v[12:13], v0
	v_add_u32_e32 v14, v4, v20
	v_ashrrev_i32_e32 v15, 31, v14
	s_and_b32 s46, s97, 1
	s_waitcnt lgkmcnt(0)
	v_add_co_u32_e64 v4, s[28:29], v8, v14
	v_addc_co_u32_e64 v5, s[28:29], v9, v15, s[28:29]
	v_add_co_u32_e64 v16, s[28:29], v10, v14
	v_addc_co_u32_e64 v17, s[28:29], v11, v15, s[28:29]
	;; [unrolled: 2-line block ×3, first 2 shown]
	s_cmp_eq_u64 s[46:47], 0
	s_mov_b64 s[38:39], 0
	s_cselect_b64 s[28:29], -1, 0
	s_branch .LBB10_986
.LBB10_985:                             ;   in Loop: Header=BB10_986 Depth=3
	s_or_b64 exec, exec, s[62:63]
	v_lshrrev_b32_e32 v12, 16, v12
	v_and_or_b32 v9, v9, s89, v12
	v_lshrrev_b32_e32 v12, 16, v27
	v_add_co_u32_e64 v4, s[30:31], v4, v42
	v_and_or_b32 v8, v8, s89, v12
	v_lshrrev_b32_e32 v12, 16, v13
	v_addc_co_u32_e64 v5, s[30:31], v5, v43, s[30:31]
	v_and_or_b32 v10, v10, s89, v12
	v_lshrrev_b32_e32 v12, 16, v14
	v_add_co_u32_e64 v16, s[30:31], v16, v42
	v_and_or_b32 v11, v11, s89, v12
	v_addc_co_u32_e64 v17, s[30:31], v17, v43, s[30:31]
	global_store_dwordx4 v[18:19], v[8:11], off glc slc
	v_add_co_u32_e64 v18, s[30:31], v18, v42
	v_addc_co_u32_e64 v19, s[30:31], v19, v43, s[30:31]
	v_sub_u32_e32 v0, v0, v46
	v_cmp_gt_i32_e64 s[30:31], 16, v0
	s_or_b64 s[38:39], s[30:31], s[38:39]
	v_sub_u32_e32 v23, v23, v54
	s_andn2_b64 exec, exec, s[38:39]
	s_cbranch_execz .LBB10_1018
.LBB10_986:                             ;   Parent Loop BB10_47 Depth=1
                                        ;     Parent Loop BB10_627 Depth=2
                                        ; =>    This Inner Loop Header: Depth=3
	global_load_dwordx4 v[8:11], v[4:5], off glc slc
	global_load_dwordx4 v[12:15], v[16:17], off glc slc
	s_waitcnt vmcnt(0)
	v_lshlrev_b32_e32 v27, 16, v8
	v_lshlrev_b32_e32 v38, 16, v12
	v_max_f32_e32 v38, v38, v38
	v_max_f32_e32 v27, v27, v27
	v_min_f32_e32 v39, v27, v38
	v_max_f32_e32 v27, v27, v38
	v_cndmask_b32_e64 v53, v27, v39, s[28:29]
	v_and_b32_e32 v27, 0x7f800000, v53
	v_cmp_ne_u32_e64 s[30:31], s87, v27
                                        ; implicit-def: $vgpr27
	s_and_saveexec_b64 s[62:63], s[30:31]
	s_xor_b64 s[30:31], exec, s[62:63]
; %bb.987:                              ;   in Loop: Header=BB10_986 Depth=3
	v_bfe_u32 v27, v53, 16, 1
	v_add3_u32 v27, v53, v27, s88
                                        ; implicit-def: $vgpr53
; %bb.988:                              ;   in Loop: Header=BB10_986 Depth=3
	s_andn2_saveexec_b64 s[62:63], s[30:31]
; %bb.989:                              ;   in Loop: Header=BB10_986 Depth=3
	v_or_b32_e32 v27, 0x10000, v53
	v_cmp_eq_u32_sdwa s[30:31], v53, v52 src0_sel:WORD_0 src1_sel:DWORD
	v_cndmask_b32_e64 v27, v27, v53, s[30:31]
; %bb.990:                              ;   in Loop: Header=BB10_986 Depth=3
	s_or_b64 exec, exec, s[62:63]
	v_and_b32_e32 v8, 0xffff0000, v8
	v_and_b32_e32 v12, 0xffff0000, v12
	v_max_f32_e32 v12, v12, v12
	v_max_f32_e32 v8, v8, v8
	v_min_f32_e32 v38, v8, v12
	v_max_f32_e32 v8, v8, v12
	v_cndmask_b32_e64 v12, v8, v38, s[28:29]
	v_and_b32_e32 v8, 0x7f800000, v12
	v_cmp_ne_u32_e64 s[30:31], s87, v8
                                        ; implicit-def: $vgpr8
	s_and_saveexec_b64 s[62:63], s[30:31]
	s_xor_b64 s[30:31], exec, s[62:63]
; %bb.991:                              ;   in Loop: Header=BB10_986 Depth=3
	v_bfe_u32 v8, v12, 16, 1
	v_add3_u32 v8, v12, v8, s88
                                        ; implicit-def: $vgpr12
; %bb.992:                              ;   in Loop: Header=BB10_986 Depth=3
	s_andn2_saveexec_b64 s[62:63], s[30:31]
; %bb.993:                              ;   in Loop: Header=BB10_986 Depth=3
	v_or_b32_e32 v8, 0x10000, v12
	v_cmp_eq_u32_sdwa s[30:31], v12, v52 src0_sel:WORD_0 src1_sel:DWORD
	v_cndmask_b32_e64 v8, v8, v12, s[30:31]
; %bb.994:                              ;   in Loop: Header=BB10_986 Depth=3
	s_or_b64 exec, exec, s[62:63]
	v_lshlrev_b32_e32 v12, 16, v9
	v_lshlrev_b32_e32 v38, 16, v13
	v_max_f32_e32 v38, v38, v38
	v_max_f32_e32 v12, v12, v12
	v_min_f32_e32 v39, v12, v38
	v_max_f32_e32 v12, v12, v38
	v_cndmask_b32_e64 v53, v12, v39, s[28:29]
	v_and_b32_e32 v12, 0x7f800000, v53
	v_cmp_ne_u32_e64 s[30:31], s87, v12
                                        ; implicit-def: $vgpr12
	s_and_saveexec_b64 s[62:63], s[30:31]
	s_xor_b64 s[30:31], exec, s[62:63]
; %bb.995:                              ;   in Loop: Header=BB10_986 Depth=3
	v_bfe_u32 v12, v53, 16, 1
	v_add3_u32 v12, v53, v12, s88
                                        ; implicit-def: $vgpr53
; %bb.996:                              ;   in Loop: Header=BB10_986 Depth=3
	s_andn2_saveexec_b64 s[62:63], s[30:31]
; %bb.997:                              ;   in Loop: Header=BB10_986 Depth=3
	v_or_b32_e32 v12, 0x10000, v53
	v_cmp_eq_u32_sdwa s[30:31], v53, v52 src0_sel:WORD_0 src1_sel:DWORD
	v_cndmask_b32_e64 v12, v12, v53, s[30:31]
; %bb.998:                              ;   in Loop: Header=BB10_986 Depth=3
	s_or_b64 exec, exec, s[62:63]
	v_and_b32_e32 v9, 0xffff0000, v9
	v_and_b32_e32 v13, 0xffff0000, v13
	v_max_f32_e32 v13, v13, v13
	v_max_f32_e32 v9, v9, v9
	v_min_f32_e32 v38, v9, v13
	v_max_f32_e32 v9, v9, v13
	v_cndmask_b32_e64 v13, v9, v38, s[28:29]
	v_and_b32_e32 v9, 0x7f800000, v13
	v_cmp_ne_u32_e64 s[30:31], s87, v9
                                        ; implicit-def: $vgpr9
	s_and_saveexec_b64 s[62:63], s[30:31]
	s_xor_b64 s[30:31], exec, s[62:63]
; %bb.999:                              ;   in Loop: Header=BB10_986 Depth=3
	v_bfe_u32 v9, v13, 16, 1
	v_add3_u32 v9, v13, v9, s88
                                        ; implicit-def: $vgpr13
; %bb.1000:                             ;   in Loop: Header=BB10_986 Depth=3
	s_andn2_saveexec_b64 s[62:63], s[30:31]
; %bb.1001:                             ;   in Loop: Header=BB10_986 Depth=3
	v_or_b32_e32 v9, 0x10000, v13
	v_cmp_eq_u32_sdwa s[30:31], v13, v52 src0_sel:WORD_0 src1_sel:DWORD
	v_cndmask_b32_e64 v9, v9, v13, s[30:31]
; %bb.1002:                             ;   in Loop: Header=BB10_986 Depth=3
	s_or_b64 exec, exec, s[62:63]
	v_lshlrev_b32_e32 v13, 16, v10
	v_lshlrev_b32_e32 v38, 16, v14
	v_max_f32_e32 v38, v38, v38
	v_max_f32_e32 v13, v13, v13
	v_min_f32_e32 v39, v13, v38
	v_max_f32_e32 v13, v13, v38
	v_cndmask_b32_e64 v53, v13, v39, s[28:29]
	v_and_b32_e32 v13, 0x7f800000, v53
	v_cmp_ne_u32_e64 s[30:31], s87, v13
                                        ; implicit-def: $vgpr13
	s_and_saveexec_b64 s[62:63], s[30:31]
	s_xor_b64 s[30:31], exec, s[62:63]
; %bb.1003:                             ;   in Loop: Header=BB10_986 Depth=3
	v_bfe_u32 v13, v53, 16, 1
	v_add3_u32 v13, v53, v13, s88
                                        ; implicit-def: $vgpr53
; %bb.1004:                             ;   in Loop: Header=BB10_986 Depth=3
	s_andn2_saveexec_b64 s[62:63], s[30:31]
; %bb.1005:                             ;   in Loop: Header=BB10_986 Depth=3
	v_or_b32_e32 v13, 0x10000, v53
	v_cmp_eq_u32_sdwa s[30:31], v53, v52 src0_sel:WORD_0 src1_sel:DWORD
	v_cndmask_b32_e64 v13, v13, v53, s[30:31]
; %bb.1006:                             ;   in Loop: Header=BB10_986 Depth=3
	s_or_b64 exec, exec, s[62:63]
	v_and_b32_e32 v10, 0xffff0000, v10
	v_and_b32_e32 v14, 0xffff0000, v14
	v_max_f32_e32 v14, v14, v14
	v_max_f32_e32 v10, v10, v10
	v_min_f32_e32 v38, v10, v14
	v_max_f32_e32 v10, v10, v14
	v_cndmask_b32_e64 v14, v10, v38, s[28:29]
	v_and_b32_e32 v10, 0x7f800000, v14
	v_cmp_ne_u32_e64 s[30:31], s87, v10
                                        ; implicit-def: $vgpr10
	s_and_saveexec_b64 s[62:63], s[30:31]
	s_xor_b64 s[30:31], exec, s[62:63]
; %bb.1007:                             ;   in Loop: Header=BB10_986 Depth=3
	v_bfe_u32 v10, v14, 16, 1
	v_add3_u32 v10, v14, v10, s88
                                        ; implicit-def: $vgpr14
; %bb.1008:                             ;   in Loop: Header=BB10_986 Depth=3
	s_andn2_saveexec_b64 s[62:63], s[30:31]
; %bb.1009:                             ;   in Loop: Header=BB10_986 Depth=3
	v_or_b32_e32 v10, 0x10000, v14
	v_cmp_eq_u32_sdwa s[30:31], v14, v52 src0_sel:WORD_0 src1_sel:DWORD
	v_cndmask_b32_e64 v10, v10, v14, s[30:31]
; %bb.1010:                             ;   in Loop: Header=BB10_986 Depth=3
	s_or_b64 exec, exec, s[62:63]
	v_lshlrev_b32_e32 v14, 16, v11
	v_lshlrev_b32_e32 v38, 16, v15
	v_max_f32_e32 v38, v38, v38
	v_max_f32_e32 v14, v14, v14
	v_min_f32_e32 v39, v14, v38
	v_max_f32_e32 v14, v14, v38
	v_cndmask_b32_e64 v53, v14, v39, s[28:29]
	v_and_b32_e32 v14, 0x7f800000, v53
	v_cmp_ne_u32_e64 s[30:31], s87, v14
                                        ; implicit-def: $vgpr14
	s_and_saveexec_b64 s[62:63], s[30:31]
	s_xor_b64 s[30:31], exec, s[62:63]
; %bb.1011:                             ;   in Loop: Header=BB10_986 Depth=3
	v_bfe_u32 v14, v53, 16, 1
	v_add3_u32 v14, v53, v14, s88
                                        ; implicit-def: $vgpr53
; %bb.1012:                             ;   in Loop: Header=BB10_986 Depth=3
	s_andn2_saveexec_b64 s[62:63], s[30:31]
; %bb.1013:                             ;   in Loop: Header=BB10_986 Depth=3
	v_or_b32_e32 v14, 0x10000, v53
	v_cmp_eq_u32_sdwa s[30:31], v53, v52 src0_sel:WORD_0 src1_sel:DWORD
	v_cndmask_b32_e64 v14, v14, v53, s[30:31]
; %bb.1014:                             ;   in Loop: Header=BB10_986 Depth=3
	s_or_b64 exec, exec, s[62:63]
	v_and_b32_e32 v11, 0xffff0000, v11
	v_and_b32_e32 v15, 0xffff0000, v15
	v_max_f32_e32 v15, v15, v15
	v_max_f32_e32 v11, v11, v11
	v_min_f32_e32 v38, v11, v15
	v_max_f32_e32 v11, v11, v15
	v_cndmask_b32_e64 v15, v11, v38, s[28:29]
	v_and_b32_e32 v11, 0x7f800000, v15
	v_cmp_ne_u32_e64 s[30:31], s87, v11
                                        ; implicit-def: $vgpr11
	s_and_saveexec_b64 s[62:63], s[30:31]
	s_xor_b64 s[30:31], exec, s[62:63]
; %bb.1015:                             ;   in Loop: Header=BB10_986 Depth=3
	v_bfe_u32 v11, v15, 16, 1
	v_add3_u32 v11, v15, v11, s88
                                        ; implicit-def: $vgpr15
; %bb.1016:                             ;   in Loop: Header=BB10_986 Depth=3
	s_andn2_saveexec_b64 s[62:63], s[30:31]
	s_cbranch_execz .LBB10_985
; %bb.1017:                             ;   in Loop: Header=BB10_986 Depth=3
	v_or_b32_e32 v11, 0x10000, v15
	v_cmp_eq_u32_sdwa s[30:31], v15, v52 src0_sel:WORD_0 src1_sel:DWORD
	v_cndmask_b32_e64 v11, v11, v15, s[30:31]
	s_branch .LBB10_985
.LBB10_1018:                            ;   in Loop: Header=BB10_627 Depth=2
	s_or_b64 exec, exec, s[38:39]
.LBB10_1019:                            ;   in Loop: Header=BB10_627 Depth=2
	s_or_b64 exec, exec, s[36:37]
	v_and_b32_e32 v5, 14, v25
	v_cndmask_b32_e32 v25, v26, v5, vcc
	v_cmp_ne_u32_e64 s[28:29], 0, v25
	s_mov_b64 s[30:31], 0
	v_mov_b32_e32 v0, 0
                                        ; implicit-def: $vgpr12
                                        ; implicit-def: $vgpr4
	s_and_saveexec_b64 s[36:37], s[28:29]
	s_cbranch_execz .LBB10_1021
; %bb.1020:                             ;   in Loop: Header=BB10_627 Depth=2
	v_sub_u32_e32 v0, v26, v5
	v_cndmask_b32_e32 v0, 0, v0, vcc
	v_cmp_lt_i32_e32 vcc, 0, v23
	v_cndmask_b32_e32 v4, 0, v54, vcc
	v_sub_u32_e32 v4, v4, v23
	v_lshl_add_u32 v12, v4, 6, v21
	v_ashrrev_i32_e32 v4, 31, v12
	v_lshrrev_b32_e32 v4, 26, v4
	v_add_u32_e32 v4, v12, v4
	s_mov_b64 s[30:31], exec
	v_add3_u32 v0, v22, v20, v0
	v_ashrrev_i32_e32 v4, 6, v4
.LBB10_1021:                            ;   in Loop: Header=BB10_627 Depth=2
	s_or_b64 exec, exec, s[36:37]
	s_and_b64 s[28:29], s[30:31], exec
.LBB10_1022:                            ;   in Loop: Header=BB10_627 Depth=2
	s_or_b64 exec, exec, s[34:35]
	s_and_saveexec_b64 s[30:31], s[28:29]
	s_cbranch_execz .LBB10_1068
.LBB10_1023:                            ;   in Loop: Header=BB10_627 Depth=2
	v_ashrrev_i32_e32 v5, 31, v25
	v_lshrrev_b32_e32 v5, 22, v5
	v_add_u32_e32 v5, v25, v5
	v_ashrrev_i32_e32 v14, 10, v5
	v_sub_u32_e32 v13, v14, v4
	v_cmp_lt_i32_e32 vcc, 0, v13
	s_and_saveexec_b64 s[34:35], vcc
	s_cbranch_execz .LBB10_1059
; %bb.1024:                             ;   in Loop: Header=BB10_627 Depth=2
	v_ashrrev_i32_e32 v5, 31, v12
	v_lshrrev_b32_e32 v5, 26, v5
	s_trap 2
	v_add_u32_e32 v5, v12, v5
	ds_read_b128 v[8:11], v0
	ds_read_b64 v[16:17], v0
	v_and_b32_e32 v5, 0x7fffffc0, v5
	v_sub_u32_e32 v5, v12, v5
	v_lshlrev_b32_e32 v5, 1, v5
	v_lshlrev_b32_e32 v4, 10, v4
	v_add3_u32 v15, v5, v0, v4
	v_ashrrev_i32_e32 v18, 31, v15
	s_waitcnt lgkmcnt(0)
	v_add_co_u32_e32 v4, vcc, v8, v15
	v_addc_co_u32_e32 v5, vcc, v9, v18, vcc
	v_add_co_u32_e32 v8, vcc, v10, v15
	v_addc_co_u32_e32 v9, vcc, v11, v18, vcc
	v_add_co_u32_e32 v10, vcc, 0x380, v16
	s_and_b32 s46, s97, 1
	v_addc_co_u32_e32 v11, vcc, 0, v17, vcc
	s_cmp_eq_u64 s[46:47], 0
	v_add_co_u32_e32 v10, vcc, v10, v15
	s_mov_b64 s[36:37], 0
	s_cselect_b64 s[28:29], -1, 0
	v_addc_co_u32_e32 v11, vcc, v11, v18, vcc
	s_branch .LBB10_1026
.LBB10_1025:                            ;   in Loop: Header=BB10_1026 Depth=3
	s_or_b64 exec, exec, s[38:39]
	v_add_co_u32_e32 v38, vcc, 0xfffffc80, v10
	v_addc_co_u32_e32 v39, vcc, -1, v11, vcc
	flat_store_short_d16_hi v[38:39], v15 glc slc
	v_add_co_u32_e32 v38, vcc, 0xfffffd00, v10
	v_addc_co_u32_e32 v39, vcc, -1, v11, vcc
	flat_store_short_d16_hi v[38:39], v18 glc slc
	v_add_co_u32_e32 v38, vcc, 0xfffffd80, v10
	v_addc_co_u32_e32 v39, vcc, -1, v11, vcc
	v_add_co_u32_e32 v20, vcc, 0xfffffe00, v10
	flat_store_short_d16_hi v[38:39], v21 glc slc
	v_addc_co_u32_e32 v21, vcc, -1, v11, vcc
	flat_store_short_d16_hi v[20:21], v23 glc slc
	v_add_co_u32_e32 v20, vcc, 0xfffffe80, v10
	v_addc_co_u32_e32 v21, vcc, -1, v11, vcc
	flat_store_short_d16_hi v[20:21], v27 glc slc
	v_add_co_u32_e32 v20, vcc, 0xffffff00, v10
	;; [unrolled: 3-line block ×3, first 2 shown]
	v_addc_co_u32_e32 v21, vcc, -1, v11, vcc
	v_add_co_u32_e32 v4, vcc, v4, v42
	v_addc_co_u32_e32 v5, vcc, v5, v43, vcc
	v_add_co_u32_e32 v8, vcc, v8, v42
	v_addc_co_u32_e32 v9, vcc, v9, v43, vcc
	v_sub_u32_e32 v13, v13, v54
	v_cmp_gt_i32_e32 vcc, 1, v13
	flat_store_short_d16_hi v[20:21], v19 glc slc
	flat_store_short_d16_hi v[10:11], v16 glc slc
	s_or_b64 s[36:37], vcc, s[36:37]
	v_add_co_u32_e32 v10, vcc, v10, v42
	v_addc_co_u32_e32 v11, vcc, v11, v43, vcc
	s_andn2_b64 exec, exec, s[36:37]
	s_cbranch_execz .LBB10_1058
.LBB10_1026:                            ;   Parent Loop BB10_47 Depth=1
                                        ;     Parent Loop BB10_627 Depth=2
                                        ; =>    This Inner Loop Header: Depth=3
	flat_load_ushort v21, v[4:5] offset:256 glc slc
	flat_load_ushort v23, v[4:5] offset:384 glc slc
	;; [unrolled: 1-line block ×12, first 2 shown]
	flat_load_ushort v15, v[4:5] glc slc
	flat_load_ushort v38, v[8:9] glc slc
	flat_load_ushort v18, v[4:5] offset:128 glc slc
	flat_load_ushort v56, v[8:9] offset:128 glc slc
	s_waitcnt vmcnt(0) lgkmcnt(0)
	v_lshlrev_b32_e32 v15, 16, v15
	v_lshlrev_b32_e32 v38, 16, v38
	v_max_f32_e32 v38, v38, v38
	v_max_f32_e32 v15, v15, v15
	v_min_f32_e32 v39, v15, v38
	v_max_f32_e32 v15, v15, v38
	v_cndmask_b32_e64 v57, v15, v39, s[28:29]
	v_and_b32_e32 v15, 0x7f800000, v57
	v_cmp_ne_u32_e32 vcc, s87, v15
                                        ; implicit-def: $vgpr15
	s_and_saveexec_b64 s[38:39], vcc
	s_xor_b64 vcc, exec, s[38:39]
; %bb.1027:                             ;   in Loop: Header=BB10_1026 Depth=3
	v_bfe_u32 v15, v57, 16, 1
	v_add3_u32 v15, v57, v15, s88
                                        ; implicit-def: $vgpr57
; %bb.1028:                             ;   in Loop: Header=BB10_1026 Depth=3
	s_andn2_saveexec_b64 s[38:39], vcc
; %bb.1029:                             ;   in Loop: Header=BB10_1026 Depth=3
	v_or_b32_e32 v15, 0x10000, v57
	v_cmp_eq_u32_sdwa vcc, v57, v52 src0_sel:WORD_0 src1_sel:DWORD
	v_cndmask_b32_e32 v15, v15, v57, vcc
; %bb.1030:                             ;   in Loop: Header=BB10_1026 Depth=3
	s_or_b64 exec, exec, s[38:39]
	v_lshlrev_b32_e32 v18, 16, v18
	v_lshlrev_b32_e32 v38, 16, v56
	v_max_f32_e32 v38, v38, v38
	v_max_f32_e32 v18, v18, v18
	v_min_f32_e32 v39, v18, v38
	v_max_f32_e32 v18, v18, v38
	v_cndmask_b32_e64 v56, v18, v39, s[28:29]
	v_and_b32_e32 v18, 0x7f800000, v56
	v_cmp_ne_u32_e32 vcc, s87, v18
                                        ; implicit-def: $vgpr18
	s_and_saveexec_b64 s[38:39], vcc
	s_xor_b64 vcc, exec, s[38:39]
; %bb.1031:                             ;   in Loop: Header=BB10_1026 Depth=3
	v_bfe_u32 v18, v56, 16, 1
	v_add3_u32 v18, v56, v18, s88
                                        ; implicit-def: $vgpr56
; %bb.1032:                             ;   in Loop: Header=BB10_1026 Depth=3
	s_andn2_saveexec_b64 s[38:39], vcc
; %bb.1033:                             ;   in Loop: Header=BB10_1026 Depth=3
	v_or_b32_e32 v18, 0x10000, v56
	v_cmp_eq_u32_sdwa vcc, v56, v52 src0_sel:WORD_0 src1_sel:DWORD
	v_cndmask_b32_e32 v18, v18, v56, vcc
; %bb.1034:                             ;   in Loop: Header=BB10_1026 Depth=3
	s_or_b64 exec, exec, s[38:39]
	v_lshlrev_b32_e32 v21, 16, v21
	v_lshlrev_b32_e32 v38, 16, v41
	v_max_f32_e32 v38, v38, v38
	v_max_f32_e32 v21, v21, v21
	v_min_f32_e32 v39, v21, v38
	v_max_f32_e32 v21, v21, v38
	v_cndmask_b32_e64 v41, v21, v39, s[28:29]
	v_and_b32_e32 v21, 0x7f800000, v41
	v_cmp_ne_u32_e32 vcc, s87, v21
                                        ; implicit-def: $vgpr21
	s_and_saveexec_b64 s[38:39], vcc
	s_xor_b64 vcc, exec, s[38:39]
; %bb.1035:                             ;   in Loop: Header=BB10_1026 Depth=3
	v_bfe_u32 v21, v41, 16, 1
	v_add3_u32 v21, v41, v21, s88
                                        ; implicit-def: $vgpr41
; %bb.1036:                             ;   in Loop: Header=BB10_1026 Depth=3
	s_andn2_saveexec_b64 s[38:39], vcc
; %bb.1037:                             ;   in Loop: Header=BB10_1026 Depth=3
	v_or_b32_e32 v21, 0x10000, v41
	v_cmp_eq_u32_sdwa vcc, v41, v52 src0_sel:WORD_0 src1_sel:DWORD
	v_cndmask_b32_e32 v21, v21, v41, vcc
; %bb.1038:                             ;   in Loop: Header=BB10_1026 Depth=3
	s_or_b64 exec, exec, s[38:39]
	v_lshlrev_b32_e32 v23, 16, v23
	v_lshlrev_b32_e32 v38, 16, v40
	v_max_f32_e32 v38, v38, v38
	v_max_f32_e32 v23, v23, v23
	v_min_f32_e32 v39, v23, v38
	v_max_f32_e32 v23, v23, v38
	v_cndmask_b32_e64 v40, v23, v39, s[28:29]
	v_and_b32_e32 v23, 0x7f800000, v40
	v_cmp_ne_u32_e32 vcc, s87, v23
                                        ; implicit-def: $vgpr23
	s_and_saveexec_b64 s[38:39], vcc
	s_xor_b64 vcc, exec, s[38:39]
; %bb.1039:                             ;   in Loop: Header=BB10_1026 Depth=3
	v_bfe_u32 v23, v40, 16, 1
	v_add3_u32 v23, v40, v23, s88
                                        ; implicit-def: $vgpr40
; %bb.1040:                             ;   in Loop: Header=BB10_1026 Depth=3
	s_andn2_saveexec_b64 s[38:39], vcc
; %bb.1041:                             ;   in Loop: Header=BB10_1026 Depth=3
	v_or_b32_e32 v23, 0x10000, v40
	v_cmp_eq_u32_sdwa vcc, v40, v52 src0_sel:WORD_0 src1_sel:DWORD
	v_cndmask_b32_e32 v23, v23, v40, vcc
; %bb.1042:                             ;   in Loop: Header=BB10_1026 Depth=3
	s_or_b64 exec, exec, s[38:39]
	v_lshlrev_b32_e32 v27, 16, v27
	v_lshlrev_b32_e32 v38, 16, v53
	v_max_f32_e32 v38, v38, v38
	v_max_f32_e32 v27, v27, v27
	v_min_f32_e32 v39, v27, v38
	v_max_f32_e32 v27, v27, v38
	v_cndmask_b32_e64 v53, v27, v39, s[28:29]
	v_and_b32_e32 v27, 0x7f800000, v53
	v_cmp_ne_u32_e32 vcc, s87, v27
                                        ; implicit-def: $vgpr27
	s_and_saveexec_b64 s[38:39], vcc
	s_xor_b64 vcc, exec, s[38:39]
; %bb.1043:                             ;   in Loop: Header=BB10_1026 Depth=3
	v_bfe_u32 v27, v53, 16, 1
	v_add3_u32 v27, v53, v27, s88
                                        ; implicit-def: $vgpr53
; %bb.1044:                             ;   in Loop: Header=BB10_1026 Depth=3
	s_andn2_saveexec_b64 s[38:39], vcc
; %bb.1045:                             ;   in Loop: Header=BB10_1026 Depth=3
	v_or_b32_e32 v27, 0x10000, v53
	v_cmp_eq_u32_sdwa vcc, v53, v52 src0_sel:WORD_0 src1_sel:DWORD
	v_cndmask_b32_e32 v27, v27, v53, vcc
; %bb.1046:                             ;   in Loop: Header=BB10_1026 Depth=3
	s_or_b64 exec, exec, s[38:39]
	v_lshlrev_b32_e32 v22, 16, v22
	v_lshlrev_b32_e32 v26, 16, v26
	v_max_f32_e32 v26, v26, v26
	v_max_f32_e32 v22, v22, v22
	v_min_f32_e32 v38, v22, v26
	v_max_f32_e32 v22, v22, v26
	v_cndmask_b32_e64 v26, v22, v38, s[28:29]
	v_and_b32_e32 v22, 0x7f800000, v26
	v_cmp_ne_u32_e32 vcc, s87, v22
                                        ; implicit-def: $vgpr22
	s_and_saveexec_b64 s[38:39], vcc
	s_xor_b64 vcc, exec, s[38:39]
; %bb.1047:                             ;   in Loop: Header=BB10_1026 Depth=3
	v_bfe_u32 v22, v26, 16, 1
	v_add3_u32 v22, v26, v22, s88
                                        ; implicit-def: $vgpr26
; %bb.1048:                             ;   in Loop: Header=BB10_1026 Depth=3
	s_andn2_saveexec_b64 s[38:39], vcc
; %bb.1049:                             ;   in Loop: Header=BB10_1026 Depth=3
	v_or_b32_e32 v22, 0x10000, v26
	v_cmp_eq_u32_sdwa vcc, v26, v52 src0_sel:WORD_0 src1_sel:DWORD
	v_cndmask_b32_e32 v22, v22, v26, vcc
; %bb.1050:                             ;   in Loop: Header=BB10_1026 Depth=3
	s_or_b64 exec, exec, s[38:39]
	v_lshlrev_b32_e32 v19, 16, v19
	v_lshlrev_b32_e32 v20, 16, v20
	v_max_f32_e32 v20, v20, v20
	v_max_f32_e32 v19, v19, v19
	v_min_f32_e32 v26, v19, v20
	v_max_f32_e32 v19, v19, v20
	v_cndmask_b32_e64 v20, v19, v26, s[28:29]
	v_and_b32_e32 v19, 0x7f800000, v20
	v_cmp_ne_u32_e32 vcc, s87, v19
                                        ; implicit-def: $vgpr19
	s_and_saveexec_b64 s[38:39], vcc
	s_xor_b64 vcc, exec, s[38:39]
; %bb.1051:                             ;   in Loop: Header=BB10_1026 Depth=3
	v_bfe_u32 v19, v20, 16, 1
	v_add3_u32 v19, v20, v19, s88
                                        ; implicit-def: $vgpr20
; %bb.1052:                             ;   in Loop: Header=BB10_1026 Depth=3
	s_andn2_saveexec_b64 s[38:39], vcc
; %bb.1053:                             ;   in Loop: Header=BB10_1026 Depth=3
	v_or_b32_e32 v19, 0x10000, v20
	v_cmp_eq_u32_sdwa vcc, v20, v52 src0_sel:WORD_0 src1_sel:DWORD
	v_cndmask_b32_e32 v19, v19, v20, vcc
; %bb.1054:                             ;   in Loop: Header=BB10_1026 Depth=3
	s_or_b64 exec, exec, s[38:39]
	v_lshlrev_b32_e32 v16, 16, v16
	v_lshlrev_b32_e32 v17, 16, v17
	v_max_f32_e32 v17, v17, v17
	v_max_f32_e32 v16, v16, v16
	v_min_f32_e32 v20, v16, v17
	v_max_f32_e32 v16, v16, v17
	v_cndmask_b32_e64 v17, v16, v20, s[28:29]
	v_and_b32_e32 v16, 0x7f800000, v17
	v_cmp_ne_u32_e32 vcc, s87, v16
                                        ; implicit-def: $vgpr16
	s_and_saveexec_b64 s[38:39], vcc
	s_xor_b64 vcc, exec, s[38:39]
; %bb.1055:                             ;   in Loop: Header=BB10_1026 Depth=3
	v_bfe_u32 v16, v17, 16, 1
	v_add3_u32 v16, v17, v16, s88
                                        ; implicit-def: $vgpr17
; %bb.1056:                             ;   in Loop: Header=BB10_1026 Depth=3
	s_andn2_saveexec_b64 s[38:39], vcc
	s_cbranch_execz .LBB10_1025
; %bb.1057:                             ;   in Loop: Header=BB10_1026 Depth=3
	v_or_b32_e32 v16, 0x10000, v17
	v_cmp_eq_u32_sdwa vcc, v17, v52 src0_sel:WORD_0 src1_sel:DWORD
	v_cndmask_b32_e32 v16, v16, v17, vcc
	s_branch .LBB10_1025
.LBB10_1058:                            ;   in Loop: Header=BB10_627 Depth=2
	s_or_b64 exec, exec, s[36:37]
	v_mov_b32_e32 v57, 1
.LBB10_1059:                            ;   in Loop: Header=BB10_627 Depth=2
	s_or_b64 exec, exec, s[34:35]
	v_lshlrev_b32_e32 v4, 10, v14
	v_cmp_ne_u32_e32 vcc, v25, v4
	s_and_saveexec_b64 s[34:35], vcc
	s_cbranch_execz .LBB10_1067
; %bb.1060:                             ;   in Loop: Header=BB10_627 Depth=2
	v_ashrrev_i32_e32 v5, 31, v12
	v_lshrrev_b32_e32 v5, 26, v5
	v_add_u32_e32 v5, v12, v5
	v_and_b32_e32 v5, 0xffffffc0, v5
	v_sub_u32_e32 v5, v12, v5
	v_lshlrev_b32_e32 v8, 6, v13
	v_sub_u32_e32 v5, v5, v8
	v_ashrrev_i32_e32 v8, 31, v5
	v_lshrrev_b32_e32 v8, 26, v8
	v_add_u32_e32 v8, v5, v8
	v_and_b32_e32 v9, 0x7fffffc0, v8
	v_sub_u32_e32 v5, v5, v9
	v_lshlrev_b32_e32 v8, 1, v8
	v_and_b32_e32 v8, 0xffffff80, v8
	v_lshlrev_b32_e32 v5, 1, v5
	v_add3_u32 v4, v8, v5, v4
	v_sub_u32_e32 v12, v25, v4
	v_cmp_lt_i32_e32 vcc, 1, v12
	s_and_b64 exec, exec, vcc
	s_cbranch_execz .LBB10_1067
; %bb.1061:                             ;   in Loop: Header=BB10_627 Depth=2
	s_trap 2
	ds_read_b128 v[8:11], v0
	v_add_u32_e32 v0, v4, v0
	ds_read_b64 v[14:15], v0
	v_ashrrev_i32_e32 v13, 31, v0
	s_and_b32 s46, s97, 1
	s_waitcnt lgkmcnt(0)
	v_add_co_u32_e32 v4, vcc, v8, v0
	v_addc_co_u32_e32 v5, vcc, v9, v13, vcc
	v_add_co_u32_e32 v8, vcc, v10, v0
	v_addc_co_u32_e32 v9, vcc, v11, v13, vcc
	;; [unrolled: 2-line block ×3, first 2 shown]
	s_cmp_eq_u64 s[46:47], 0
	s_mov_b64 s[36:37], 0
	s_cselect_b64 vcc, -1, 0
	s_branch .LBB10_1063
.LBB10_1062:                            ;   in Loop: Header=BB10_1063 Depth=3
	s_or_b64 exec, exec, s[38:39]
	v_add_co_u32_e64 v4, s[28:29], v4, v44
	v_addc_co_u32_e64 v5, s[28:29], v5, v45, s[28:29]
	v_add_co_u32_e64 v8, s[28:29], v8, v44
	v_addc_co_u32_e64 v9, s[28:29], v9, v45, s[28:29]
	v_sub_u32_e32 v12, v12, v61
	v_cmp_gt_i32_e64 s[28:29], 2, v12
	flat_store_short_d16_hi v[10:11], v13 glc slc
	s_or_b64 s[36:37], s[28:29], s[36:37]
	v_add_co_u32_e64 v10, s[28:29], v10, v44
	v_addc_co_u32_e64 v11, s[28:29], v11, v45, s[28:29]
	s_andn2_b64 exec, exec, s[36:37]
	s_cbranch_execz .LBB10_1067
.LBB10_1063:                            ;   Parent Loop BB10_47 Depth=1
                                        ;     Parent Loop BB10_627 Depth=2
                                        ; =>    This Inner Loop Header: Depth=3
	flat_load_ushort v0, v[4:5] glc slc
	flat_load_ushort v13, v[8:9] glc slc
	s_waitcnt vmcnt(0) lgkmcnt(0)
	v_lshlrev_b32_e32 v0, 16, v0
	v_lshlrev_b32_e32 v13, 16, v13
	v_max_f32_e32 v13, v13, v13
	v_max_f32_e32 v0, v0, v0
	v_min_f32_e32 v14, v0, v13
	v_max_f32_e32 v0, v0, v13
	v_cndmask_b32_e32 v0, v0, v14, vcc
	v_and_b32_e32 v13, 0x7f800000, v0
	v_cmp_ne_u32_e64 s[28:29], s87, v13
                                        ; implicit-def: $vgpr13
	s_and_saveexec_b64 s[38:39], s[28:29]
	s_xor_b64 s[28:29], exec, s[38:39]
; %bb.1064:                             ;   in Loop: Header=BB10_1063 Depth=3
	v_bfe_u32 v13, v0, 16, 1
	v_add3_u32 v13, v0, v13, s88
                                        ; implicit-def: $vgpr0
; %bb.1065:                             ;   in Loop: Header=BB10_1063 Depth=3
	s_andn2_saveexec_b64 s[38:39], s[28:29]
	s_cbranch_execz .LBB10_1062
; %bb.1066:                             ;   in Loop: Header=BB10_1063 Depth=3
	v_or_b32_e32 v13, 0x10000, v0
	v_cmp_eq_u32_sdwa s[28:29], v0, v52 src0_sel:WORD_0 src1_sel:DWORD
	v_cndmask_b32_e64 v13, v13, v0, s[28:29]
	s_branch .LBB10_1062
.LBB10_1067:                            ;   in Loop: Header=BB10_627 Depth=2
	s_or_b64 exec, exec, s[34:35]
.LBB10_1068:                            ;   in Loop: Header=BB10_627 Depth=2
	s_or_b64 exec, exec, s[30:31]
	v_accvgpr_read_b32 v14, a3
	s_and_saveexec_b64 s[28:29], s[10:11]
	s_cbranch_execz .LBB10_703
	s_branch .LBB10_708
.LBB10_1069:                            ;   in Loop: Header=BB10_47 Depth=1
	s_or_b64 exec, exec, s[58:59]
.LBB10_1070:                            ;   in Loop: Header=BB10_47 Depth=1
	s_or_b64 exec, exec, s[56:57]
	v_cmp_gt_i32_e32 vcc, 2, v0
	s_and_saveexec_b64 s[30:31], vcc
	s_cbranch_execz .LBB10_1146
; %bb.1071:                             ;   in Loop: Header=BB10_47 Depth=1
	v_cmp_eq_u32_e64 s[28:29], 0, v0
	s_mov_b64 s[34:35], 0
	s_branch .LBB10_1073
.LBB10_1072:                            ;   in Loop: Header=BB10_1073 Depth=2
	s_or_b64 exec, exec, s[28:29]
	v_add_u32_e32 v24, v2, v24
	s_mov_b64 s[28:29], 0
	s_andn2_b64 exec, exec, s[34:35]
	s_cbranch_execz .LBB10_1145
.LBB10_1073:                            ;   Parent Loop BB10_47 Depth=1
                                        ; =>  This Loop Header: Depth=2
                                        ;       Child Loop BB10_1079 Depth 3
                                        ;       Child Loop BB10_1111 Depth 3
	;; [unrolled: 1-line block ×3, first 2 shown]
	v_and_b32_e32 v0, 12, v55
	s_mov_b64 s[38:39], -1
	v_cmp_ne_u32_e32 vcc, 0, v0
	s_and_saveexec_b64 s[36:37], vcc
	s_cbranch_execz .LBB10_1085
; %bb.1074:                             ;   in Loop: Header=BB10_1073 Depth=2
	v_and_b32_e32 v4, 8, v55
	v_add_co_u32_e32 v10, vcc, v50, v4
	v_addc_co_u32_e32 v11, vcc, 0, v51, vcc
	v_add_co_u32_e32 v8, vcc, 2, v32
	v_addc_co_u32_e32 v9, vcc, 0, v33, vcc
	v_cmp_lt_u64_e32 vcc, v[10:11], v[8:9]
	v_mov_b32_e32 v0, 1
	s_and_saveexec_b64 s[38:39], vcc
	s_cbranch_execz .LBB10_1084
; %bb.1075:                             ;   in Loop: Header=BB10_1073 Depth=2
	s_mov_b64 s[56:57], 0
	v_mov_b32_e32 v0, 0
                                        ; implicit-def: $sgpr58_sgpr59
	s_branch .LBB10_1079
.LBB10_1076:                            ;   in Loop: Header=BB10_1079 Depth=3
	s_or_b64 exec, exec, s[66:67]
	v_mov_b32_e32 v3, 0
	s_orn2_b64 s[64:65], s[64:65], exec
.LBB10_1077:                            ;   in Loop: Header=BB10_1079 Depth=3
	s_or_b64 exec, exec, s[62:63]
	s_andn2_b64 vcc, s[58:59], exec
	s_and_b64 s[58:59], s[64:65], exec
	s_or_b64 s[58:59], vcc, s[58:59]
	v_mov_b32_e32 v0, v3
.LBB10_1078:                            ;   in Loop: Header=BB10_1079 Depth=3
	s_or_b64 exec, exec, s[60:61]
	s_waitcnt vmcnt(0) lgkmcnt(0)
	v_add_co_u32_e32 v10, vcc, v50, v4
	v_addc_co_u32_e32 v11, vcc, 0, v51, vcc
	v_cmp_ge_u64_e32 vcc, v[10:11], v[8:9]
	s_xor_b64 s[60:61], s[58:59], -1
	s_or_b64 vcc, s[60:61], vcc
	s_and_b64 vcc, exec, vcc
	s_or_b64 s[56:57], vcc, s[56:57]
	s_andn2_b64 exec, exec, s[56:57]
	s_cbranch_execz .LBB10_1083
.LBB10_1079:                            ;   Parent Loop BB10_47 Depth=1
                                        ;     Parent Loop BB10_1073 Depth=2
                                        ; =>    This Inner Loop Header: Depth=3
	s_sleep 1
	flat_load_dwordx2 v[50:51], v[34:35] glc
	v_and_b32_e32 v3, 64, v55
	v_cmp_eq_u32_e32 vcc, 0, v3
	s_andn2_b64 s[58:59], s[58:59], exec
	s_and_saveexec_b64 s[60:61], vcc
	s_cbranch_execz .LBB10_1078
; %bb.1080:                             ;   in Loop: Header=BB10_1079 Depth=3
	v_add_u32_e32 v3, 1, v0
	v_cmp_lt_i32_e32 vcc, s85, v0
	s_mov_b64 s[64:65], -1
	s_and_saveexec_b64 s[62:63], vcc
	s_cbranch_execz .LBB10_1077
; %bb.1081:                             ;   in Loop: Header=BB10_1079 Depth=3
	s_trap 2
	ds_read_b64 v[10:11], v0
	s_waitcnt vmcnt(0) lgkmcnt(0)
	flat_load_dword v0, v[10:11] glc
	s_waitcnt vmcnt(0) lgkmcnt(0)
	buffer_invl2
	buffer_wbinvl1_vol
	v_cmp_ne_u32_e32 vcc, 0, v0
	s_and_saveexec_b64 s[66:67], vcc
	s_cbranch_execz .LBB10_1076
; %bb.1082:                             ;   in Loop: Header=BB10_1079 Depth=3
	v_or_b32_e32 v55, 64, v55
	s_xor_b64 s[64:65], exec, -1
	ds_write_b32 v0, v0
	s_trap 2
	s_branch .LBB10_1076
.LBB10_1083:                            ;   in Loop: Header=BB10_1073 Depth=2
	s_or_b64 exec, exec, s[56:57]
	v_and_b32_e32 v0, 12, v55
.LBB10_1084:                            ;   in Loop: Header=BB10_1073 Depth=2
	s_or_b64 exec, exec, s[38:39]
	v_cmp_eq_u32_e32 vcc, 0, v0
	s_orn2_b64 s[38:39], vcc, exec
	;;#ASMSTART
	s_wakeup
	;;#ASMEND
.LBB10_1085:                            ;   in Loop: Header=BB10_1073 Depth=2
	s_or_b64 exec, exec, s[36:37]
	s_xor_b64 s[28:29], s[28:29], -1
	s_and_b64 s[28:29], exec, s[28:29]
	s_or_b64 s[34:35], s[28:29], s[34:35]
	v_sub_u32_e32 v0, v14, v24
	s_xor_b64 s[28:29], s[38:39], -1
	v_min_i32_e32 v2, v2, v0
	s_and_saveexec_b64 s[36:37], s[28:29]
	s_cbranch_execz .LBB10_1103
; %bb.1086:                             ;   in Loop: Header=BB10_1073 Depth=2
	v_and_b32_e32 v0, 0x108, v55
	v_cmp_ne_u32_e32 vcc, s86, v0
	v_and_b32_e32 v4, 7, v32
	s_and_saveexec_b64 s[28:29], vcc
	s_xor_b64 s[28:29], exec, s[28:29]
                                        ; implicit-def: $vgpr8_vgpr9
; %bb.1087:                             ;   in Loop: Header=BB10_1073 Depth=2
	v_mov_b32_e32 v9, v52
; %bb.1088:                             ;   in Loop: Header=BB10_1073 Depth=2
	s_andn2_saveexec_b64 s[28:29], s[28:29]
	s_cbranch_execz .LBB10_1090
; %bb.1089:                             ;   in Loop: Header=BB10_1073 Depth=2
	v_ashrrev_i32_e32 v3, 31, v2
	v_mov_b32_e32 v9, v52
	v_mad_u64_u32 v[10:11], vcc, v4, 24, v[6:7]
	v_lshlrev_b64 v[12:13], 1, v[2:3]
	flat_store_dwordx2 v[10:11], v[12:13] offset:8
.LBB10_1090:                            ;   in Loop: Header=BB10_1073 Depth=2
	s_or_b64 exec, exec, s[28:29]
	v_and_b32_e32 v0, 0x100, v55
	v_cmp_ne_u32_e32 vcc, 0, v0
	s_mov_b64 s[28:29], -1
                                        ; implicit-def: $vgpr10_vgpr11
	s_and_saveexec_b64 s[38:39], vcc
	s_cbranch_execz .LBB10_1094
; %bb.1091:                             ;   in Loop: Header=BB10_1073 Depth=2
	v_mad_u64_u32 v[12:13], s[28:29], v4, 24, v[6:7]
	v_mov_b32_e32 v0, v13
	v_mad_u64_u32 v[10:11], s[28:29], v9, 24, v[0:1]
	v_mov_b32_e32 v13, v10
	flat_load_dword v0, v[12:13]
                                        ; implicit-def: $vgpr10_vgpr11
	s_waitcnt vmcnt(0) lgkmcnt(0)
	v_cmp_ne_u32_e32 vcc, 1, v0
	v_cmp_eq_u32_e64 s[28:29], 1, v0
	s_and_saveexec_b64 s[56:57], s[28:29]
	s_cbranch_execz .LBB10_1093
; %bb.1092:                             ;   in Loop: Header=BB10_1073 Depth=2
	flat_load_dword v10, v[12:13] offset:4 glc
	s_waitcnt vmcnt(0) lgkmcnt(0)
	v_ashrrev_i32_e32 v11, 31, v10
	v_lshrrev_b64 v[10:11], 1, v[10:11]
.LBB10_1093:                            ;   in Loop: Header=BB10_1073 Depth=2
	s_or_b64 exec, exec, s[56:57]
	s_orn2_b64 s[28:29], vcc, exec
.LBB10_1094:                            ;   in Loop: Header=BB10_1073 Depth=2
	s_or_b64 exec, exec, s[38:39]
	s_and_saveexec_b64 vcc, s[28:29]
; %bb.1095:                             ;   in Loop: Header=BB10_1073 Depth=2
	v_accvgpr_read_b32 v3, a15
	v_mul_lo_u32 v0, v9, v30
	v_mul_lo_u32 v3, v4, v3
	v_mad_u64_u32 v[10:11], s[28:29], v4, v30, 0
	v_add3_u32 v11, v11, v3, v0
; %bb.1096:                             ;   in Loop: Header=BB10_1073 Depth=2
	s_or_b64 exec, exec, vcc
	v_lshlrev_b64 v[4:5], 1, v[10:11]
	v_add_co_u32_e32 v4, vcc, v36, v4
	v_addc_co_u32_e32 v5, vcc, v37, v5, vcc
	s_trap 2
	ds_write_b64 v0, v[4:5]
	v_and_b32_e32 v0, 0x2000, v55
	v_cmp_ne_u32_e32 vcc, 0, v0
	s_and_saveexec_b64 s[28:29], vcc
	s_cbranch_execz .LBB10_1098
; %bb.1097:                             ;   in Loop: Header=BB10_1073 Depth=2
	ds_read_b64 v[4:5], v0 offset:584
	s_waitcnt lgkmcnt(0)
	v_add_co_u32_e32 v4, vcc, 1, v4
	v_addc_co_u32_e32 v5, vcc, 0, v5, vcc
	ds_write_b64 v0, v[4:5] offset:584
.LBB10_1098:                            ;   in Loop: Header=BB10_1073 Depth=2
	s_or_b64 exec, exec, s[28:29]
	v_add_co_u32_e32 v32, vcc, 2, v32
	v_addc_co_u32_e32 v33, vcc, 0, v33, vcc
	s_or_b64 exec, exec, s[36:37]
	s_and_saveexec_b64 s[28:29], s[10:11]
	s_cbranch_execnz .LBB10_1104
.LBB10_1099:                            ;   in Loop: Header=BB10_1073 Depth=2
	s_or_b64 exec, exec, s[28:29]
                                        ; implicit-def: $vgpr0
	s_and_saveexec_b64 s[28:29], s[22:23]
	s_xor_b64 s[28:29], exec, s[28:29]
	s_cbranch_execz .LBB10_1122
.LBB10_1100:                            ;   in Loop: Header=BB10_1073 Depth=2
	s_trap 2
	ds_read_b32 v3, v0
	v_cmp_lt_i32_e32 vcc, 0, v2
	v_and_b32_e32 v4, 16, v55
	v_and_b32_e32 v0, 16, v55
	s_waitcnt lgkmcnt(0)
	v_readfirstlane_b32 s36, v3
	s_cmp_eq_u32 s36, 0
	s_cselect_b64 s[36:37], -1, 0
	s_and_b64 s[36:37], vcc, s[36:37]
	v_cmp_ne_u32_e32 vcc, 0, v4
	s_and_b64 s[36:37], vcc, s[36:37]
	s_and_saveexec_b64 vcc, s[36:37]
	s_cbranch_execz .LBB10_1102
; %bb.1101:                             ;   in Loop: Header=BB10_1073 Depth=2
	v_mov_b32_e32 v0, 1
	s_waitcnt vmcnt(0)
	buffer_wbinvl1_vol
.LBB10_1102:                            ;   in Loop: Header=BB10_1073 Depth=2
	s_or_b64 exec, exec, vcc
	s_andn2_saveexec_b64 s[28:29], s[28:29]
	s_cbranch_execz .LBB10_1141
	s_branch .LBB10_1123
.LBB10_1103:                            ;   in Loop: Header=BB10_1073 Depth=2
	s_or_b64 exec, exec, s[36:37]
	s_and_saveexec_b64 s[28:29], s[10:11]
	s_cbranch_execz .LBB10_1099
.LBB10_1104:                            ;   in Loop: Header=BB10_1073 Depth=2
	s_and_saveexec_b64 vcc, s[48:49]
	s_xor_b64 s[36:37], exec, vcc
	s_cbranch_execz .LBB10_1119
; %bb.1105:                             ;   in Loop: Header=BB10_1073 Depth=2
	s_and_saveexec_b64 s[38:39], s[16:17]
	s_cbranch_execz .LBB10_1118
; %bb.1106:                             ;   in Loop: Header=BB10_1073 Depth=2
	s_mov_b64 s[58:59], exec
	v_mbcnt_lo_u32_b32 v0, s58, 0
	v_mbcnt_hi_u32_b32 v0, s59, v0
	v_cmp_eq_u32_e32 vcc, 0, v0
	s_waitcnt vmcnt(0) lgkmcnt(0)
	buffer_wbinvl1_vol
	s_and_saveexec_b64 s[56:57], vcc
	s_cbranch_execz .LBB10_1108
; %bb.1107:                             ;   in Loop: Header=BB10_1073 Depth=2
	s_bcnt1_i32_b64 vcc_lo, s[58:59]
	v_mov_b32_e32 v4, vcc_lo
	v_mov_b32_e32 v5, v52
	ds_add_u64 v0, v[4:5]
	s_trap 2
.LBB10_1108:                            ;   in Loop: Header=BB10_1073 Depth=2
	s_or_b64 exec, exec, s[56:57]
	s_trap 2
	ds_read_b64 v[4:5], v0
	v_add_co_u32_e32 v48, vcc, v48, v54
	v_addc_co_u32_e32 v49, vcc, 0, v49, vcc
	s_waitcnt lgkmcnt(0)
	v_cmp_lt_u64_e32 vcc, v[4:5], v[48:49]
	s_and_saveexec_b64 s[56:57], vcc
	s_cbranch_execz .LBB10_1117
; %bb.1109:                             ;   in Loop: Header=BB10_1073 Depth=2
	s_mov_b32 s46, 0
	s_mov_b64 s[58:59], 0
                                        ; implicit-def: $sgpr60_sgpr61
                                        ; implicit-def: $sgpr62_sgpr63
	s_branch .LBB10_1111
.LBB10_1110:                            ;   in Loop: Header=BB10_1111 Depth=3
	s_or_b64 exec, exec, s[66:67]
	s_and_b64 vcc, exec, vcc
	s_or_b64 s[58:59], vcc, s[58:59]
	s_andn2_b64 vcc, s[60:61], exec
	s_and_b64 s[60:61], s[62:63], exec
	s_or_b64 s[60:61], vcc, s[60:61]
	s_andn2_b64 exec, exec, s[58:59]
	s_cbranch_execz .LBB10_1115
.LBB10_1111:                            ;   Parent Loop BB10_47 Depth=1
                                        ;     Parent Loop BB10_1073 Depth=2
                                        ; =>    This Inner Loop Header: Depth=3
	s_add_i32 s46, s46, 1
	s_cmpk_lg_i32 s46, 0x2710
	s_cselect_b64 s[64:65], -1, 0
	s_and_b64 vcc, exec, s[64:65]
                                        ; implicit-def: $sgpr66_sgpr67
	s_cbranch_vccnz .LBB10_1113
; %bb.1112:                             ;   in Loop: Header=BB10_1111 Depth=3
	s_trap 2
	ds_read_b64 v[4:5], v0
	s_andn2_b64 s[64:65], s[64:65], exec
	s_mov_b32 s46, 0
	s_mov_b64 s[66:67], -1
	s_waitcnt lgkmcnt(0)
	flat_load_dword v0, v[4:5] glc
	s_waitcnt vmcnt(0) lgkmcnt(0)
	buffer_invl2
	buffer_wbinvl1_vol
	v_cmp_eq_u32_e32 vcc, 0, v0
	s_and_b64 vcc, vcc, exec
	s_or_b64 s[64:65], s[64:65], vcc
.LBB10_1113:                            ;   in Loop: Header=BB10_1111 Depth=3
	s_andn2_b64 s[62:63], s[62:63], exec
	s_and_b64 s[66:67], s[66:67], exec
	s_mov_b64 vcc, -1
	s_or_b64 s[62:63], s[62:63], s[66:67]
	s_and_saveexec_b64 s[66:67], s[64:65]
	s_cbranch_execz .LBB10_1110
; %bb.1114:                             ;   in Loop: Header=BB10_1111 Depth=3
	s_sleep 1
	s_trap 2
	ds_read_b64 v[4:5], v0
	s_andn2_b64 s[62:63], s[62:63], exec
	s_waitcnt lgkmcnt(0)
	v_cmp_ge_u64_e32 vcc, v[4:5], v[48:49]
	s_orn2_b64 vcc, vcc, exec
	s_branch .LBB10_1110
.LBB10_1115:                            ;   in Loop: Header=BB10_1073 Depth=2
	s_or_b64 exec, exec, s[58:59]
	s_and_saveexec_b64 vcc, s[60:61]
	s_xor_b64 vcc, exec, vcc
	s_cbranch_execz .LBB10_1117
; %bb.1116:                             ;   in Loop: Header=BB10_1073 Depth=2
	ds_write_b32 v0, v57
	s_trap 2
.LBB10_1117:                            ;   in Loop: Header=BB10_1073 Depth=2
	s_or_b64 exec, exec, s[56:57]
	;;#ASMSTART
	s_wakeup
	;;#ASMEND
.LBB10_1118:                            ;   in Loop: Header=BB10_1073 Depth=2
	s_or_b64 exec, exec, s[38:39]
.LBB10_1119:                            ;   in Loop: Header=BB10_1073 Depth=2
	s_andn2_saveexec_b64 vcc, s[36:37]
	s_cbranch_execz .LBB10_1121
; %bb.1120:                             ;   in Loop: Header=BB10_1073 Depth=2
	s_waitcnt vmcnt(0) lgkmcnt(0)
	buffer_wbinvl1_vol
	s_barrier
.LBB10_1121:                            ;   in Loop: Header=BB10_1073 Depth=2
	s_or_b64 exec, exec, vcc
	s_or_b64 exec, exec, s[28:29]
                                        ; implicit-def: $vgpr0
	s_and_saveexec_b64 s[28:29], s[22:23]
	s_xor_b64 s[28:29], exec, s[28:29]
	s_cbranch_execnz .LBB10_1100
.LBB10_1122:                            ;   in Loop: Header=BB10_1073 Depth=2
	s_andn2_saveexec_b64 s[28:29], s[28:29]
	s_cbranch_execz .LBB10_1141
.LBB10_1123:                            ;   in Loop: Header=BB10_1073 Depth=2
	s_and_saveexec_b64 vcc, s[48:49]
	s_xor_b64 s[36:37], exec, vcc
	s_cbranch_execz .LBB10_1138
; %bb.1124:                             ;   in Loop: Header=BB10_1073 Depth=2
	s_and_saveexec_b64 s[38:39], s[16:17]
	s_cbranch_execz .LBB10_1137
; %bb.1125:                             ;   in Loop: Header=BB10_1073 Depth=2
	s_mov_b64 s[58:59], exec
	v_mbcnt_lo_u32_b32 v0, s58, 0
	v_mbcnt_hi_u32_b32 v0, s59, v0
	v_cmp_eq_u32_e32 vcc, 0, v0
	;;#ASMSTART
	s_waitcnt lgkmcnt(0) vmcnt(0)
	;;#ASMEND
	s_and_saveexec_b64 s[56:57], vcc
	s_cbranch_execz .LBB10_1127
; %bb.1126:                             ;   in Loop: Header=BB10_1073 Depth=2
	s_bcnt1_i32_b64 vcc_lo, s[58:59]
	v_mov_b32_e32 v4, vcc_lo
	v_mov_b32_e32 v5, v52
	ds_add_u64 v0, v[4:5]
	s_trap 2
.LBB10_1127:                            ;   in Loop: Header=BB10_1073 Depth=2
	s_or_b64 exec, exec, s[56:57]
	s_trap 2
	ds_read_b64 v[4:5], v0
	v_add_co_u32_e32 v48, vcc, v48, v54
	v_addc_co_u32_e32 v49, vcc, 0, v49, vcc
	s_waitcnt lgkmcnt(0)
	v_cmp_lt_u64_e32 vcc, v[4:5], v[48:49]
	s_and_saveexec_b64 s[56:57], vcc
	s_cbranch_execz .LBB10_1136
; %bb.1128:                             ;   in Loop: Header=BB10_1073 Depth=2
	s_mov_b32 s46, 0
	s_mov_b64 s[58:59], 0
                                        ; implicit-def: $sgpr60_sgpr61
                                        ; implicit-def: $sgpr62_sgpr63
	s_branch .LBB10_1130
.LBB10_1129:                            ;   in Loop: Header=BB10_1130 Depth=3
	s_or_b64 exec, exec, s[66:67]
	s_and_b64 vcc, exec, vcc
	s_or_b64 s[58:59], vcc, s[58:59]
	s_andn2_b64 vcc, s[60:61], exec
	s_and_b64 s[60:61], s[62:63], exec
	s_or_b64 s[60:61], vcc, s[60:61]
	s_andn2_b64 exec, exec, s[58:59]
	s_cbranch_execz .LBB10_1134
.LBB10_1130:                            ;   Parent Loop BB10_47 Depth=1
                                        ;     Parent Loop BB10_1073 Depth=2
                                        ; =>    This Inner Loop Header: Depth=3
	s_add_i32 s46, s46, 1
	s_cmpk_lg_i32 s46, 0x2710
	s_cselect_b64 s[64:65], -1, 0
	s_and_b64 vcc, exec, s[64:65]
                                        ; implicit-def: $sgpr66_sgpr67
	s_cbranch_vccnz .LBB10_1132
; %bb.1131:                             ;   in Loop: Header=BB10_1130 Depth=3
	s_trap 2
	ds_read_b64 v[4:5], v0
	s_andn2_b64 s[64:65], s[64:65], exec
	s_mov_b32 s46, 0
	s_mov_b64 s[66:67], -1
	s_waitcnt vmcnt(0) lgkmcnt(0)
	flat_load_dword v0, v[4:5] glc
	s_waitcnt vmcnt(0) lgkmcnt(0)
	buffer_invl2
	buffer_wbinvl1_vol
	v_cmp_eq_u32_e32 vcc, 0, v0
	s_and_b64 vcc, vcc, exec
	s_or_b64 s[64:65], s[64:65], vcc
.LBB10_1132:                            ;   in Loop: Header=BB10_1130 Depth=3
	s_andn2_b64 s[62:63], s[62:63], exec
	s_and_b64 s[66:67], s[66:67], exec
	s_mov_b64 vcc, -1
	s_or_b64 s[62:63], s[62:63], s[66:67]
	s_and_saveexec_b64 s[66:67], s[64:65]
	s_cbranch_execz .LBB10_1129
; %bb.1133:                             ;   in Loop: Header=BB10_1130 Depth=3
	s_sleep 1
	s_trap 2
	ds_read_b64 v[4:5], v0
	s_andn2_b64 s[62:63], s[62:63], exec
	s_waitcnt lgkmcnt(0)
	v_cmp_ge_u64_e32 vcc, v[4:5], v[48:49]
	s_orn2_b64 vcc, vcc, exec
	s_branch .LBB10_1129
.LBB10_1134:                            ;   in Loop: Header=BB10_1073 Depth=2
	s_or_b64 exec, exec, s[58:59]
	s_and_saveexec_b64 vcc, s[60:61]
	s_xor_b64 vcc, exec, vcc
	s_cbranch_execz .LBB10_1136
; %bb.1135:                             ;   in Loop: Header=BB10_1073 Depth=2
	ds_write_b32 v0, v57
	s_trap 2
.LBB10_1136:                            ;   in Loop: Header=BB10_1073 Depth=2
	s_or_b64 exec, exec, s[56:57]
	;;#ASMSTART
	s_wakeup
	;;#ASMEND
.LBB10_1137:                            ;   in Loop: Header=BB10_1073 Depth=2
	s_or_b64 exec, exec, s[38:39]
.LBB10_1138:                            ;   in Loop: Header=BB10_1073 Depth=2
	s_andn2_saveexec_b64 vcc, s[36:37]
	s_cbranch_execz .LBB10_1140
; %bb.1139:                             ;   in Loop: Header=BB10_1073 Depth=2
	;;#ASMSTART
	s_waitcnt lgkmcnt(0) vmcnt(0)
	;;#ASMEND
	s_barrier
.LBB10_1140:                            ;   in Loop: Header=BB10_1073 Depth=2
	s_or_b64 exec, exec, vcc
	v_and_b32_e32 v0, 16, v55
.LBB10_1141:                            ;   in Loop: Header=BB10_1073 Depth=2
	s_or_b64 exec, exec, s[28:29]
	v_cmp_ne_u32_e32 vcc, 0, v0
	s_xor_b64 s[28:29], s[12:13], -1
	s_and_b64 vcc, vcc, s[28:29]
	s_and_saveexec_b64 s[28:29], vcc
	s_cbranch_execz .LBB10_1143
; %bb.1142:                             ;   in Loop: Header=BB10_1073 Depth=2
	flat_store_dword v[58:59], v57
.LBB10_1143:                            ;   in Loop: Header=BB10_1073 Depth=2
	s_or_b64 exec, exec, s[28:29]
	v_and_b32_e32 v0, 48, v55
	v_cmp_ne_u32_e32 vcc, 0, v0
	s_and_saveexec_b64 s[28:29], vcc
	s_cbranch_execz .LBB10_1072
; %bb.1144:                             ;   in Loop: Header=BB10_1073 Depth=2
	v_add_co_u32_e32 v32, vcc, 2, v32
	v_addc_co_u32_e32 v33, vcc, 0, v33, vcc
	flat_store_dwordx2 v[34:35], v[32:33]
	s_branch .LBB10_1072
.LBB10_1145:                            ;   in Loop: Header=BB10_47 Depth=1
	s_or_b64 exec, exec, s[34:35]
.LBB10_1146:                            ;   in Loop: Header=BB10_47 Depth=1
	s_or_b64 exec, exec, s[30:31]
	v_accvgpr_read_b32 v25, a17
	s_and_b64 vcc, exec, s[26:27]
	v_accvgpr_read_b32 v24, a16
	s_cbranch_vccnz .LBB10_1407
; %bb.1147:                             ;   in Loop: Header=BB10_47 Depth=1
	s_mov_b32 s46, 1
.LBB10_1148:                            ;   Parent Loop BB10_47 Depth=1
                                        ; =>  This Loop Header: Depth=2
                                        ;       Child Loop BB10_1151 Depth 3
                                        ;         Child Loop BB10_1159 Depth 4
                                        ;         Child Loop BB10_1187 Depth 4
	;; [unrolled: 1-line block ×9, first 2 shown]
                                        ;           Child Loop BB10_1247 Depth 5
                                        ;         Child Loop BB10_1256 Depth 4
                                        ;         Child Loop BB10_1261 Depth 4
                                        ;           Child Loop BB10_1262 Depth 5
                                        ;         Child Loop BB10_1234 Depth 4
                                        ;         Child Loop BB10_1313 Depth 4
                                        ;       Child Loop BB10_1331 Depth 3
                                        ;         Child Loop BB10_1337 Depth 4
                                        ;         Child Loop BB10_1369 Depth 4
	;; [unrolled: 1-line block ×3, first 2 shown]
	s_sub_i32 s26, s78, s46
	s_cmp_le_i32 s72, s26
	s_cselect_b32 s27, s72, 0
	s_sub_i32 s26, s26, s27
	v_accvgpr_read_b32 v8, a30
	s_ashr_i32 s27, s26, 31
	v_accvgpr_read_b32 v9, a31
	v_mul_lo_u32 v0, v8, s27
	v_mul_lo_u32 v4, v9, s26
	v_mad_u64_u32 v[2:3], s[26:27], v8, s26, 0
	v_add3_u32 v3, v3, v0, v4
	v_accvgpr_read_b32 v4, a32
	v_accvgpr_read_b32 v5, a33
	v_sub_co_u32_e32 v4, vcc, v4, v2
	v_subb_co_u32_e32 v5, vcc, v5, v3, vcc
	v_cmp_lt_i64_e32 vcc, v[8:9], v[4:5]
	v_cndmask_b32_e32 v0, v4, v8, vcc
	v_max_i32_e32 v53, 0, v0
	v_add_u32_e32 v4, 31, v53
	v_lshrrev_b32_e32 v4, 1, v4
	v_and_b32_e32 v4, 0x3ffffff0, v4
	v_cmp_lt_i32_e32 vcc, 0, v0
	v_max_i32_e32 v14, s81, v4
	s_and_b64 s[26:27], s[54:55], vcc
	v_mov_b32_e32 v0, 0
	v_mov_b32_e32 v16, 0
	s_and_saveexec_b64 s[36:37], s[26:27]
	s_cbranch_execz .LBB10_1328
; %bb.1149:                             ;   in Loop: Header=BB10_1148 Depth=2
	v_accvgpr_read_b32 v4, a34
	v_accvgpr_read_b32 v5, a35
	v_add_co_u32_e32 v2, vcc, v2, v4
	v_addc_co_u32_e32 v3, vcc, v3, v5, vcc
	s_mov_b32 s68, 1
	s_mov_b64 s[56:57], -1
	s_mov_b64 s[38:39], 0
	v_mov_b32_e32 v16, 0
	v_lshlrev_b64 v[26:27], 1, v[2:3]
	s_branch .LBB10_1151
.LBB10_1150:                            ;   in Loop: Header=BB10_1151 Depth=3
	s_or_b64 exec, exec, s[26:27]
	v_add_u32_e32 v16, v14, v16
	v_cmp_ge_i32_e32 vcc, v16, v53
	s_xor_b64 s[26:27], s[56:57], -1
	s_or_b64 s[26:27], s[26:27], vcc
	s_and_b64 s[26:27], exec, s[26:27]
	s_or_b64 s[38:39], s[26:27], s[38:39]
	s_mov_b64 s[56:57], 0
	v_mov_b32_e32 v0, s68
	s_mov_b32 s68, 2
	s_andn2_b64 exec, exec, s[38:39]
	s_cbranch_execz .LBB10_1403
.LBB10_1151:                            ;   Parent Loop BB10_47 Depth=1
                                        ;     Parent Loop BB10_1148 Depth=2
                                        ; =>    This Loop Header: Depth=3
                                        ;         Child Loop BB10_1159 Depth 4
                                        ;         Child Loop BB10_1187 Depth 4
	;; [unrolled: 1-line block ×9, first 2 shown]
                                        ;           Child Loop BB10_1247 Depth 5
                                        ;         Child Loop BB10_1256 Depth 4
                                        ;         Child Loop BB10_1261 Depth 4
                                        ;           Child Loop BB10_1262 Depth 5
                                        ;         Child Loop BB10_1234 Depth 4
                                        ;         Child Loop BB10_1313 Depth 4
	s_and_saveexec_b64 s[26:27], s[4:5]
	s_cbranch_execz .LBB10_1153
; %bb.1152:                             ;   in Loop: Header=BB10_1151 Depth=3
	s_trap 2
	ds_read_b128 v[2:5], v0
	v_ashrrev_i32_e32 v17, 31, v16
	s_waitcnt lgkmcnt(0)
	v_add_co_u32_e32 v0, vcc, v2, v26
	v_addc_co_u32_e32 v9, vcc, v3, v27, vcc
	v_lshlrev_b64 v[2:3], 1, v[16:17]
	v_add_co_u32_e32 v8, vcc, v0, v2
	v_addc_co_u32_e32 v9, vcc, v9, v3, vcc
	ds_write_b64 v0, v[8:9]
	v_add_co_u32_e32 v0, vcc, v4, v26
	v_addc_co_u32_e32 v8, vcc, v5, v27, vcc
	v_add_co_u32_e32 v0, vcc, v0, v2
	v_addc_co_u32_e32 v2, vcc, v8, v3, vcc
	v_cmp_ne_u64_e32 vcc, 0, v[4:5]
	v_cndmask_b32_e32 v3, 0, v2, vcc
	v_cndmask_b32_e32 v2, 0, v0, vcc
	ds_write_b64 v0, v[2:3]
.LBB10_1153:                            ;   in Loop: Header=BB10_1151 Depth=3
	s_or_b64 exec, exec, s[26:27]
	v_and_b32_e32 v0, 12, v55
	v_cmp_ne_u32_e32 vcc, 0, v0
	s_mov_b64 s[28:29], -1
	s_and_saveexec_b64 s[26:27], vcc
	s_cbranch_execz .LBB10_1165
; %bb.1154:                             ;   in Loop: Header=BB10_1151 Depth=3
	v_and_b32_e32 v2, 8, v55
	v_add_co_u32_e32 v8, vcc, v50, v2
	v_addc_co_u32_e32 v9, vcc, 0, v51, vcc
	v_add_co_u32_e32 v4, vcc, 2, v32
	v_addc_co_u32_e32 v5, vcc, 0, v33, vcc
	v_cmp_lt_u64_e32 vcc, v[8:9], v[4:5]
	v_mov_b32_e32 v0, 1
	s_and_saveexec_b64 s[28:29], vcc
	s_cbranch_execz .LBB10_1164
; %bb.1155:                             ;   in Loop: Header=BB10_1151 Depth=3
	s_mov_b64 s[30:31], 0
	v_mov_b32_e32 v0, 0
                                        ; implicit-def: $sgpr34_sgpr35
	s_branch .LBB10_1159
.LBB10_1156:                            ;   in Loop: Header=BB10_1159 Depth=4
	s_or_b64 exec, exec, s[64:65]
	v_mov_b32_e32 v3, 0
	s_orn2_b64 s[62:63], s[62:63], exec
.LBB10_1157:                            ;   in Loop: Header=BB10_1159 Depth=4
	s_or_b64 exec, exec, s[60:61]
	s_andn2_b64 vcc, s[34:35], exec
	s_and_b64 s[34:35], s[62:63], exec
	s_or_b64 s[34:35], vcc, s[34:35]
	v_mov_b32_e32 v0, v3
.LBB10_1158:                            ;   in Loop: Header=BB10_1159 Depth=4
	s_or_b64 exec, exec, s[58:59]
	s_waitcnt vmcnt(0) lgkmcnt(0)
	v_add_co_u32_e32 v8, vcc, v50, v2
	v_addc_co_u32_e32 v9, vcc, 0, v51, vcc
	v_cmp_ge_u64_e32 vcc, v[8:9], v[4:5]
	s_xor_b64 s[58:59], s[34:35], -1
	s_or_b64 vcc, s[58:59], vcc
	s_and_b64 vcc, exec, vcc
	s_or_b64 s[30:31], vcc, s[30:31]
	s_andn2_b64 exec, exec, s[30:31]
	s_cbranch_execz .LBB10_1163
.LBB10_1159:                            ;   Parent Loop BB10_47 Depth=1
                                        ;     Parent Loop BB10_1148 Depth=2
                                        ;       Parent Loop BB10_1151 Depth=3
                                        ; =>      This Inner Loop Header: Depth=4
	s_sleep 1
	flat_load_dwordx2 v[50:51], v[34:35] glc
	v_and_b32_e32 v3, 64, v55
	v_cmp_eq_u32_e32 vcc, 0, v3
	s_andn2_b64 s[34:35], s[34:35], exec
	s_and_saveexec_b64 s[58:59], vcc
	s_cbranch_execz .LBB10_1158
; %bb.1160:                             ;   in Loop: Header=BB10_1159 Depth=4
	v_add_u32_e32 v3, 1, v0
	v_cmp_lt_i32_e32 vcc, s85, v0
	s_mov_b64 s[62:63], -1
	s_and_saveexec_b64 s[60:61], vcc
	s_cbranch_execz .LBB10_1157
; %bb.1161:                             ;   in Loop: Header=BB10_1159 Depth=4
	s_trap 2
	ds_read_b64 v[8:9], v0
	s_waitcnt vmcnt(0) lgkmcnt(0)
	flat_load_dword v0, v[8:9] glc
	s_waitcnt vmcnt(0) lgkmcnt(0)
	buffer_invl2
	buffer_wbinvl1_vol
	v_cmp_ne_u32_e32 vcc, 0, v0
	s_and_saveexec_b64 s[64:65], vcc
	s_cbranch_execz .LBB10_1156
; %bb.1162:                             ;   in Loop: Header=BB10_1159 Depth=4
	v_or_b32_e32 v55, 64, v55
	s_xor_b64 s[62:63], exec, -1
	ds_write_b32 v0, v0
	s_trap 2
	s_branch .LBB10_1156
.LBB10_1163:                            ;   in Loop: Header=BB10_1151 Depth=3
	s_or_b64 exec, exec, s[30:31]
	v_and_b32_e32 v0, 12, v55
.LBB10_1164:                            ;   in Loop: Header=BB10_1151 Depth=3
	s_or_b64 exec, exec, s[28:29]
	v_cmp_eq_u32_e32 vcc, 0, v0
	s_orn2_b64 s[28:29], vcc, exec
	;;#ASMSTART
	s_wakeup
	;;#ASMEND
.LBB10_1165:                            ;   in Loop: Header=BB10_1151 Depth=3
	s_or_b64 exec, exec, s[26:27]
	v_sub_u32_e32 v0, v53, v16
	s_xor_b64 s[26:27], s[28:29], -1
	v_min_i32_e32 v14, v14, v0
	s_and_saveexec_b64 s[28:29], s[26:27]
	s_cbranch_execz .LBB10_1179
; %bb.1166:                             ;   in Loop: Header=BB10_1151 Depth=3
	v_and_b32_e32 v0, 0x108, v55
	v_cmp_ne_u32_e32 vcc, s86, v0
	v_and_b32_e32 v2, 7, v32
	s_and_saveexec_b64 s[26:27], vcc
	s_xor_b64 s[26:27], exec, s[26:27]
                                        ; implicit-def: $vgpr4_vgpr5
; %bb.1167:                             ;   in Loop: Header=BB10_1151 Depth=3
	v_mov_b32_e32 v5, v52
; %bb.1168:                             ;   in Loop: Header=BB10_1151 Depth=3
	s_andn2_saveexec_b64 s[26:27], s[26:27]
	s_cbranch_execz .LBB10_1170
; %bb.1169:                             ;   in Loop: Header=BB10_1151 Depth=3
	v_ashrrev_i32_e32 v15, 31, v14
	v_mov_b32_e32 v5, v52
	v_mad_u64_u32 v[8:9], vcc, v2, 24, v[6:7]
	v_lshlrev_b64 v[10:11], 1, v[14:15]
	flat_store_dwordx2 v[8:9], v[10:11] offset:8
.LBB10_1170:                            ;   in Loop: Header=BB10_1151 Depth=3
	s_or_b64 exec, exec, s[26:27]
	v_and_b32_e32 v0, 0x100, v55
	v_cmp_ne_u32_e32 vcc, 0, v0
	s_mov_b64 s[26:27], -1
                                        ; implicit-def: $vgpr8_vgpr9
	s_and_saveexec_b64 s[30:31], vcc
	s_cbranch_execz .LBB10_1174
; %bb.1171:                             ;   in Loop: Header=BB10_1151 Depth=3
	v_mad_u64_u32 v[10:11], s[26:27], v2, 24, v[6:7]
	v_mov_b32_e32 v0, v11
	v_mad_u64_u32 v[8:9], s[26:27], v5, 24, v[0:1]
	v_mov_b32_e32 v11, v8
	flat_load_dword v0, v[10:11]
                                        ; implicit-def: $vgpr8_vgpr9
	s_waitcnt vmcnt(0) lgkmcnt(0)
	v_cmp_ne_u32_e32 vcc, 1, v0
	v_cmp_eq_u32_e64 s[26:27], 1, v0
	s_and_saveexec_b64 s[34:35], s[26:27]
	s_cbranch_execz .LBB10_1173
; %bb.1172:                             ;   in Loop: Header=BB10_1151 Depth=3
	flat_load_dword v8, v[10:11] offset:4 glc
	s_waitcnt vmcnt(0) lgkmcnt(0)
	v_ashrrev_i32_e32 v9, 31, v8
	v_lshrrev_b64 v[8:9], 1, v[8:9]
.LBB10_1173:                            ;   in Loop: Header=BB10_1151 Depth=3
	s_or_b64 exec, exec, s[34:35]
	s_orn2_b64 s[26:27], vcc, exec
.LBB10_1174:                            ;   in Loop: Header=BB10_1151 Depth=3
	s_or_b64 exec, exec, s[30:31]
	s_and_saveexec_b64 vcc, s[26:27]
; %bb.1175:                             ;   in Loop: Header=BB10_1151 Depth=3
	v_accvgpr_read_b32 v3, a15
	v_mul_lo_u32 v0, v5, v30
	v_mul_lo_u32 v3, v2, v3
	v_mad_u64_u32 v[8:9], s[26:27], v2, v30, 0
	v_add3_u32 v9, v9, v3, v0
; %bb.1176:                             ;   in Loop: Header=BB10_1151 Depth=3
	s_or_b64 exec, exec, vcc
	v_lshlrev_b64 v[2:3], 1, v[8:9]
	v_add_co_u32_e32 v2, vcc, v36, v2
	v_addc_co_u32_e32 v3, vcc, v37, v3, vcc
	s_trap 2
	ds_write_b64 v0, v[2:3]
	v_and_b32_e32 v0, 0x2000, v55
	v_cmp_ne_u32_e32 vcc, 0, v0
	s_and_saveexec_b64 s[26:27], vcc
	s_cbranch_execz .LBB10_1178
; %bb.1177:                             ;   in Loop: Header=BB10_1151 Depth=3
	ds_read_b64 v[2:3], v0 offset:584
	s_waitcnt lgkmcnt(0)
	v_add_co_u32_e32 v2, vcc, 1, v2
	v_addc_co_u32_e32 v3, vcc, 0, v3, vcc
	ds_write_b64 v0, v[2:3] offset:584
.LBB10_1178:                            ;   in Loop: Header=BB10_1151 Depth=3
	s_or_b64 exec, exec, s[26:27]
	v_add_co_u32_e32 v32, vcc, 2, v32
	v_addc_co_u32_e32 v33, vcc, 0, v33, vcc
.LBB10_1179:                            ;   in Loop: Header=BB10_1151 Depth=3
	s_or_b64 exec, exec, s[28:29]
	s_and_saveexec_b64 s[26:27], s[10:11]
	s_cbranch_execz .LBB10_1198
; %bb.1180:                             ;   in Loop: Header=BB10_1151 Depth=3
	s_and_saveexec_b64 s[28:29], s[48:49]
	s_xor_b64 s[28:29], exec, s[28:29]
	s_cbranch_execz .LBB10_1195
; %bb.1181:                             ;   in Loop: Header=BB10_1151 Depth=3
	s_and_saveexec_b64 s[30:31], s[16:17]
	s_cbranch_execz .LBB10_1194
; %bb.1182:                             ;   in Loop: Header=BB10_1151 Depth=3
	s_mov_b64 s[58:59], exec
	v_mbcnt_lo_u32_b32 v0, s58, 0
	v_mbcnt_hi_u32_b32 v0, s59, v0
	v_cmp_eq_u32_e32 vcc, 0, v0
	s_waitcnt vmcnt(0) lgkmcnt(0)
	buffer_wbinvl1_vol
	s_and_saveexec_b64 s[34:35], vcc
	s_cbranch_execz .LBB10_1184
; %bb.1183:                             ;   in Loop: Header=BB10_1151 Depth=3
	s_bcnt1_i32_b64 vcc_lo, s[58:59]
	v_mov_b32_e32 v2, vcc_lo
	v_mov_b32_e32 v3, v52
	ds_add_u64 v0, v[2:3]
	s_trap 2
.LBB10_1184:                            ;   in Loop: Header=BB10_1151 Depth=3
	s_or_b64 exec, exec, s[34:35]
	s_trap 2
	ds_read_b64 v[2:3], v0
	v_add_co_u32_e32 v48, vcc, v48, v54
	v_addc_co_u32_e32 v49, vcc, 0, v49, vcc
	s_waitcnt lgkmcnt(0)
	v_cmp_lt_u64_e32 vcc, v[2:3], v[48:49]
	s_and_saveexec_b64 s[34:35], vcc
	s_cbranch_execz .LBB10_1193
; %bb.1185:                             ;   in Loop: Header=BB10_1151 Depth=3
	s_mov_b32 s69, 0
	s_mov_b64 s[58:59], 0
                                        ; implicit-def: $sgpr60_sgpr61
                                        ; implicit-def: $sgpr62_sgpr63
	s_branch .LBB10_1187
.LBB10_1186:                            ;   in Loop: Header=BB10_1187 Depth=4
	s_or_b64 exec, exec, s[66:67]
	s_and_b64 vcc, exec, vcc
	s_or_b64 s[58:59], vcc, s[58:59]
	s_andn2_b64 vcc, s[60:61], exec
	s_and_b64 s[60:61], s[62:63], exec
	s_or_b64 s[60:61], vcc, s[60:61]
	s_andn2_b64 exec, exec, s[58:59]
	s_cbranch_execz .LBB10_1191
.LBB10_1187:                            ;   Parent Loop BB10_47 Depth=1
                                        ;     Parent Loop BB10_1148 Depth=2
                                        ;       Parent Loop BB10_1151 Depth=3
                                        ; =>      This Inner Loop Header: Depth=4
	s_add_i32 s69, s69, 1
	s_cmpk_lg_i32 s69, 0x2710
	s_cselect_b64 s[64:65], -1, 0
	s_and_b64 vcc, exec, s[64:65]
                                        ; implicit-def: $sgpr66_sgpr67
	s_cbranch_vccnz .LBB10_1189
; %bb.1188:                             ;   in Loop: Header=BB10_1187 Depth=4
	s_trap 2
	ds_read_b64 v[2:3], v0
	s_andn2_b64 s[64:65], s[64:65], exec
	s_mov_b32 s69, 0
	s_mov_b64 s[66:67], -1
	s_waitcnt lgkmcnt(0)
	flat_load_dword v0, v[2:3] glc
	s_waitcnt vmcnt(0) lgkmcnt(0)
	buffer_invl2
	buffer_wbinvl1_vol
	v_cmp_eq_u32_e32 vcc, 0, v0
	s_and_b64 vcc, vcc, exec
	s_or_b64 s[64:65], s[64:65], vcc
.LBB10_1189:                            ;   in Loop: Header=BB10_1187 Depth=4
	s_andn2_b64 s[62:63], s[62:63], exec
	s_and_b64 s[66:67], s[66:67], exec
	s_mov_b64 vcc, -1
	s_or_b64 s[62:63], s[62:63], s[66:67]
	s_and_saveexec_b64 s[66:67], s[64:65]
	s_cbranch_execz .LBB10_1186
; %bb.1190:                             ;   in Loop: Header=BB10_1187 Depth=4
	s_sleep 1
	s_trap 2
	ds_read_b64 v[2:3], v0
	s_andn2_b64 s[62:63], s[62:63], exec
	s_waitcnt lgkmcnt(0)
	v_cmp_ge_u64_e32 vcc, v[2:3], v[48:49]
	s_orn2_b64 vcc, vcc, exec
	s_branch .LBB10_1186
.LBB10_1191:                            ;   in Loop: Header=BB10_1151 Depth=3
	s_or_b64 exec, exec, s[58:59]
	s_and_saveexec_b64 vcc, s[60:61]
	s_xor_b64 vcc, exec, vcc
	s_cbranch_execz .LBB10_1193
; %bb.1192:                             ;   in Loop: Header=BB10_1151 Depth=3
	ds_write_b32 v0, v57
	s_trap 2
.LBB10_1193:                            ;   in Loop: Header=BB10_1151 Depth=3
	s_or_b64 exec, exec, s[34:35]
	;;#ASMSTART
	s_wakeup
	;;#ASMEND
.LBB10_1194:                            ;   in Loop: Header=BB10_1151 Depth=3
	s_or_b64 exec, exec, s[30:31]
.LBB10_1195:                            ;   in Loop: Header=BB10_1151 Depth=3
	s_andn2_saveexec_b64 s[28:29], s[28:29]
	s_cbranch_execz .LBB10_1197
; %bb.1196:                             ;   in Loop: Header=BB10_1151 Depth=3
	s_waitcnt vmcnt(0) lgkmcnt(0)
	buffer_wbinvl1_vol
	s_barrier
.LBB10_1197:                            ;   in Loop: Header=BB10_1151 Depth=3
	s_or_b64 exec, exec, s[28:29]
.LBB10_1198:                            ;   in Loop: Header=BB10_1151 Depth=3
	s_or_b64 exec, exec, s[26:27]
	s_trap 2
	ds_read_b32 v0, v0
	v_and_b32_e32 v2, 0x4000, v55
	v_cmp_ne_u32_e32 vcc, 0, v2
	s_xor_b64 s[26:27], s[6:7], -1
	s_and_b64 s[28:29], s[26:27], vcc
	s_and_saveexec_b64 s[26:27], s[28:29]
	s_cbranch_execz .LBB10_1217
; %bb.1199:                             ;   in Loop: Header=BB10_1151 Depth=3
	s_and_saveexec_b64 s[28:29], s[48:49]
	s_xor_b64 s[28:29], exec, s[28:29]
	s_cbranch_execz .LBB10_1214
; %bb.1200:                             ;   in Loop: Header=BB10_1151 Depth=3
	s_and_saveexec_b64 s[30:31], s[16:17]
	s_cbranch_execz .LBB10_1213
; %bb.1201:                             ;   in Loop: Header=BB10_1151 Depth=3
	s_mov_b64 s[58:59], exec
	v_mbcnt_lo_u32_b32 v2, s58, 0
	v_mbcnt_hi_u32_b32 v2, s59, v2
	v_cmp_eq_u32_e32 vcc, 0, v2
	s_waitcnt vmcnt(0) lgkmcnt(0)
	buffer_wbinvl1_vol
	s_and_saveexec_b64 s[34:35], vcc
	s_cbranch_execz .LBB10_1203
; %bb.1202:                             ;   in Loop: Header=BB10_1151 Depth=3
	s_bcnt1_i32_b64 vcc_lo, s[58:59]
	v_mov_b32_e32 v2, vcc_lo
	v_mov_b32_e32 v3, v52
	ds_add_u64 v0, v[2:3]
	s_trap 2
.LBB10_1203:                            ;   in Loop: Header=BB10_1151 Depth=3
	s_or_b64 exec, exec, s[34:35]
	s_trap 2
	ds_read_b64 v[2:3], v0
	v_add_co_u32_e32 v48, vcc, v48, v54
	v_addc_co_u32_e32 v49, vcc, 0, v49, vcc
	s_waitcnt lgkmcnt(0)
	v_cmp_lt_u64_e32 vcc, v[2:3], v[48:49]
	s_and_saveexec_b64 s[34:35], vcc
	s_cbranch_execz .LBB10_1212
; %bb.1204:                             ;   in Loop: Header=BB10_1151 Depth=3
	s_mov_b32 s69, 0
	s_mov_b64 s[58:59], 0
                                        ; implicit-def: $sgpr60_sgpr61
                                        ; implicit-def: $sgpr62_sgpr63
	s_branch .LBB10_1206
.LBB10_1205:                            ;   in Loop: Header=BB10_1206 Depth=4
	s_or_b64 exec, exec, s[66:67]
	s_and_b64 vcc, exec, vcc
	s_or_b64 s[58:59], vcc, s[58:59]
	s_andn2_b64 vcc, s[60:61], exec
	s_and_b64 s[60:61], s[62:63], exec
	s_or_b64 s[60:61], vcc, s[60:61]
	s_andn2_b64 exec, exec, s[58:59]
	s_cbranch_execz .LBB10_1210
.LBB10_1206:                            ;   Parent Loop BB10_47 Depth=1
                                        ;     Parent Loop BB10_1148 Depth=2
                                        ;       Parent Loop BB10_1151 Depth=3
                                        ; =>      This Inner Loop Header: Depth=4
	s_add_i32 s69, s69, 1
	s_cmpk_lg_i32 s69, 0x2710
	s_cselect_b64 s[64:65], -1, 0
	s_and_b64 vcc, exec, s[64:65]
                                        ; implicit-def: $sgpr66_sgpr67
	s_cbranch_vccnz .LBB10_1208
; %bb.1207:                             ;   in Loop: Header=BB10_1206 Depth=4
	s_trap 2
	ds_read_b64 v[2:3], v0
	s_andn2_b64 s[64:65], s[64:65], exec
	s_mov_b32 s69, 0
	s_mov_b64 s[66:67], -1
	s_waitcnt lgkmcnt(0)
	flat_load_dword v2, v[2:3] glc
	s_waitcnt vmcnt(0) lgkmcnt(0)
	buffer_invl2
	buffer_wbinvl1_vol
	v_cmp_eq_u32_e32 vcc, 0, v2
	s_and_b64 vcc, vcc, exec
	s_or_b64 s[64:65], s[64:65], vcc
.LBB10_1208:                            ;   in Loop: Header=BB10_1206 Depth=4
	s_andn2_b64 s[62:63], s[62:63], exec
	s_and_b64 s[66:67], s[66:67], exec
	s_mov_b64 vcc, -1
	s_or_b64 s[62:63], s[62:63], s[66:67]
	s_and_saveexec_b64 s[66:67], s[64:65]
	s_cbranch_execz .LBB10_1205
; %bb.1209:                             ;   in Loop: Header=BB10_1206 Depth=4
	s_sleep 1
	s_trap 2
	ds_read_b64 v[2:3], v0
	s_andn2_b64 s[62:63], s[62:63], exec
	s_waitcnt lgkmcnt(0)
	v_cmp_ge_u64_e32 vcc, v[2:3], v[48:49]
	s_orn2_b64 vcc, vcc, exec
	s_branch .LBB10_1205
.LBB10_1210:                            ;   in Loop: Header=BB10_1151 Depth=3
	s_or_b64 exec, exec, s[58:59]
	s_and_saveexec_b64 vcc, s[60:61]
	s_xor_b64 vcc, exec, vcc
	s_cbranch_execz .LBB10_1212
; %bb.1211:                             ;   in Loop: Header=BB10_1151 Depth=3
	ds_write_b32 v0, v57
	s_trap 2
.LBB10_1212:                            ;   in Loop: Header=BB10_1151 Depth=3
	s_or_b64 exec, exec, s[34:35]
	;;#ASMSTART
	s_wakeup
	;;#ASMEND
.LBB10_1213:                            ;   in Loop: Header=BB10_1151 Depth=3
	s_or_b64 exec, exec, s[30:31]
.LBB10_1214:                            ;   in Loop: Header=BB10_1151 Depth=3
	s_andn2_saveexec_b64 s[28:29], s[28:29]
	s_cbranch_execz .LBB10_1216
; %bb.1215:                             ;   in Loop: Header=BB10_1151 Depth=3
	s_waitcnt vmcnt(0) lgkmcnt(0)
	buffer_wbinvl1_vol
	s_barrier
.LBB10_1216:                            ;   in Loop: Header=BB10_1151 Depth=3
	s_or_b64 exec, exec, s[28:29]
.LBB10_1217:                            ;   in Loop: Header=BB10_1151 Depth=3
	s_or_b64 exec, exec, s[26:27]
	s_trap 2
	s_waitcnt lgkmcnt(0)
	ds_read_b64 v[2:3], v0
	v_mov_b32_e32 v15, 0
	s_waitcnt lgkmcnt(0)
	v_readfirstlane_b32 s26, v2
	v_readfirstlane_b32 s27, v3
	s_cmp_eq_u64 s[26:27], 0
	s_cselect_b64 s[26:27], -1, 0
	s_or_b64 s[26:27], s[26:27], s[26:27]
	s_and_b64 vcc, exec, s[26:27]
	s_cbranch_vccnz .LBB10_1226
; %bb.1218:                             ;   in Loop: Header=BB10_1151 Depth=3
	s_trap 2
	ds_read_b64 v[2:3], v0
	v_cmp_eq_u32_e32 vcc, 0, v0
	v_cndmask_b32_e32 v15, 0, v14, vcc
	v_lshlrev_b32_e32 v17, 1, v15
	s_waitcnt lgkmcnt(0)
	v_cmp_ne_u64_e32 vcc, 0, v[2:3]
	s_cbranch_vccz .LBB10_1238
; %bb.1219:                             ;   in Loop: Header=BB10_1151 Depth=3
	s_mov_b64 s[28:29], -1
	s_and_saveexec_b64 s[26:27], s[20:21]
	s_cbranch_execz .LBB10_1221
; %bb.1220:                             ;   in Loop: Header=BB10_1151 Depth=3
	ds_read_b32 v0, v0 offset:720
	s_waitcnt lgkmcnt(0)
	v_and_b32_e32 v0, 15, v0
	v_cmp_eq_u32_e32 vcc, 0, v0
	s_orn2_b64 s[28:29], vcc, exec
.LBB10_1221:                            ;   in Loop: Header=BB10_1151 Depth=3
	s_or_b64 exec, exec, s[26:27]
	s_and_saveexec_b64 s[26:27], s[24:25]
	s_cbranch_execz .LBB10_1223
; %bb.1222:                             ;   in Loop: Header=BB10_1151 Depth=3
	ds_read_b32 v0, v0 offset:784
	s_waitcnt lgkmcnt(0)
	v_and_b32_e32 v0, 15, v0
	v_cmp_eq_u32_e32 vcc, 0, v0
	s_and_b64 vcc, s[28:29], vcc
	s_andn2_b64 s[28:29], s[28:29], exec
	s_and_b64 vcc, vcc, exec
	s_or_b64 s[28:29], s[28:29], vcc
.LBB10_1223:                            ;   in Loop: Header=BB10_1151 Depth=3
	s_or_b64 exec, exec, s[26:27]
	s_xor_b64 s[28:29], s[28:29], -1
	v_cndmask_b32_e64 v0, 0, 1, s[28:29]
	;;#ASMSTART
	;;#ASMEND
	s_mov_b64 s[26:27], -1
	v_cmp_ne_u32_e32 vcc, 0, v0
	v_mov_b32_e32 v0, 0
	v_mov_b32_e32 v12, v17
	;; [unrolled: 1-line block ×4, first 2 shown]
	s_cbranch_vccz .LBB10_1239
; %bb.1224:                             ;   in Loop: Header=BB10_1151 Depth=3
	s_and_saveexec_b64 s[34:35], s[26:27]
	s_cbranch_execnz .LBB10_1254
.LBB10_1225:                            ;   in Loop: Header=BB10_1151 Depth=3
	s_or_b64 exec, exec, s[34:35]
.LBB10_1226:                            ;   in Loop: Header=BB10_1151 Depth=3
	s_and_saveexec_b64 s[26:27], s[10:11]
	s_cbranch_execz .LBB10_1272
.LBB10_1227:                            ;   in Loop: Header=BB10_1151 Depth=3
	s_and_saveexec_b64 s[28:29], s[48:49]
	s_xor_b64 s[28:29], exec, s[28:29]
	s_cbranch_execz .LBB10_1302
; %bb.1228:                             ;   in Loop: Header=BB10_1151 Depth=3
	s_and_saveexec_b64 s[30:31], s[16:17]
	s_cbranch_execz .LBB10_1301
; %bb.1229:                             ;   in Loop: Header=BB10_1151 Depth=3
	s_mov_b64 s[58:59], exec
	v_mbcnt_lo_u32_b32 v0, s58, 0
	v_mbcnt_hi_u32_b32 v0, s59, v0
	v_cmp_eq_u32_e32 vcc, 0, v0
	s_waitcnt vmcnt(0) lgkmcnt(0)
	buffer_wbinvl1_vol
	s_and_saveexec_b64 s[34:35], vcc
	s_cbranch_execz .LBB10_1231
; %bb.1230:                             ;   in Loop: Header=BB10_1151 Depth=3
	s_bcnt1_i32_b64 vcc_lo, s[58:59]
	v_mov_b32_e32 v2, vcc_lo
	v_mov_b32_e32 v3, v52
	ds_add_u64 v0, v[2:3]
	s_trap 2
.LBB10_1231:                            ;   in Loop: Header=BB10_1151 Depth=3
	s_or_b64 exec, exec, s[34:35]
	s_trap 2
	ds_read_b64 v[2:3], v0
	v_add_co_u32_e32 v48, vcc, v48, v54
	v_addc_co_u32_e32 v49, vcc, 0, v49, vcc
	s_waitcnt lgkmcnt(0)
	v_cmp_lt_u64_e32 vcc, v[2:3], v[48:49]
	s_and_saveexec_b64 s[34:35], vcc
	s_cbranch_execz .LBB10_1300
; %bb.1232:                             ;   in Loop: Header=BB10_1151 Depth=3
	s_mov_b32 s69, 0
	s_mov_b64 s[58:59], 0
                                        ; implicit-def: $sgpr60_sgpr61
                                        ; implicit-def: $sgpr62_sgpr63
	s_branch .LBB10_1234
.LBB10_1233:                            ;   in Loop: Header=BB10_1234 Depth=4
	s_or_b64 exec, exec, s[66:67]
	s_and_b64 vcc, exec, vcc
	s_or_b64 s[58:59], vcc, s[58:59]
	s_andn2_b64 vcc, s[60:61], exec
	s_and_b64 s[60:61], s[62:63], exec
	s_or_b64 s[60:61], vcc, s[60:61]
	s_andn2_b64 exec, exec, s[58:59]
	s_cbranch_execz .LBB10_1298
.LBB10_1234:                            ;   Parent Loop BB10_47 Depth=1
                                        ;     Parent Loop BB10_1148 Depth=2
                                        ;       Parent Loop BB10_1151 Depth=3
                                        ; =>      This Inner Loop Header: Depth=4
	s_add_i32 s69, s69, 1
	s_cmpk_lg_i32 s69, 0x2710
	s_cselect_b64 s[64:65], -1, 0
	s_and_b64 vcc, exec, s[64:65]
                                        ; implicit-def: $sgpr66_sgpr67
	s_cbranch_vccnz .LBB10_1236
; %bb.1235:                             ;   in Loop: Header=BB10_1234 Depth=4
	s_trap 2
	ds_read_b64 v[2:3], v0
	s_andn2_b64 s[64:65], s[64:65], exec
	s_mov_b32 s69, 0
	s_mov_b64 s[66:67], -1
	s_waitcnt lgkmcnt(0)
	flat_load_dword v0, v[2:3] glc
	s_waitcnt vmcnt(0) lgkmcnt(0)
	buffer_invl2
	buffer_wbinvl1_vol
	v_cmp_eq_u32_e32 vcc, 0, v0
	s_and_b64 vcc, vcc, exec
	s_or_b64 s[64:65], s[64:65], vcc
.LBB10_1236:                            ;   in Loop: Header=BB10_1234 Depth=4
	s_andn2_b64 s[62:63], s[62:63], exec
	s_and_b64 s[66:67], s[66:67], exec
	s_mov_b64 vcc, -1
	s_or_b64 s[62:63], s[62:63], s[66:67]
	s_and_saveexec_b64 s[66:67], s[64:65]
	s_cbranch_execz .LBB10_1233
; %bb.1237:                             ;   in Loop: Header=BB10_1234 Depth=4
	s_sleep 1
	s_trap 2
	ds_read_b64 v[2:3], v0
	s_andn2_b64 s[62:63], s[62:63], exec
	s_waitcnt lgkmcnt(0)
	v_cmp_ge_u64_e32 vcc, v[2:3], v[48:49]
	s_orn2_b64 vcc, vcc, exec
	s_branch .LBB10_1233
.LBB10_1238:                            ;   in Loop: Header=BB10_1151 Depth=3
	s_cbranch_execnz .LBB10_1265
	s_branch .LBB10_1226
.LBB10_1239:                            ;   in Loop: Header=BB10_1151 Depth=3
	v_ashrrev_i32_e32 v0, 31, v17
	v_lshrrev_b32_e32 v0, 20, v0
	v_add_u32_e32 v0, v17, v0
	v_ashrrev_i32_e32 v0, 12, v0
	v_sub_u32_e32 v10, v0, v60
	v_cmp_lt_i32_e32 vcc, 0, v10
	s_and_saveexec_b64 s[26:27], vcc
	s_cbranch_execz .LBB10_1243
; %bb.1240:                             ;   in Loop: Header=BB10_1151 Depth=3
	s_trap 2
	ds_read_b64 v[2:3], v0
	ds_read_b128 v[22:25], v0
	v_accvgpr_read_b32 v8, a24
	v_accvgpr_read_b32 v9, a25
	s_mov_b64 s[28:29], 0
	s_waitcnt lgkmcnt(0)
	v_add_co_u32_e32 v2, vcc, v2, v8
	v_addc_co_u32_e32 v3, vcc, v3, v9, vcc
	v_add_co_u32_e32 v4, vcc, v22, v8
	v_addc_co_u32_e32 v5, vcc, v23, v9, vcc
	;; [unrolled: 2-line block ×3, first 2 shown]
.LBB10_1241:                            ;   Parent Loop BB10_47 Depth=1
                                        ;     Parent Loop BB10_1148 Depth=2
                                        ;       Parent Loop BB10_1151 Depth=3
                                        ; =>      This Inner Loop Header: Depth=4
	global_load_dwordx4 v[22:25], v[2:3], off glc slc
	global_load_dwordx4 v[38:41], v[2:3], off offset:1024 glc slc
	global_load_dwordx4 v[56:59], v[2:3], off offset:2048 glc slc
	;; [unrolled: 1-line block ×3, first 2 shown]
	v_add_co_u32_e32 v2, vcc, v2, v31
	v_addc_co_u32_e32 v3, vcc, v3, v1, vcc
	v_sub_u32_e32 v10, v10, v54
	v_cmp_gt_i32_e32 vcc, 1, v10
	s_or_b64 s[28:29], vcc, s[28:29]
	s_waitcnt vmcnt(0)
	global_store_dwordx4 v[4:5], v[22:25], off glc slc
	global_store_dwordx4 v[4:5], v[38:41], off offset:1024 glc slc
	global_store_dwordx4 v[4:5], v[56:59], off offset:2048 glc slc
	global_store_dwordx4 v[4:5], v[18:21], off offset:3072 glc slc
	global_store_dwordx4 v[8:9], v[22:25], off glc slc
	global_store_dwordx4 v[8:9], v[38:41], off offset:1024 glc slc
	global_store_dwordx4 v[8:9], v[56:59], off offset:2048 glc slc
	;; [unrolled: 1-line block ×3, first 2 shown]
	v_add_co_u32_e32 v4, vcc, v4, v31
	v_addc_co_u32_e32 v5, vcc, v5, v1, vcc
	v_add_co_u32_e32 v8, vcc, v8, v31
	v_addc_co_u32_e32 v9, vcc, v9, v1, vcc
	s_andn2_b64 exec, exec, s[28:29]
	s_cbranch_execnz .LBB10_1241
; %bb.1242:                             ;   in Loop: Header=BB10_1151 Depth=3
	s_or_b64 exec, exec, s[28:29]
	v_accvgpr_read_b32 v59, a13
	v_accvgpr_read_b32 v25, a17
	v_accvgpr_read_b32 v58, a12
	v_accvgpr_read_b32 v24, a16
	v_mov_b32_e32 v57, 1
.LBB10_1243:                            ;   in Loop: Header=BB10_1151 Depth=3
	s_or_b64 exec, exec, s[26:27]
	v_lshlrev_b32_e32 v21, 12, v0
	v_cmp_ne_u32_e32 vcc, v17, v21
	s_mov_b64 s[26:27], 0
	v_mov_b32_e32 v0, 0
                                        ; implicit-def: $vgpr12
                                        ; implicit-def: $vgpr13
                                        ; implicit-def: $vgpr2
	s_and_saveexec_b64 s[58:59], vcc
	s_cbranch_execz .LBB10_1253
; %bb.1244:                             ;   in Loop: Header=BB10_1151 Depth=3
	v_lshlrev_b32_e32 v0, 6, v10
	v_accvgpr_read_b32 v2, a22
	v_sub_u32_e32 v0, v2, v0
	v_sub_u32_e32 v3, v17, v21
	v_ashrrev_i32_e32 v2, 31, v0
	v_lshrrev_b32_e32 v2, 26, v2
	v_ashrrev_i32_e32 v5, 31, v3
	v_add_u32_e32 v2, v0, v2
	v_lshrrev_b32_e32 v5, 22, v5
	v_ashrrev_i32_e32 v4, 6, v2
	v_and_b32_e32 v2, 0xffffffc0, v2
	v_add_u32_e32 v5, v3, v5
	v_sub_u32_e32 v22, v0, v2
	v_and_b32_e32 v23, 0xfffffc00, v5
	v_lshlrev_b32_e32 v0, 4, v22
	v_sub_u32_e32 v25, v3, v23
	v_lshl_add_u32 v2, v4, 10, v0
	v_ashrrev_i32_e32 v8, 10, v5
	v_cmp_lt_i32_e64 s[26:27], 15, v25
	v_sub_u32_e32 v0, v3, v2
	v_addc_co_u32_e64 v3, vcc, 0, v8, s[26:27]
	v_sub_u32_e32 v24, v3, v4
	v_cmp_lt_i32_e32 vcc, 15, v0
	s_and_saveexec_b64 s[60:61], vcc
	s_cbranch_execz .LBB10_1250
; %bb.1245:                             ;   in Loop: Header=BB10_1151 Depth=3
	s_trap 2
	ds_read_b64 v[4:5], v0
	ds_read_b128 v[8:11], v0
	v_add_u32_e32 v12, v2, v21
	v_ashrrev_i32_e32 v13, 31, v12
	s_mov_b64 s[62:63], 0
	s_waitcnt lgkmcnt(0)
	v_add_co_u32_e32 v4, vcc, v4, v12
	v_addc_co_u32_e32 v5, vcc, v5, v13, vcc
	v_add_co_u32_e32 v2, vcc, v8, v12
	v_addc_co_u32_e32 v3, vcc, v9, v13, vcc
	;; [unrolled: 2-line block ×3, first 2 shown]
.LBB10_1246:                            ;   Parent Loop BB10_47 Depth=1
                                        ;     Parent Loop BB10_1148 Depth=2
                                        ;       Parent Loop BB10_1151 Depth=3
                                        ; =>      This Loop Header: Depth=4
                                        ;           Child Loop BB10_1247 Depth 5
	global_load_dwordx4 v[10:13], v[4:5], off glc slc
	s_mov_b64 s[66:67], -1
	s_mov_b64 s[64:65], 0
	s_waitcnt vmcnt(0)
.LBB10_1247:                            ;   Parent Loop BB10_47 Depth=1
                                        ;     Parent Loop BB10_1148 Depth=2
                                        ;       Parent Loop BB10_1151 Depth=3
                                        ;         Parent Loop BB10_1246 Depth=4
                                        ; =>        This Inner Loop Header: Depth=5
	s_cmp_eq_u32 s64, 0
	s_cselect_b64 s[28:29], -1, 0
	s_cmp_eq_u32 s64, 1
	v_cndmask_b32_e64 v18, 0, 1, s[66:67]
	s_cselect_b64 s[34:35], -1, 0
	v_cmp_ne_u32_e64 s[30:31], 1, v18
	v_cndmask_b32_e64 v19, v3, v9, s[34:35]
	v_cndmask_b32_e64 v18, v2, v8, s[34:35]
	global_store_dwordx4 v[18:19], v[10:13], off glc slc
	v_add_co_u32_e32 v18, vcc, 0x400, v18
	v_addc_co_u32_e32 v19, vcc, 0, v19, vcc
	s_mov_b64 s[66:67], 0
	s_mov_b64 s[64:65], 1
	v_cndmask_b32_e64 v8, v8, v18, s[34:35]
	s_and_b64 vcc, exec, s[30:31]
	v_cndmask_b32_e64 v9, v9, v19, s[34:35]
	v_cndmask_b32_e64 v3, v3, v19, s[28:29]
	;; [unrolled: 1-line block ×3, first 2 shown]
	s_cbranch_vccz .LBB10_1247
; %bb.1248:                             ;   in Loop: Header=BB10_1246 Depth=4
	v_accvgpr_read_b32 v10, a18
	v_add_co_u32_e32 v2, vcc, v2, v10
	v_accvgpr_read_b32 v11, a21
	v_addc_co_u32_e32 v3, vcc, v3, v11, vcc
	v_add_co_u32_e32 v8, vcc, v8, v10
	v_addc_co_u32_e32 v9, vcc, v9, v11, vcc
	v_add_co_u32_e32 v4, vcc, v42, v4
	v_addc_co_u32_e32 v5, vcc, v43, v5, vcc
	v_sub_u32_e32 v0, v0, v46
	v_cmp_gt_i32_e32 vcc, 16, v0
	s_or_b64 s[62:63], vcc, s[62:63]
	v_sub_u32_e32 v24, v24, v54
	s_andn2_b64 exec, exec, s[62:63]
	s_cbranch_execnz .LBB10_1246
; %bb.1249:                             ;   in Loop: Header=BB10_1151 Depth=3
	s_or_b64 exec, exec, s[62:63]
.LBB10_1250:                            ;   in Loop: Header=BB10_1151 Depth=3
	s_or_b64 exec, exec, s[60:61]
	v_and_b32_e32 v3, 14, v17
	v_cndmask_b32_e64 v12, v25, v3, s[26:27]
	v_cmp_ne_u32_e32 vcc, 0, v12
	s_mov_b64 s[28:29], 0
	v_mov_b32_e32 v0, 0
                                        ; implicit-def: $vgpr13
                                        ; implicit-def: $vgpr2
	s_and_saveexec_b64 s[30:31], vcc
	s_cbranch_execz .LBB10_1252
; %bb.1251:                             ;   in Loop: Header=BB10_1151 Depth=3
	v_cmp_lt_i32_e32 vcc, 0, v24
	v_cndmask_b32_e32 v2, 0, v54, vcc
	v_sub_u32_e32 v2, v2, v24
	v_lshl_add_u32 v13, v2, 6, v22
	v_ashrrev_i32_e32 v2, 31, v13
	v_sub_u32_e32 v0, v25, v3
	v_lshrrev_b32_e32 v2, 26, v2
	v_cndmask_b32_e64 v0, 0, v0, s[26:27]
	v_add_u32_e32 v2, v13, v2
	s_mov_b64 s[28:29], exec
	v_add3_u32 v0, v23, v21, v0
	v_ashrrev_i32_e32 v2, 6, v2
.LBB10_1252:                            ;   in Loop: Header=BB10_1151 Depth=3
	s_or_b64 exec, exec, s[30:31]
	v_accvgpr_read_b32 v25, a17
	s_and_b64 s[26:27], s[28:29], exec
	v_accvgpr_read_b32 v24, a16
.LBB10_1253:                            ;   in Loop: Header=BB10_1151 Depth=3
	s_or_b64 exec, exec, s[58:59]
	s_and_saveexec_b64 s[34:35], s[26:27]
	s_cbranch_execz .LBB10_1225
.LBB10_1254:                            ;   in Loop: Header=BB10_1151 Depth=3
	v_ashrrev_i32_e32 v3, 31, v12
	v_lshrrev_b32_e32 v3, 21, v3
	v_add_u32_e32 v3, v12, v3
	v_ashrrev_i32_e32 v23, 11, v3
	v_sub_u32_e32 v21, v23, v2
	v_ashrrev_i32_e32 v3, 31, v13
	v_cmp_lt_i32_e32 vcc, 0, v21
	v_lshrrev_b32_e32 v22, 26, v3
	s_and_saveexec_b64 s[28:29], vcc
	s_cbranch_execz .LBB10_1258
; %bb.1255:                             ;   in Loop: Header=BB10_1151 Depth=3
	s_trap 2
	v_add_u32_e32 v3, v13, v22
	ds_read_b64 v[18:19], v0
	ds_read_b128 v[8:11], v0
	v_and_b32_e32 v3, 0x7fffffc0, v3
	v_sub_u32_e32 v3, v13, v3
	v_lshlrev_b32_e32 v3, 1, v3
	v_lshlrev_b32_e32 v2, 11, v2
	v_add3_u32 v20, v3, v0, v2
	v_ashrrev_i32_e32 v24, 31, v20
	s_waitcnt lgkmcnt(0)
	v_add_co_u32_e32 v2, vcc, v8, v20
	v_addc_co_u32_e32 v3, vcc, v9, v24, vcc
	v_add_co_u32_e32 v4, vcc, v10, v20
	v_addc_co_u32_e32 v5, vcc, v11, v24, vcc
	;; [unrolled: 2-line block ×3, first 2 shown]
	v_add_co_u32_e32 v8, vcc, v8, v20
	v_accvgpr_write_b32 a3, v47
	v_addc_co_u32_e32 v9, vcc, v9, v24, vcc
	s_mov_b64 s[30:31], 0
.LBB10_1256:                            ;   Parent Loop BB10_47 Depth=1
                                        ;     Parent Loop BB10_1148 Depth=2
                                        ;       Parent Loop BB10_1151 Depth=3
                                        ; =>      This Inner Loop Header: Depth=4
	v_add_co_u32_e32 v10, vcc, 0xfffff880, v8
	v_addc_co_u32_e32 v11, vcc, -1, v9, vcc
	v_add_co_u32_e64 v18, s[26:27], s75, v8
	v_add_co_u32_e32 v38, vcc, 0xfffff900, v8
	v_addc_co_u32_e64 v19, s[26:27], -1, v9, s[26:27]
	v_addc_co_u32_e32 v39, vcc, -1, v9, vcc
	flat_load_ushort v24, v[8:9] glc slc
	flat_load_ushort v25, v[18:19] glc slc
	s_nop 0
	flat_load_ushort v10, v[10:11] glc slc
	v_add_co_u32_e32 v18, vcc, 0xfffff980, v8
	v_addc_co_u32_e32 v19, vcc, -1, v9, vcc
	flat_load_ushort v11, v[38:39] glc slc
	v_add_co_u32_e32 v38, vcc, 0xfffffa00, v8
	v_addc_co_u32_e32 v39, vcc, -1, v9, vcc
	flat_load_ushort v20, v[18:19] glc slc
	v_add_co_u32_e32 v18, vcc, 0xfffffa80, v8
	v_addc_co_u32_e32 v19, vcc, -1, v9, vcc
	flat_load_ushort v40, v[38:39] glc slc
	v_add_co_u32_e32 v38, vcc, 0xfffffb00, v8
	v_addc_co_u32_e32 v39, vcc, -1, v9, vcc
	flat_load_ushort v41, v[18:19] glc slc
	v_add_co_u32_e32 v18, vcc, 0xfffffb80, v8
	v_addc_co_u32_e32 v19, vcc, -1, v9, vcc
	flat_load_ushort v46, v[38:39] glc slc
	v_add_co_u32_e32 v38, vcc, s74, v8
	v_addc_co_u32_e32 v39, vcc, -1, v9, vcc
	flat_load_ushort v56, v[18:19] glc slc
	v_add_co_u32_e32 v18, vcc, s90, v8
	v_addc_co_u32_e32 v19, vcc, -1, v9, vcc
	flat_load_ushort v57, v[38:39] glc slc
	v_add_co_u32_e32 v38, vcc, s91, v8
	v_addc_co_u32_e32 v39, vcc, -1, v9, vcc
	flat_load_ushort v58, v[18:19] glc slc
	v_add_co_u32_e32 v18, vcc, s92, v8
	v_addc_co_u32_e32 v19, vcc, -1, v9, vcc
	flat_load_ushort v59, v[38:39] glc slc
	v_add_co_u32_e32 v38, vcc, s93, v8
	v_addc_co_u32_e32 v39, vcc, -1, v9, vcc
	flat_load_ushort v60, v[18:19] glc slc
	v_add_co_u32_e32 v18, vcc, s94, v8
	v_addc_co_u32_e32 v19, vcc, -1, v9, vcc
	flat_load_ushort v47, v[38:39] glc slc
	v_add_co_u32_e32 v38, vcc, s95, v8
	flat_load_ushort v18, v[18:19] glc slc
	v_addc_co_u32_e32 v39, vcc, -1, v9, vcc
	flat_load_ushort v19, v[38:39] glc slc
	v_sub_u32_e32 v21, v21, v54
	v_cmp_gt_i32_e32 vcc, 1, v21
	s_or_b64 s[30:31], vcc, s[30:31]
	v_add_co_u32_e32 v8, vcc, v8, v28
	v_addc_co_u32_e32 v9, vcc, v9, v29, vcc
	s_waitcnt vmcnt(0) lgkmcnt(0)
	flat_store_short v[2:3], v24 offset:1920 glc slc
	flat_store_short v[2:3], v25 offset:1792 glc slc
	flat_store_short v[2:3], v10 glc slc
	flat_store_short v[2:3], v11 offset:128 glc slc
	flat_store_short v[2:3], v20 offset:256 glc slc
	;; [unrolled: 1-line block ×13, first 2 shown]
	flat_store_short v[4:5], v10 glc slc
	flat_store_short v[4:5], v11 offset:128 glc slc
	flat_store_short v[4:5], v20 offset:256 glc slc
	flat_store_short v[4:5], v40 offset:384 glc slc
	flat_store_short v[4:5], v41 offset:512 glc slc
	flat_store_short v[4:5], v46 offset:640 glc slc
	flat_store_short v[4:5], v56 offset:768 glc slc
	flat_store_short v[4:5], v57 offset:896 glc slc
	flat_store_short v[4:5], v58 offset:1024 glc slc
	flat_store_short v[4:5], v59 offset:1152 glc slc
	flat_store_short v[4:5], v60 offset:1280 glc slc
	flat_store_short v[4:5], v47 offset:1408 glc slc
	flat_store_short v[4:5], v18 offset:1536 glc slc
	flat_store_short v[4:5], v19 offset:1664 glc slc
	flat_store_short v[4:5], v25 offset:1792 glc slc
	flat_store_short v[4:5], v24 offset:1920 glc slc
	v_add_co_u32_e32 v2, vcc, v2, v28
	v_addc_co_u32_e32 v3, vcc, v3, v29, vcc
	v_add_co_u32_e32 v4, vcc, v4, v28
	v_addc_co_u32_e32 v5, vcc, v5, v29, vcc
	s_andn2_b64 exec, exec, s[30:31]
	s_cbranch_execnz .LBB10_1256
; %bb.1257:                             ;   in Loop: Header=BB10_1151 Depth=3
	s_or_b64 exec, exec, s[30:31]
	v_accvgpr_read_b32 v59, a13
	v_accvgpr_read_b32 v25, a17
	;; [unrolled: 1-line block ×7, first 2 shown]
	v_mov_b32_e32 v57, 1
.LBB10_1258:                            ;   in Loop: Header=BB10_1151 Depth=3
	s_or_b64 exec, exec, s[28:29]
	v_lshlrev_b32_e32 v2, 11, v23
	v_cmp_ne_u32_e32 vcc, v12, v2
	s_and_saveexec_b64 s[58:59], vcc
	s_cbranch_execz .LBB10_1264
; %bb.1259:                             ;   in Loop: Header=BB10_1151 Depth=3
	v_add_u32_e32 v3, v13, v22
	v_and_b32_e32 v3, 0xffffffc0, v3
	v_sub_u32_e32 v3, v13, v3
	v_lshlrev_b32_e32 v4, 6, v21
	v_sub_u32_e32 v3, v3, v4
	v_ashrrev_i32_e32 v4, 31, v3
	v_lshrrev_b32_e32 v4, 26, v4
	v_add_u32_e32 v4, v3, v4
	v_and_b32_e32 v5, 0x7fffffc0, v4
	v_sub_u32_e32 v3, v3, v5
	v_lshlrev_b32_e32 v4, 1, v4
	v_and_b32_e32 v4, 0xffffff80, v4
	v_lshlrev_b32_e32 v3, 1, v3
	v_add3_u32 v2, v4, v3, v2
	v_sub_u32_e32 v10, v12, v2
	v_cmp_lt_i32_e32 vcc, 1, v10
	s_and_b64 exec, exec, vcc
	s_cbranch_execz .LBB10_1264
; %bb.1260:                             ;   in Loop: Header=BB10_1151 Depth=3
	s_trap 2
	ds_read_b64 v[4:5], v0
	v_add_u32_e32 v0, v2, v0
	ds_read_b128 v[18:21], v0
	v_ashrrev_i32_e32 v9, 31, v0
	s_mov_b64 s[60:61], 0
	s_waitcnt lgkmcnt(0)
	v_add_co_u32_e32 v4, vcc, v4, v0
	v_addc_co_u32_e32 v5, vcc, v5, v9, vcc
	v_add_co_u32_e32 v2, vcc, v18, v0
	v_addc_co_u32_e32 v3, vcc, v19, v9, vcc
	;; [unrolled: 2-line block ×3, first 2 shown]
.LBB10_1261:                            ;   Parent Loop BB10_47 Depth=1
                                        ;     Parent Loop BB10_1148 Depth=2
                                        ;       Parent Loop BB10_1151 Depth=3
                                        ; =>      This Loop Header: Depth=4
                                        ;           Child Loop BB10_1262 Depth 5
	flat_load_ushort v0, v[4:5] glc slc
	s_mov_b64 s[64:65], -1
	s_mov_b64 s[62:63], 0
	s_waitcnt vmcnt(0)
.LBB10_1262:                            ;   Parent Loop BB10_47 Depth=1
                                        ;     Parent Loop BB10_1148 Depth=2
                                        ;       Parent Loop BB10_1151 Depth=3
                                        ;         Parent Loop BB10_1261 Depth=4
                                        ; =>        This Inner Loop Header: Depth=5
	s_cmp_eq_u32 s62, 0
	s_cselect_b64 s[26:27], -1, 0
	s_cmp_eq_u32 s62, 1
	s_cselect_b64 s[30:31], -1, 0
	v_cndmask_b32_e64 v11, 0, 1, s[64:65]
	v_cndmask_b32_e64 v12, v2, v8, s[30:31]
	v_cmp_ne_u32_e64 s[28:29], 1, v11
	v_cndmask_b32_e64 v13, v3, v9, s[30:31]
	v_add_co_u32_e32 v11, vcc, 0x80, v12
	s_waitcnt lgkmcnt(0)
	flat_store_short v[12:13], v0 glc slc
	v_addc_co_u32_e32 v12, vcc, 0, v13, vcc
	s_mov_b64 s[64:65], 0
	s_mov_b64 s[62:63], 1
	v_cndmask_b32_e64 v8, v8, v11, s[30:31]
	s_and_b64 vcc, exec, s[28:29]
	v_cndmask_b32_e64 v9, v9, v12, s[30:31]
	v_cndmask_b32_e64 v3, v3, v12, s[26:27]
	v_cndmask_b32_e64 v2, v2, v11, s[26:27]
	s_cbranch_vccz .LBB10_1262
; %bb.1263:                             ;   in Loop: Header=BB10_1261 Depth=4
	v_accvgpr_read_b32 v0, a20
	v_add_co_u32_e32 v2, vcc, v2, v0
	v_accvgpr_read_b32 v11, a23
	v_addc_co_u32_e32 v3, vcc, v3, v11, vcc
	v_add_co_u32_e32 v8, vcc, v8, v0
	v_addc_co_u32_e32 v9, vcc, v9, v11, vcc
	v_sub_u32_e32 v10, v10, v61
	v_cmp_gt_i32_e32 vcc, 2, v10
	s_or_b64 s[60:61], vcc, s[60:61]
	v_add_co_u32_e32 v4, vcc, v44, v4
	v_addc_co_u32_e32 v5, vcc, v45, v5, vcc
	s_andn2_b64 exec, exec, s[60:61]
	s_cbranch_execnz .LBB10_1261
.LBB10_1264:                            ;   in Loop: Header=BB10_1151 Depth=3
	s_or_b64 exec, exec, s[58:59]
	s_or_b64 exec, exec, s[34:35]
	s_branch .LBB10_1226
.LBB10_1265:                            ;   in Loop: Header=BB10_1151 Depth=3
	s_mov_b64 s[26:27], -1
	s_and_saveexec_b64 s[28:29], s[20:21]
	s_cbranch_execz .LBB10_1267
; %bb.1266:                             ;   in Loop: Header=BB10_1151 Depth=3
	ds_read_b32 v0, v0 offset:720
	s_waitcnt lgkmcnt(0)
	v_and_b32_e32 v0, 15, v0
	v_cmp_eq_u32_e32 vcc, 0, v0
	s_orn2_b64 s[26:27], vcc, exec
.LBB10_1267:                            ;   in Loop: Header=BB10_1151 Depth=3
	s_or_b64 exec, exec, s[28:29]
	s_and_saveexec_b64 s[28:29], s[18:19]
	s_cbranch_execz .LBB10_1269
; %bb.1268:                             ;   in Loop: Header=BB10_1151 Depth=3
	ds_read_b32 v0, v0 offset:784
	s_waitcnt lgkmcnt(0)
	v_and_b32_e32 v0, 15, v0
	v_cmp_eq_u32_e32 vcc, 0, v0
	s_and_b64 vcc, s[26:27], vcc
	s_andn2_b64 s[26:27], s[26:27], exec
	s_and_b64 vcc, vcc, exec
	s_or_b64 s[26:27], s[26:27], vcc
.LBB10_1269:                            ;   in Loop: Header=BB10_1151 Depth=3
	s_or_b64 exec, exec, s[28:29]
	s_xor_b64 s[26:27], s[26:27], -1
	v_cndmask_b32_e64 v0, 0, 1, s[26:27]
	;;#ASMSTART
	;;#ASMEND
	s_mov_b64 s[30:31], -1
	v_cmp_ne_u32_e32 vcc, 0, v0
	v_mov_b32_e32 v0, 0
	s_cbranch_vccz .LBB10_1276
; %bb.1270:                             ;   in Loop: Header=BB10_1151 Depth=3
	v_mov_b32_e32 v10, v47
	v_mov_b32_e32 v4, v60
	s_and_saveexec_b64 s[26:27], s[30:31]
	s_cbranch_execnz .LBB10_1289
.LBB10_1271:                            ;   in Loop: Header=BB10_1151 Depth=3
	s_or_b64 exec, exec, s[26:27]
	s_and_saveexec_b64 s[26:27], s[10:11]
	s_cbranch_execnz .LBB10_1227
.LBB10_1272:                            ;   in Loop: Header=BB10_1151 Depth=3
	s_or_b64 exec, exec, s[26:27]
                                        ; implicit-def: $vgpr0
	s_and_saveexec_b64 s[26:27], s[22:23]
	s_xor_b64 s[28:29], exec, s[26:27]
	s_cbranch_execz .LBB10_1305
.LBB10_1273:                            ;   in Loop: Header=BB10_1151 Depth=3
	v_and_b32_e32 v2, 16, v55
	v_cmp_lt_i32_e32 vcc, 0, v15
	v_cmp_ne_u32_e64 s[26:27], 0, v2
	v_and_b32_e32 v0, 16, v55
	s_and_b64 vcc, s[26:27], vcc
	s_and_saveexec_b64 s[26:27], vcc
	s_cbranch_execz .LBB10_1275
; %bb.1274:                             ;   in Loop: Header=BB10_1151 Depth=3
	v_mov_b32_e32 v0, 1
	s_waitcnt vmcnt(0) lgkmcnt(0)
	buffer_wbinvl1_vol
.LBB10_1275:                            ;   in Loop: Header=BB10_1151 Depth=3
	s_or_b64 exec, exec, s[26:27]
	s_andn2_saveexec_b64 s[26:27], s[28:29]
	s_cbranch_execz .LBB10_1324
	s_branch .LBB10_1306
.LBB10_1276:                            ;   in Loop: Header=BB10_1151 Depth=3
	v_ashrrev_i32_e32 v0, 31, v17
	v_lshrrev_b32_e32 v0, 20, v0
	v_add_u32_e32 v0, v17, v0
	v_ashrrev_i32_e32 v0, 12, v0
	v_sub_u32_e32 v9, v0, v60
	v_cmp_lt_i32_e32 vcc, 0, v9
	s_and_saveexec_b64 s[26:27], vcc
	s_cbranch_execz .LBB10_1280
; %bb.1277:                             ;   in Loop: Header=BB10_1151 Depth=3
	s_trap 2
	ds_read_b64 v[2:3], v0
	s_mov_b64 s[28:29], 0
	v_accvgpr_read_b32 v8, a24
	v_accvgpr_read_b32 v21, a25
	s_waitcnt lgkmcnt(0)
	v_pk_mov_b32 v[4:5], v[2:3], v[2:3] op_sel:[0,1]
.LBB10_1278:                            ;   Parent Loop BB10_47 Depth=1
                                        ;     Parent Loop BB10_1148 Depth=2
                                        ;       Parent Loop BB10_1151 Depth=3
                                        ; =>      This Inner Loop Header: Depth=4
	v_add_co_u32_e32 v18, vcc, v8, v4
	v_addc_co_u32_e32 v19, vcc, v21, v5, vcc
	global_load_dwordx4 v[10:13], v[18:19], off glc slc
	global_load_dwordx4 v[22:25], v[18:19], off offset:1024 glc slc
	global_load_dwordx4 v[38:41], v[18:19], off offset:2048 glc slc
	;; [unrolled: 1-line block ×3, first 2 shown]
	v_add_co_u32_e32 v18, vcc, v8, v2
	v_addc_co_u32_e32 v19, vcc, v21, v3, vcc
	v_add_co_u32_e32 v4, vcc, v4, v31
	v_addc_co_u32_e32 v5, vcc, v5, v1, vcc
	v_add_co_u32_e32 v2, vcc, v2, v31
	v_sub_u32_e32 v9, v9, v54
	v_addc_co_u32_e32 v3, vcc, v3, v1, vcc
	v_cmp_gt_i32_e32 vcc, 1, v9
	s_or_b64 s[28:29], vcc, s[28:29]
	s_waitcnt vmcnt(0)
	global_store_dwordx4 v[18:19], v[10:13], off glc slc
	global_store_dwordx4 v[18:19], v[22:25], off offset:1024 glc slc
	global_store_dwordx4 v[18:19], v[38:41], off offset:2048 glc slc
	;; [unrolled: 1-line block ×3, first 2 shown]
	s_andn2_b64 exec, exec, s[28:29]
	s_cbranch_execnz .LBB10_1278
; %bb.1279:                             ;   in Loop: Header=BB10_1151 Depth=3
	s_or_b64 exec, exec, s[28:29]
	v_accvgpr_read_b32 v59, a13
	v_accvgpr_read_b32 v25, a17
	;; [unrolled: 1-line block ×4, first 2 shown]
	v_mov_b32_e32 v57, 1
.LBB10_1280:                            ;   in Loop: Header=BB10_1151 Depth=3
	s_or_b64 exec, exec, s[26:27]
	v_lshlrev_b32_e32 v8, 12, v0
	v_cmp_ne_u32_e32 vcc, v17, v8
	s_mov_b64 s[30:31], 0
	v_mov_b32_e32 v0, 0
                                        ; implicit-def: $vgpr10
                                        ; implicit-def: $vgpr4
	s_and_saveexec_b64 s[28:29], vcc
	s_cbranch_execz .LBB10_1288
; %bb.1281:                             ;   in Loop: Header=BB10_1151 Depth=3
	v_lshlrev_b32_e32 v0, 6, v9
	v_accvgpr_read_b32 v3, a22
	v_sub_u32_e32 v0, v3, v0
	v_ashrrev_i32_e32 v3, 31, v0
	v_lshrrev_b32_e32 v3, 26, v3
	v_add_u32_e32 v3, v0, v3
	v_sub_u32_e32 v2, v17, v8
	v_ashrrev_i32_e32 v5, 6, v3
	v_and_b32_e32 v3, 0xffffffc0, v3
	v_sub_u32_e32 v9, v0, v3
	v_ashrrev_i32_e32 v3, 31, v2
	v_lshrrev_b32_e32 v3, 22, v3
	v_add_u32_e32 v3, v2, v3
	v_and_b32_e32 v11, 0xfffffc00, v3
	v_lshlrev_b32_e32 v0, 4, v9
	v_sub_u32_e32 v13, v2, v11
	v_lshl_add_u32 v4, v5, 10, v0
	v_ashrrev_i32_e32 v10, 10, v3
	v_cmp_lt_i32_e32 vcc, 15, v13
	v_sub_u32_e32 v0, v2, v4
	v_addc_co_u32_e64 v2, s[26:27], 0, v10, vcc
	v_sub_u32_e32 v12, v2, v5
	v_cmp_lt_i32_e64 s[26:27], 15, v0
	s_and_saveexec_b64 s[30:31], s[26:27]
	s_cbranch_execz .LBB10_1285
; %bb.1282:                             ;   in Loop: Header=BB10_1151 Depth=3
	s_trap 2
	ds_read_b64 v[2:3], v0
	v_add_u32_e32 v4, v4, v8
	v_ashrrev_i32_e32 v5, 31, v4
	s_mov_b64 s[34:35], 0
.LBB10_1283:                            ;   Parent Loop BB10_47 Depth=1
                                        ;     Parent Loop BB10_1148 Depth=2
                                        ;       Parent Loop BB10_1151 Depth=3
                                        ; =>      This Inner Loop Header: Depth=4
	s_waitcnt lgkmcnt(0)
	v_add_co_u32_e64 v18, s[26:27], v2, v4
	v_addc_co_u32_e64 v19, s[26:27], v3, v5, s[26:27]
	global_load_dwordx4 v[22:25], v[18:19], off glc slc
	v_add_co_u32_e64 v4, s[26:27], v4, v42
	v_sub_u32_e32 v0, v0, v46
	v_addc_co_u32_e64 v5, s[26:27], v5, v43, s[26:27]
	v_cmp_gt_i32_e64 s[26:27], 16, v0
	v_sub_u32_e32 v12, v12, v54
	s_or_b64 s[34:35], s[26:27], s[34:35]
	s_waitcnt vmcnt(0)
	global_store_dwordx4 v[18:19], v[22:25], off glc slc
	s_andn2_b64 exec, exec, s[34:35]
	s_cbranch_execnz .LBB10_1283
; %bb.1284:                             ;   in Loop: Header=BB10_1151 Depth=3
	s_or_b64 exec, exec, s[34:35]
	v_accvgpr_read_b32 v25, a17
	v_accvgpr_read_b32 v24, a16
.LBB10_1285:                            ;   in Loop: Header=BB10_1151 Depth=3
	s_or_b64 exec, exec, s[30:31]
	v_and_b32_e32 v2, 14, v17
	v_cndmask_b32_e32 v17, v13, v2, vcc
	v_cmp_ne_u32_e64 s[26:27], 0, v17
	s_mov_b64 s[30:31], 0
	v_mov_b32_e32 v0, 0
                                        ; implicit-def: $vgpr10
                                        ; implicit-def: $vgpr4
	s_and_saveexec_b64 s[34:35], s[26:27]
	s_cbranch_execz .LBB10_1287
; %bb.1286:                             ;   in Loop: Header=BB10_1151 Depth=3
	v_sub_u32_e32 v0, v13, v2
	v_cndmask_b32_e32 v0, 0, v0, vcc
	v_cmp_lt_i32_e32 vcc, 0, v12
	v_cndmask_b32_e32 v2, 0, v54, vcc
	v_sub_u32_e32 v2, v2, v12
	v_lshl_add_u32 v10, v2, 6, v9
	v_ashrrev_i32_e32 v2, 31, v10
	v_lshrrev_b32_e32 v2, 26, v2
	v_add_u32_e32 v2, v10, v2
	s_mov_b64 s[30:31], exec
	v_add3_u32 v0, v11, v8, v0
	v_ashrrev_i32_e32 v4, 6, v2
.LBB10_1287:                            ;   in Loop: Header=BB10_1151 Depth=3
	s_or_b64 exec, exec, s[34:35]
	s_and_b64 s[30:31], s[30:31], exec
.LBB10_1288:                            ;   in Loop: Header=BB10_1151 Depth=3
	s_or_b64 exec, exec, s[28:29]
	s_and_saveexec_b64 s[26:27], s[30:31]
	s_cbranch_execz .LBB10_1271
.LBB10_1289:                            ;   in Loop: Header=BB10_1151 Depth=3
	v_ashrrev_i32_e32 v2, 31, v17
	v_lshrrev_b32_e32 v2, 21, v2
	v_add_u32_e32 v2, v17, v2
	v_ashrrev_i32_e32 v12, 11, v2
	v_sub_u32_e32 v11, v12, v4
	v_cmp_lt_i32_e32 vcc, 0, v11
	s_and_saveexec_b64 s[28:29], vcc
	s_cbranch_execz .LBB10_1293
; %bb.1290:                             ;   in Loop: Header=BB10_1151 Depth=3
	v_ashrrev_i32_e32 v5, 31, v10
	v_lshrrev_b32_e32 v5, 26, v5
	s_trap 2
	ds_read_b64 v[2:3], v0
	v_add_u32_e32 v5, v10, v5
	v_and_b32_e32 v5, 0x7fffffc0, v5
	v_sub_u32_e32 v5, v10, v5
	v_lshlrev_b32_e32 v5, 1, v5
	v_lshlrev_b32_e32 v4, 11, v4
	v_add3_u32 v4, v5, v0, v4
	v_ashrrev_i32_e32 v5, 31, v4
	s_mov_b64 s[30:31], 0
	s_waitcnt lgkmcnt(0)
	v_pk_mov_b32 v[8:9], v[2:3], v[2:3] op_sel:[0,1]
.LBB10_1291:                            ;   Parent Loop BB10_47 Depth=1
                                        ;     Parent Loop BB10_1148 Depth=2
                                        ;       Parent Loop BB10_1151 Depth=3
                                        ; =>      This Inner Loop Header: Depth=4
	v_add_co_u32_e32 v18, vcc, v4, v8
	v_addc_co_u32_e32 v19, vcc, v5, v9, vcc
	flat_load_ushort v13, v[18:19] glc slc
	flat_load_ushort v20, v[18:19] offset:128 glc slc
	flat_load_ushort v21, v[18:19] offset:256 glc slc
	;; [unrolled: 1-line block ×15, first 2 shown]
	v_add_co_u32_e32 v18, vcc, v4, v2
	v_addc_co_u32_e32 v19, vcc, v5, v3, vcc
	v_add_co_u32_e32 v8, vcc, v8, v28
	v_addc_co_u32_e32 v9, vcc, v9, v29, vcc
	v_add_co_u32_e32 v2, vcc, v2, v28
	v_sub_u32_e32 v11, v11, v54
	v_addc_co_u32_e32 v3, vcc, v3, v29, vcc
	v_cmp_gt_i32_e32 vcc, 1, v11
	s_or_b64 s[30:31], vcc, s[30:31]
	s_waitcnt vmcnt(0) lgkmcnt(0)
	flat_store_short v[18:19], v13 glc slc
	flat_store_short v[18:19], v20 offset:128 glc slc
	flat_store_short v[18:19], v21 offset:256 glc slc
	;; [unrolled: 1-line block ×15, first 2 shown]
	s_andn2_b64 exec, exec, s[30:31]
	s_cbranch_execnz .LBB10_1291
; %bb.1292:                             ;   in Loop: Header=BB10_1151 Depth=3
	s_or_b64 exec, exec, s[30:31]
	v_accvgpr_read_b32 v59, a13
	v_accvgpr_read_b32 v25, a17
	v_accvgpr_read_b32 v58, a12
	v_accvgpr_read_b32 v24, a16
	v_accvgpr_read_b32 v46, a14
	v_mov_b32_e32 v57, 1
.LBB10_1293:                            ;   in Loop: Header=BB10_1151 Depth=3
	s_or_b64 exec, exec, s[28:29]
	v_lshlrev_b32_e32 v2, 11, v12
	v_cmp_ne_u32_e32 vcc, v17, v2
	s_and_saveexec_b64 s[28:29], vcc
	s_cbranch_execz .LBB10_1297
; %bb.1294:                             ;   in Loop: Header=BB10_1151 Depth=3
	v_ashrrev_i32_e32 v3, 31, v10
	v_lshrrev_b32_e32 v3, 26, v3
	v_add_u32_e32 v3, v10, v3
	v_and_b32_e32 v3, 0xffffffc0, v3
	v_sub_u32_e32 v3, v10, v3
	v_lshlrev_b32_e32 v4, 6, v11
	v_sub_u32_e32 v3, v3, v4
	v_ashrrev_i32_e32 v4, 31, v3
	v_lshrrev_b32_e32 v4, 26, v4
	v_add_u32_e32 v4, v3, v4
	v_and_b32_e32 v5, 0x7fffffc0, v4
	v_sub_u32_e32 v3, v3, v5
	v_lshlrev_b32_e32 v4, 1, v4
	v_and_b32_e32 v4, 0xffffff80, v4
	v_lshlrev_b32_e32 v3, 1, v3
	v_add3_u32 v4, v4, v3, v2
	v_sub_u32_e32 v8, v17, v4
	v_cmp_lt_i32_e32 vcc, 1, v8
	s_and_b64 exec, exec, vcc
	s_cbranch_execz .LBB10_1297
; %bb.1295:                             ;   in Loop: Header=BB10_1151 Depth=3
	s_trap 2
	ds_read_b64 v[2:3], v0
	v_add_u32_e32 v4, v4, v0
	v_ashrrev_i32_e32 v5, 31, v4
	s_mov_b64 s[30:31], 0
.LBB10_1296:                            ;   Parent Loop BB10_47 Depth=1
                                        ;     Parent Loop BB10_1148 Depth=2
                                        ;       Parent Loop BB10_1151 Depth=3
                                        ; =>      This Inner Loop Header: Depth=4
	s_waitcnt lgkmcnt(0)
	v_add_co_u32_e32 v10, vcc, v2, v4
	v_addc_co_u32_e32 v11, vcc, v3, v5, vcc
	flat_load_ushort v0, v[10:11] glc slc
	v_add_co_u32_e32 v4, vcc, v4, v44
	v_sub_u32_e32 v8, v8, v61
	v_addc_co_u32_e32 v5, vcc, v5, v45, vcc
	v_cmp_gt_i32_e32 vcc, 2, v8
	s_or_b64 s[30:31], vcc, s[30:31]
	s_waitcnt vmcnt(0) lgkmcnt(0)
	flat_store_short v[10:11], v0 glc slc
	s_andn2_b64 exec, exec, s[30:31]
	s_cbranch_execnz .LBB10_1296
.LBB10_1297:                            ;   in Loop: Header=BB10_1151 Depth=3
	s_or_b64 exec, exec, s[28:29]
	s_or_b64 exec, exec, s[26:27]
	s_and_saveexec_b64 s[26:27], s[10:11]
	s_cbranch_execnz .LBB10_1227
	s_branch .LBB10_1272
.LBB10_1298:                            ;   in Loop: Header=BB10_1151 Depth=3
	s_or_b64 exec, exec, s[58:59]
	s_and_saveexec_b64 vcc, s[60:61]
	s_xor_b64 vcc, exec, vcc
	s_cbranch_execz .LBB10_1300
; %bb.1299:                             ;   in Loop: Header=BB10_1151 Depth=3
	ds_write_b32 v0, v57
	s_trap 2
.LBB10_1300:                            ;   in Loop: Header=BB10_1151 Depth=3
	s_or_b64 exec, exec, s[34:35]
	;;#ASMSTART
	s_wakeup
	;;#ASMEND
.LBB10_1301:                            ;   in Loop: Header=BB10_1151 Depth=3
	s_or_b64 exec, exec, s[30:31]
.LBB10_1302:                            ;   in Loop: Header=BB10_1151 Depth=3
	s_andn2_saveexec_b64 s[28:29], s[28:29]
	s_cbranch_execz .LBB10_1304
; %bb.1303:                             ;   in Loop: Header=BB10_1151 Depth=3
	s_waitcnt vmcnt(0) lgkmcnt(0)
	buffer_wbinvl1_vol
	s_barrier
.LBB10_1304:                            ;   in Loop: Header=BB10_1151 Depth=3
	s_or_b64 exec, exec, s[28:29]
	s_or_b64 exec, exec, s[26:27]
                                        ; implicit-def: $vgpr0
	s_and_saveexec_b64 s[26:27], s[22:23]
	s_xor_b64 s[28:29], exec, s[26:27]
	s_cbranch_execnz .LBB10_1273
.LBB10_1305:                            ;   in Loop: Header=BB10_1151 Depth=3
	s_andn2_saveexec_b64 s[26:27], s[28:29]
	s_cbranch_execz .LBB10_1324
.LBB10_1306:                            ;   in Loop: Header=BB10_1151 Depth=3
	s_and_saveexec_b64 s[28:29], s[48:49]
	s_xor_b64 s[28:29], exec, s[28:29]
	s_cbranch_execz .LBB10_1321
; %bb.1307:                             ;   in Loop: Header=BB10_1151 Depth=3
	s_and_saveexec_b64 s[30:31], s[16:17]
	s_cbranch_execz .LBB10_1320
; %bb.1308:                             ;   in Loop: Header=BB10_1151 Depth=3
	s_mov_b64 s[58:59], exec
	v_mbcnt_lo_u32_b32 v0, s58, 0
	v_mbcnt_hi_u32_b32 v0, s59, v0
	v_cmp_eq_u32_e32 vcc, 0, v0
	;;#ASMSTART
	s_waitcnt lgkmcnt(0) vmcnt(0)
	;;#ASMEND
	s_and_saveexec_b64 s[34:35], vcc
	s_cbranch_execz .LBB10_1310
; %bb.1309:                             ;   in Loop: Header=BB10_1151 Depth=3
	s_bcnt1_i32_b64 vcc_lo, s[58:59]
	v_mov_b32_e32 v2, vcc_lo
	v_mov_b32_e32 v3, v52
	ds_add_u64 v0, v[2:3]
	s_trap 2
.LBB10_1310:                            ;   in Loop: Header=BB10_1151 Depth=3
	s_or_b64 exec, exec, s[34:35]
	s_trap 2
	ds_read_b64 v[2:3], v0
	v_add_co_u32_e32 v48, vcc, v48, v54
	v_addc_co_u32_e32 v49, vcc, 0, v49, vcc
	s_waitcnt lgkmcnt(0)
	v_cmp_lt_u64_e32 vcc, v[2:3], v[48:49]
	s_and_saveexec_b64 s[34:35], vcc
	s_cbranch_execz .LBB10_1319
; %bb.1311:                             ;   in Loop: Header=BB10_1151 Depth=3
	s_mov_b32 s69, 0
	s_mov_b64 s[58:59], 0
                                        ; implicit-def: $sgpr60_sgpr61
                                        ; implicit-def: $sgpr62_sgpr63
	s_branch .LBB10_1313
.LBB10_1312:                            ;   in Loop: Header=BB10_1313 Depth=4
	s_or_b64 exec, exec, s[66:67]
	s_and_b64 vcc, exec, vcc
	s_or_b64 s[58:59], vcc, s[58:59]
	s_andn2_b64 vcc, s[60:61], exec
	s_and_b64 s[60:61], s[62:63], exec
	s_or_b64 s[60:61], vcc, s[60:61]
	s_andn2_b64 exec, exec, s[58:59]
	s_cbranch_execz .LBB10_1317
.LBB10_1313:                            ;   Parent Loop BB10_47 Depth=1
                                        ;     Parent Loop BB10_1148 Depth=2
                                        ;       Parent Loop BB10_1151 Depth=3
                                        ; =>      This Inner Loop Header: Depth=4
	s_add_i32 s69, s69, 1
	s_cmpk_lg_i32 s69, 0x2710
	s_cselect_b64 s[64:65], -1, 0
	s_and_b64 vcc, exec, s[64:65]
                                        ; implicit-def: $sgpr66_sgpr67
	s_cbranch_vccnz .LBB10_1315
; %bb.1314:                             ;   in Loop: Header=BB10_1313 Depth=4
	s_trap 2
	ds_read_b64 v[2:3], v0
	s_andn2_b64 s[64:65], s[64:65], exec
	s_mov_b32 s69, 0
	s_mov_b64 s[66:67], -1
	s_waitcnt vmcnt(0) lgkmcnt(0)
	flat_load_dword v0, v[2:3] glc
	s_waitcnt vmcnt(0) lgkmcnt(0)
	buffer_invl2
	buffer_wbinvl1_vol
	v_cmp_eq_u32_e32 vcc, 0, v0
	s_and_b64 vcc, vcc, exec
	s_or_b64 s[64:65], s[64:65], vcc
.LBB10_1315:                            ;   in Loop: Header=BB10_1313 Depth=4
	s_andn2_b64 s[62:63], s[62:63], exec
	s_and_b64 s[66:67], s[66:67], exec
	s_mov_b64 vcc, -1
	s_or_b64 s[62:63], s[62:63], s[66:67]
	s_and_saveexec_b64 s[66:67], s[64:65]
	s_cbranch_execz .LBB10_1312
; %bb.1316:                             ;   in Loop: Header=BB10_1313 Depth=4
	s_sleep 1
	s_trap 2
	ds_read_b64 v[2:3], v0
	s_andn2_b64 s[62:63], s[62:63], exec
	s_waitcnt lgkmcnt(0)
	v_cmp_ge_u64_e32 vcc, v[2:3], v[48:49]
	s_orn2_b64 vcc, vcc, exec
	s_branch .LBB10_1312
.LBB10_1317:                            ;   in Loop: Header=BB10_1151 Depth=3
	s_or_b64 exec, exec, s[58:59]
	s_and_saveexec_b64 vcc, s[60:61]
	s_xor_b64 vcc, exec, vcc
	s_cbranch_execz .LBB10_1319
; %bb.1318:                             ;   in Loop: Header=BB10_1151 Depth=3
	ds_write_b32 v0, v57
	s_trap 2
.LBB10_1319:                            ;   in Loop: Header=BB10_1151 Depth=3
	s_or_b64 exec, exec, s[34:35]
	;;#ASMSTART
	s_wakeup
	;;#ASMEND
.LBB10_1320:                            ;   in Loop: Header=BB10_1151 Depth=3
	s_or_b64 exec, exec, s[30:31]
.LBB10_1321:                            ;   in Loop: Header=BB10_1151 Depth=3
	s_andn2_saveexec_b64 s[28:29], s[28:29]
	s_cbranch_execz .LBB10_1323
; %bb.1322:                             ;   in Loop: Header=BB10_1151 Depth=3
	;;#ASMSTART
	s_waitcnt lgkmcnt(0) vmcnt(0)
	;;#ASMEND
	s_barrier
.LBB10_1323:                            ;   in Loop: Header=BB10_1151 Depth=3
	s_or_b64 exec, exec, s[28:29]
	v_and_b32_e32 v0, 16, v55
.LBB10_1324:                            ;   in Loop: Header=BB10_1151 Depth=3
	s_or_b64 exec, exec, s[26:27]
	v_cmp_ne_u32_e32 vcc, 0, v0
	s_xor_b64 s[26:27], s[12:13], -1
	s_and_b64 s[28:29], vcc, s[26:27]
	s_and_saveexec_b64 s[26:27], s[28:29]
	s_cbranch_execz .LBB10_1326
; %bb.1325:                             ;   in Loop: Header=BB10_1151 Depth=3
	flat_store_dword v[58:59], v57
.LBB10_1326:                            ;   in Loop: Header=BB10_1151 Depth=3
	s_or_b64 exec, exec, s[26:27]
	v_and_b32_e32 v0, 48, v55
	v_cmp_ne_u32_e32 vcc, 0, v0
	s_and_saveexec_b64 s[26:27], vcc
	s_cbranch_execz .LBB10_1150
; %bb.1327:                             ;   in Loop: Header=BB10_1151 Depth=3
	v_add_co_u32_e32 v32, vcc, 2, v32
	v_addc_co_u32_e32 v33, vcc, 0, v33, vcc
	flat_store_dwordx2 v[34:35], v[32:33]
	s_branch .LBB10_1150
.LBB10_1328:                            ;   in Loop: Header=BB10_1148 Depth=2
	s_or_b64 exec, exec, s[36:37]
	v_cmp_gt_i32_e32 vcc, 2, v0
	s_and_saveexec_b64 s[28:29], vcc
	s_cbranch_execz .LBB10_1404
.LBB10_1329:                            ;   in Loop: Header=BB10_1148 Depth=2
	v_cmp_eq_u32_e64 s[26:27], 0, v0
	s_mov_b64 s[30:31], 0
	s_branch .LBB10_1331
.LBB10_1330:                            ;   in Loop: Header=BB10_1331 Depth=3
	s_or_b64 exec, exec, s[26:27]
	v_add_u32_e32 v16, v14, v16
	s_mov_b64 s[26:27], 0
	s_andn2_b64 exec, exec, s[30:31]
	s_cbranch_execz .LBB10_1405
.LBB10_1331:                            ;   Parent Loop BB10_47 Depth=1
                                        ;     Parent Loop BB10_1148 Depth=2
                                        ; =>    This Loop Header: Depth=3
                                        ;         Child Loop BB10_1337 Depth 4
                                        ;         Child Loop BB10_1369 Depth 4
	;; [unrolled: 1-line block ×3, first 2 shown]
	v_and_b32_e32 v0, 12, v55
	s_mov_b64 s[36:37], -1
	v_cmp_ne_u32_e32 vcc, 0, v0
	s_and_saveexec_b64 s[34:35], vcc
	s_cbranch_execz .LBB10_1343
; %bb.1332:                             ;   in Loop: Header=BB10_1331 Depth=3
	v_and_b32_e32 v2, 8, v55
	v_add_co_u32_e32 v8, vcc, v50, v2
	v_addc_co_u32_e32 v9, vcc, 0, v51, vcc
	v_add_co_u32_e32 v4, vcc, 2, v32
	v_addc_co_u32_e32 v5, vcc, 0, v33, vcc
	v_cmp_lt_u64_e32 vcc, v[8:9], v[4:5]
	v_mov_b32_e32 v0, 1
	s_and_saveexec_b64 s[36:37], vcc
	s_cbranch_execz .LBB10_1342
; %bb.1333:                             ;   in Loop: Header=BB10_1331 Depth=3
	s_mov_b64 s[38:39], 0
	v_mov_b32_e32 v0, 0
                                        ; implicit-def: $sgpr56_sgpr57
	s_branch .LBB10_1337
.LBB10_1334:                            ;   in Loop: Header=BB10_1337 Depth=4
	s_or_b64 exec, exec, s[64:65]
	v_mov_b32_e32 v3, 0
	s_orn2_b64 s[62:63], s[62:63], exec
.LBB10_1335:                            ;   in Loop: Header=BB10_1337 Depth=4
	s_or_b64 exec, exec, s[60:61]
	s_andn2_b64 vcc, s[56:57], exec
	s_and_b64 s[56:57], s[62:63], exec
	s_or_b64 s[56:57], vcc, s[56:57]
	v_mov_b32_e32 v0, v3
.LBB10_1336:                            ;   in Loop: Header=BB10_1337 Depth=4
	s_or_b64 exec, exec, s[58:59]
	s_waitcnt vmcnt(0) lgkmcnt(0)
	v_add_co_u32_e32 v8, vcc, v50, v2
	v_addc_co_u32_e32 v9, vcc, 0, v51, vcc
	v_cmp_ge_u64_e32 vcc, v[8:9], v[4:5]
	s_xor_b64 s[58:59], s[56:57], -1
	s_or_b64 vcc, s[58:59], vcc
	s_and_b64 vcc, exec, vcc
	s_or_b64 s[38:39], vcc, s[38:39]
	s_andn2_b64 exec, exec, s[38:39]
	s_cbranch_execz .LBB10_1341
.LBB10_1337:                            ;   Parent Loop BB10_47 Depth=1
                                        ;     Parent Loop BB10_1148 Depth=2
                                        ;       Parent Loop BB10_1331 Depth=3
                                        ; =>      This Inner Loop Header: Depth=4
	s_sleep 1
	flat_load_dwordx2 v[50:51], v[34:35] glc
	v_and_b32_e32 v3, 64, v55
	v_cmp_eq_u32_e32 vcc, 0, v3
	s_andn2_b64 s[56:57], s[56:57], exec
	s_and_saveexec_b64 s[58:59], vcc
	s_cbranch_execz .LBB10_1336
; %bb.1338:                             ;   in Loop: Header=BB10_1337 Depth=4
	v_add_u32_e32 v3, 1, v0
	v_cmp_lt_i32_e32 vcc, s85, v0
	s_mov_b64 s[62:63], -1
	s_and_saveexec_b64 s[60:61], vcc
	s_cbranch_execz .LBB10_1335
; %bb.1339:                             ;   in Loop: Header=BB10_1337 Depth=4
	s_trap 2
	ds_read_b64 v[8:9], v0
	s_waitcnt vmcnt(0) lgkmcnt(0)
	flat_load_dword v0, v[8:9] glc
	s_waitcnt vmcnt(0) lgkmcnt(0)
	buffer_invl2
	buffer_wbinvl1_vol
	v_cmp_ne_u32_e32 vcc, 0, v0
	s_and_saveexec_b64 s[64:65], vcc
	s_cbranch_execz .LBB10_1334
; %bb.1340:                             ;   in Loop: Header=BB10_1337 Depth=4
	v_or_b32_e32 v55, 64, v55
	s_xor_b64 s[62:63], exec, -1
	ds_write_b32 v0, v0
	s_trap 2
	s_branch .LBB10_1334
.LBB10_1341:                            ;   in Loop: Header=BB10_1331 Depth=3
	s_or_b64 exec, exec, s[38:39]
	v_and_b32_e32 v0, 12, v55
.LBB10_1342:                            ;   in Loop: Header=BB10_1331 Depth=3
	s_or_b64 exec, exec, s[36:37]
	v_cmp_eq_u32_e32 vcc, 0, v0
	s_orn2_b64 s[36:37], vcc, exec
	;;#ASMSTART
	s_wakeup
	;;#ASMEND
.LBB10_1343:                            ;   in Loop: Header=BB10_1331 Depth=3
	s_or_b64 exec, exec, s[34:35]
	s_xor_b64 s[26:27], s[26:27], -1
	s_and_b64 s[26:27], exec, s[26:27]
	s_or_b64 s[30:31], s[26:27], s[30:31]
	v_sub_u32_e32 v0, v53, v16
	s_xor_b64 s[26:27], s[36:37], -1
	v_min_i32_e32 v14, v14, v0
	s_and_saveexec_b64 s[34:35], s[26:27]
	s_cbranch_execz .LBB10_1361
; %bb.1344:                             ;   in Loop: Header=BB10_1331 Depth=3
	v_and_b32_e32 v0, 0x108, v55
	v_cmp_ne_u32_e32 vcc, s86, v0
	v_and_b32_e32 v2, 7, v32
	s_and_saveexec_b64 s[26:27], vcc
	s_xor_b64 s[26:27], exec, s[26:27]
                                        ; implicit-def: $vgpr4_vgpr5
; %bb.1345:                             ;   in Loop: Header=BB10_1331 Depth=3
	v_mov_b32_e32 v5, v52
; %bb.1346:                             ;   in Loop: Header=BB10_1331 Depth=3
	s_andn2_saveexec_b64 s[26:27], s[26:27]
	s_cbranch_execz .LBB10_1348
; %bb.1347:                             ;   in Loop: Header=BB10_1331 Depth=3
	v_ashrrev_i32_e32 v15, 31, v14
	v_mov_b32_e32 v5, v52
	v_mad_u64_u32 v[8:9], vcc, v2, 24, v[6:7]
	v_lshlrev_b64 v[10:11], 1, v[14:15]
	flat_store_dwordx2 v[8:9], v[10:11] offset:8
.LBB10_1348:                            ;   in Loop: Header=BB10_1331 Depth=3
	s_or_b64 exec, exec, s[26:27]
	v_and_b32_e32 v0, 0x100, v55
	v_cmp_ne_u32_e32 vcc, 0, v0
	s_mov_b64 s[26:27], -1
                                        ; implicit-def: $vgpr8_vgpr9
	s_and_saveexec_b64 s[36:37], vcc
	s_cbranch_execz .LBB10_1352
; %bb.1349:                             ;   in Loop: Header=BB10_1331 Depth=3
	v_mad_u64_u32 v[10:11], s[26:27], v2, 24, v[6:7]
	v_mov_b32_e32 v0, v11
	v_mad_u64_u32 v[8:9], s[26:27], v5, 24, v[0:1]
	v_mov_b32_e32 v11, v8
	flat_load_dword v0, v[10:11]
                                        ; implicit-def: $vgpr8_vgpr9
	s_waitcnt vmcnt(0) lgkmcnt(0)
	v_cmp_ne_u32_e32 vcc, 1, v0
	v_cmp_eq_u32_e64 s[26:27], 1, v0
	s_and_saveexec_b64 s[38:39], s[26:27]
	s_cbranch_execz .LBB10_1351
; %bb.1350:                             ;   in Loop: Header=BB10_1331 Depth=3
	flat_load_dword v8, v[10:11] offset:4 glc
	s_waitcnt vmcnt(0) lgkmcnt(0)
	v_ashrrev_i32_e32 v9, 31, v8
	v_lshrrev_b64 v[8:9], 1, v[8:9]
.LBB10_1351:                            ;   in Loop: Header=BB10_1331 Depth=3
	s_or_b64 exec, exec, s[38:39]
	s_orn2_b64 s[26:27], vcc, exec
.LBB10_1352:                            ;   in Loop: Header=BB10_1331 Depth=3
	s_or_b64 exec, exec, s[36:37]
	s_and_saveexec_b64 vcc, s[26:27]
; %bb.1353:                             ;   in Loop: Header=BB10_1331 Depth=3
	v_accvgpr_read_b32 v3, a15
	v_mul_lo_u32 v0, v5, v30
	v_mul_lo_u32 v3, v2, v3
	v_mad_u64_u32 v[8:9], s[26:27], v2, v30, 0
	v_add3_u32 v9, v9, v3, v0
; %bb.1354:                             ;   in Loop: Header=BB10_1331 Depth=3
	s_or_b64 exec, exec, vcc
	v_lshlrev_b64 v[2:3], 1, v[8:9]
	v_add_co_u32_e32 v2, vcc, v36, v2
	v_addc_co_u32_e32 v3, vcc, v37, v3, vcc
	s_trap 2
	ds_write_b64 v0, v[2:3]
	v_and_b32_e32 v0, 0x2000, v55
	v_cmp_ne_u32_e32 vcc, 0, v0
	s_and_saveexec_b64 s[26:27], vcc
	s_cbranch_execz .LBB10_1356
; %bb.1355:                             ;   in Loop: Header=BB10_1331 Depth=3
	ds_read_b64 v[2:3], v0 offset:584
	s_waitcnt lgkmcnt(0)
	v_add_co_u32_e32 v2, vcc, 1, v2
	v_addc_co_u32_e32 v3, vcc, 0, v3, vcc
	ds_write_b64 v0, v[2:3] offset:584
.LBB10_1356:                            ;   in Loop: Header=BB10_1331 Depth=3
	s_or_b64 exec, exec, s[26:27]
	v_add_co_u32_e32 v32, vcc, 2, v32
	v_addc_co_u32_e32 v33, vcc, 0, v33, vcc
	s_or_b64 exec, exec, s[34:35]
	s_and_saveexec_b64 s[26:27], s[10:11]
	s_cbranch_execnz .LBB10_1362
.LBB10_1357:                            ;   in Loop: Header=BB10_1331 Depth=3
	s_or_b64 exec, exec, s[26:27]
                                        ; implicit-def: $vgpr0
	s_and_saveexec_b64 s[26:27], s[22:23]
	s_xor_b64 s[26:27], exec, s[26:27]
	s_cbranch_execz .LBB10_1380
.LBB10_1358:                            ;   in Loop: Header=BB10_1331 Depth=3
	s_trap 2
	ds_read_b32 v2, v0
	v_cmp_lt_i32_e32 vcc, 0, v14
	v_and_b32_e32 v3, 16, v55
	v_and_b32_e32 v0, 16, v55
	s_waitcnt lgkmcnt(0)
	v_readfirstlane_b32 s34, v2
	s_cmp_eq_u32 s34, 0
	s_cselect_b64 s[34:35], -1, 0
	s_and_b64 s[34:35], vcc, s[34:35]
	v_cmp_ne_u32_e32 vcc, 0, v3
	s_and_b64 s[34:35], vcc, s[34:35]
	s_and_saveexec_b64 vcc, s[34:35]
	s_cbranch_execz .LBB10_1360
; %bb.1359:                             ;   in Loop: Header=BB10_1331 Depth=3
	v_mov_b32_e32 v0, 1
	s_waitcnt vmcnt(0)
	buffer_wbinvl1_vol
.LBB10_1360:                            ;   in Loop: Header=BB10_1331 Depth=3
	s_or_b64 exec, exec, vcc
	s_andn2_saveexec_b64 s[26:27], s[26:27]
	s_cbranch_execz .LBB10_1399
	s_branch .LBB10_1381
.LBB10_1361:                            ;   in Loop: Header=BB10_1331 Depth=3
	s_or_b64 exec, exec, s[34:35]
	s_and_saveexec_b64 s[26:27], s[10:11]
	s_cbranch_execz .LBB10_1357
.LBB10_1362:                            ;   in Loop: Header=BB10_1331 Depth=3
	s_and_saveexec_b64 vcc, s[48:49]
	s_xor_b64 s[34:35], exec, vcc
	s_cbranch_execz .LBB10_1377
; %bb.1363:                             ;   in Loop: Header=BB10_1331 Depth=3
	s_and_saveexec_b64 s[36:37], s[16:17]
	s_cbranch_execz .LBB10_1376
; %bb.1364:                             ;   in Loop: Header=BB10_1331 Depth=3
	s_mov_b64 s[56:57], exec
	v_mbcnt_lo_u32_b32 v0, s56, 0
	v_mbcnt_hi_u32_b32 v0, s57, v0
	v_cmp_eq_u32_e32 vcc, 0, v0
	s_waitcnt vmcnt(0) lgkmcnt(0)
	buffer_wbinvl1_vol
	s_and_saveexec_b64 s[38:39], vcc
	s_cbranch_execz .LBB10_1366
; %bb.1365:                             ;   in Loop: Header=BB10_1331 Depth=3
	s_bcnt1_i32_b64 vcc_lo, s[56:57]
	v_mov_b32_e32 v2, vcc_lo
	v_mov_b32_e32 v3, v52
	ds_add_u64 v0, v[2:3]
	s_trap 2
.LBB10_1366:                            ;   in Loop: Header=BB10_1331 Depth=3
	s_or_b64 exec, exec, s[38:39]
	s_trap 2
	ds_read_b64 v[2:3], v0
	v_add_co_u32_e32 v48, vcc, v48, v54
	v_addc_co_u32_e32 v49, vcc, 0, v49, vcc
	s_waitcnt lgkmcnt(0)
	v_cmp_lt_u64_e32 vcc, v[2:3], v[48:49]
	s_and_saveexec_b64 s[38:39], vcc
	s_cbranch_execz .LBB10_1375
; %bb.1367:                             ;   in Loop: Header=BB10_1331 Depth=3
	s_mov_b32 s66, 0
	s_mov_b64 s[56:57], 0
                                        ; implicit-def: $sgpr58_sgpr59
                                        ; implicit-def: $sgpr60_sgpr61
	s_branch .LBB10_1369
.LBB10_1368:                            ;   in Loop: Header=BB10_1369 Depth=4
	s_or_b64 exec, exec, s[64:65]
	s_and_b64 vcc, exec, vcc
	s_or_b64 s[56:57], vcc, s[56:57]
	s_andn2_b64 vcc, s[58:59], exec
	s_and_b64 s[58:59], s[60:61], exec
	s_or_b64 s[58:59], vcc, s[58:59]
	s_andn2_b64 exec, exec, s[56:57]
	s_cbranch_execz .LBB10_1373
.LBB10_1369:                            ;   Parent Loop BB10_47 Depth=1
                                        ;     Parent Loop BB10_1148 Depth=2
                                        ;       Parent Loop BB10_1331 Depth=3
                                        ; =>      This Inner Loop Header: Depth=4
	s_add_i32 s66, s66, 1
	s_cmpk_lg_i32 s66, 0x2710
	s_cselect_b64 s[62:63], -1, 0
	s_and_b64 vcc, exec, s[62:63]
                                        ; implicit-def: $sgpr64_sgpr65
	s_cbranch_vccnz .LBB10_1371
; %bb.1370:                             ;   in Loop: Header=BB10_1369 Depth=4
	s_trap 2
	ds_read_b64 v[2:3], v0
	s_andn2_b64 s[62:63], s[62:63], exec
	s_mov_b32 s66, 0
	s_mov_b64 s[64:65], -1
	s_waitcnt lgkmcnt(0)
	flat_load_dword v0, v[2:3] glc
	s_waitcnt vmcnt(0) lgkmcnt(0)
	buffer_invl2
	buffer_wbinvl1_vol
	v_cmp_eq_u32_e32 vcc, 0, v0
	s_and_b64 vcc, vcc, exec
	s_or_b64 s[62:63], s[62:63], vcc
.LBB10_1371:                            ;   in Loop: Header=BB10_1369 Depth=4
	s_andn2_b64 s[60:61], s[60:61], exec
	s_and_b64 s[64:65], s[64:65], exec
	s_mov_b64 vcc, -1
	s_or_b64 s[60:61], s[60:61], s[64:65]
	s_and_saveexec_b64 s[64:65], s[62:63]
	s_cbranch_execz .LBB10_1368
; %bb.1372:                             ;   in Loop: Header=BB10_1369 Depth=4
	s_sleep 1
	s_trap 2
	ds_read_b64 v[2:3], v0
	s_andn2_b64 s[60:61], s[60:61], exec
	s_waitcnt lgkmcnt(0)
	v_cmp_ge_u64_e32 vcc, v[2:3], v[48:49]
	s_orn2_b64 vcc, vcc, exec
	s_branch .LBB10_1368
.LBB10_1373:                            ;   in Loop: Header=BB10_1331 Depth=3
	s_or_b64 exec, exec, s[56:57]
	s_and_saveexec_b64 vcc, s[58:59]
	s_xor_b64 vcc, exec, vcc
	s_cbranch_execz .LBB10_1375
; %bb.1374:                             ;   in Loop: Header=BB10_1331 Depth=3
	ds_write_b32 v0, v57
	s_trap 2
.LBB10_1375:                            ;   in Loop: Header=BB10_1331 Depth=3
	s_or_b64 exec, exec, s[38:39]
	;;#ASMSTART
	s_wakeup
	;;#ASMEND
.LBB10_1376:                            ;   in Loop: Header=BB10_1331 Depth=3
	s_or_b64 exec, exec, s[36:37]
.LBB10_1377:                            ;   in Loop: Header=BB10_1331 Depth=3
	s_andn2_saveexec_b64 vcc, s[34:35]
	s_cbranch_execz .LBB10_1379
; %bb.1378:                             ;   in Loop: Header=BB10_1331 Depth=3
	s_waitcnt vmcnt(0) lgkmcnt(0)
	buffer_wbinvl1_vol
	s_barrier
.LBB10_1379:                            ;   in Loop: Header=BB10_1331 Depth=3
	s_or_b64 exec, exec, vcc
	s_or_b64 exec, exec, s[26:27]
                                        ; implicit-def: $vgpr0
	s_and_saveexec_b64 s[26:27], s[22:23]
	s_xor_b64 s[26:27], exec, s[26:27]
	s_cbranch_execnz .LBB10_1358
.LBB10_1380:                            ;   in Loop: Header=BB10_1331 Depth=3
	s_andn2_saveexec_b64 s[26:27], s[26:27]
	s_cbranch_execz .LBB10_1399
.LBB10_1381:                            ;   in Loop: Header=BB10_1331 Depth=3
	s_and_saveexec_b64 vcc, s[48:49]
	s_xor_b64 s[34:35], exec, vcc
	s_cbranch_execz .LBB10_1396
; %bb.1382:                             ;   in Loop: Header=BB10_1331 Depth=3
	s_and_saveexec_b64 s[36:37], s[16:17]
	s_cbranch_execz .LBB10_1395
; %bb.1383:                             ;   in Loop: Header=BB10_1331 Depth=3
	s_mov_b64 s[56:57], exec
	v_mbcnt_lo_u32_b32 v0, s56, 0
	v_mbcnt_hi_u32_b32 v0, s57, v0
	v_cmp_eq_u32_e32 vcc, 0, v0
	;;#ASMSTART
	s_waitcnt lgkmcnt(0) vmcnt(0)
	;;#ASMEND
	s_and_saveexec_b64 s[38:39], vcc
	s_cbranch_execz .LBB10_1385
; %bb.1384:                             ;   in Loop: Header=BB10_1331 Depth=3
	s_bcnt1_i32_b64 vcc_lo, s[56:57]
	v_mov_b32_e32 v2, vcc_lo
	v_mov_b32_e32 v3, v52
	ds_add_u64 v0, v[2:3]
	s_trap 2
.LBB10_1385:                            ;   in Loop: Header=BB10_1331 Depth=3
	s_or_b64 exec, exec, s[38:39]
	s_trap 2
	ds_read_b64 v[2:3], v0
	v_add_co_u32_e32 v48, vcc, v48, v54
	v_addc_co_u32_e32 v49, vcc, 0, v49, vcc
	s_waitcnt lgkmcnt(0)
	v_cmp_lt_u64_e32 vcc, v[2:3], v[48:49]
	s_and_saveexec_b64 s[38:39], vcc
	s_cbranch_execz .LBB10_1394
; %bb.1386:                             ;   in Loop: Header=BB10_1331 Depth=3
	s_mov_b32 s66, 0
	s_mov_b64 s[56:57], 0
                                        ; implicit-def: $sgpr58_sgpr59
                                        ; implicit-def: $sgpr60_sgpr61
	s_branch .LBB10_1388
.LBB10_1387:                            ;   in Loop: Header=BB10_1388 Depth=4
	s_or_b64 exec, exec, s[64:65]
	s_and_b64 vcc, exec, vcc
	s_or_b64 s[56:57], vcc, s[56:57]
	s_andn2_b64 vcc, s[58:59], exec
	s_and_b64 s[58:59], s[60:61], exec
	s_or_b64 s[58:59], vcc, s[58:59]
	s_andn2_b64 exec, exec, s[56:57]
	s_cbranch_execz .LBB10_1392
.LBB10_1388:                            ;   Parent Loop BB10_47 Depth=1
                                        ;     Parent Loop BB10_1148 Depth=2
                                        ;       Parent Loop BB10_1331 Depth=3
                                        ; =>      This Inner Loop Header: Depth=4
	s_add_i32 s66, s66, 1
	s_cmpk_lg_i32 s66, 0x2710
	s_cselect_b64 s[62:63], -1, 0
	s_and_b64 vcc, exec, s[62:63]
                                        ; implicit-def: $sgpr64_sgpr65
	s_cbranch_vccnz .LBB10_1390
; %bb.1389:                             ;   in Loop: Header=BB10_1388 Depth=4
	s_trap 2
	ds_read_b64 v[2:3], v0
	s_andn2_b64 s[62:63], s[62:63], exec
	s_mov_b32 s66, 0
	s_mov_b64 s[64:65], -1
	s_waitcnt vmcnt(0) lgkmcnt(0)
	flat_load_dword v0, v[2:3] glc
	s_waitcnt vmcnt(0) lgkmcnt(0)
	buffer_invl2
	buffer_wbinvl1_vol
	v_cmp_eq_u32_e32 vcc, 0, v0
	s_and_b64 vcc, vcc, exec
	s_or_b64 s[62:63], s[62:63], vcc
.LBB10_1390:                            ;   in Loop: Header=BB10_1388 Depth=4
	s_andn2_b64 s[60:61], s[60:61], exec
	s_and_b64 s[64:65], s[64:65], exec
	s_mov_b64 vcc, -1
	s_or_b64 s[60:61], s[60:61], s[64:65]
	s_and_saveexec_b64 s[64:65], s[62:63]
	s_cbranch_execz .LBB10_1387
; %bb.1391:                             ;   in Loop: Header=BB10_1388 Depth=4
	s_sleep 1
	s_trap 2
	ds_read_b64 v[2:3], v0
	s_andn2_b64 s[60:61], s[60:61], exec
	s_waitcnt lgkmcnt(0)
	v_cmp_ge_u64_e32 vcc, v[2:3], v[48:49]
	s_orn2_b64 vcc, vcc, exec
	s_branch .LBB10_1387
.LBB10_1392:                            ;   in Loop: Header=BB10_1331 Depth=3
	s_or_b64 exec, exec, s[56:57]
	s_and_saveexec_b64 vcc, s[58:59]
	s_xor_b64 vcc, exec, vcc
	s_cbranch_execz .LBB10_1394
; %bb.1393:                             ;   in Loop: Header=BB10_1331 Depth=3
	ds_write_b32 v0, v57
	s_trap 2
.LBB10_1394:                            ;   in Loop: Header=BB10_1331 Depth=3
	s_or_b64 exec, exec, s[38:39]
	;;#ASMSTART
	s_wakeup
	;;#ASMEND
.LBB10_1395:                            ;   in Loop: Header=BB10_1331 Depth=3
	s_or_b64 exec, exec, s[36:37]
.LBB10_1396:                            ;   in Loop: Header=BB10_1331 Depth=3
	s_andn2_saveexec_b64 vcc, s[34:35]
	s_cbranch_execz .LBB10_1398
; %bb.1397:                             ;   in Loop: Header=BB10_1331 Depth=3
	;;#ASMSTART
	s_waitcnt lgkmcnt(0) vmcnt(0)
	;;#ASMEND
	s_barrier
.LBB10_1398:                            ;   in Loop: Header=BB10_1331 Depth=3
	s_or_b64 exec, exec, vcc
	v_and_b32_e32 v0, 16, v55
.LBB10_1399:                            ;   in Loop: Header=BB10_1331 Depth=3
	s_or_b64 exec, exec, s[26:27]
	v_cmp_ne_u32_e32 vcc, 0, v0
	s_xor_b64 s[26:27], s[12:13], -1
	s_and_b64 vcc, vcc, s[26:27]
	s_and_saveexec_b64 s[26:27], vcc
	s_cbranch_execz .LBB10_1401
; %bb.1400:                             ;   in Loop: Header=BB10_1331 Depth=3
	flat_store_dword v[58:59], v57
.LBB10_1401:                            ;   in Loop: Header=BB10_1331 Depth=3
	s_or_b64 exec, exec, s[26:27]
	v_and_b32_e32 v0, 48, v55
	v_cmp_ne_u32_e32 vcc, 0, v0
	s_and_saveexec_b64 s[26:27], vcc
	s_cbranch_execz .LBB10_1330
; %bb.1402:                             ;   in Loop: Header=BB10_1331 Depth=3
	v_add_co_u32_e32 v32, vcc, 2, v32
	v_addc_co_u32_e32 v33, vcc, 0, v33, vcc
	flat_store_dwordx2 v[34:35], v[32:33]
	s_branch .LBB10_1330
.LBB10_1403:                            ;   in Loop: Header=BB10_1148 Depth=2
	s_or_b64 exec, exec, s[38:39]
	s_or_b64 exec, exec, s[36:37]
	v_cmp_gt_i32_e32 vcc, 2, v0
	s_and_saveexec_b64 s[28:29], vcc
	s_cbranch_execnz .LBB10_1329
.LBB10_1404:                            ;   in Loop: Header=BB10_1148 Depth=2
	s_or_b64 exec, exec, s[28:29]
	s_add_i32 s26, s46, 1
	s_cmp_eq_u32 s46, s84
	s_cbranch_scc0 .LBB10_1406
	s_branch .LBB10_1407
.LBB10_1405:                            ;   in Loop: Header=BB10_1148 Depth=2
	s_or_b64 exec, exec, s[30:31]
	s_or_b64 exec, exec, s[28:29]
	s_add_i32 s26, s46, 1
	s_cmp_eq_u32 s46, s84
	s_cbranch_scc1 .LBB10_1407
.LBB10_1406:                            ;   in Loop: Header=BB10_1148 Depth=2
	s_mov_b32 s46, s26
	s_branch .LBB10_1148
.LBB10_1407:                            ;   in Loop: Header=BB10_47 Depth=1
	v_accvgpr_read_b32 v8, a30
	v_accvgpr_read_b32 v9, a31
	v_mul_lo_u32 v0, v9, s82
	v_mul_lo_u32 v2, v8, s83
	v_mad_u64_u32 v[4:5], s[26:27], v8, s82, 0
	v_add3_u32 v5, v5, v2, v0
	v_accvgpr_read_b32 v2, a32
	v_accvgpr_read_b32 v3, a33
	v_sub_co_u32_e32 v2, vcc, v2, v4
	v_subb_co_u32_e32 v3, vcc, v3, v5, vcc
	v_cmp_lt_i64_e32 vcc, v[8:9], v[2:3]
	v_cndmask_b32_e32 v0, v2, v8, vcc
	v_max_i32_e32 v14, 0, v0
	v_add_u32_e32 v2, 31, v14
	v_lshrrev_b32_e32 v2, 1, v2
	v_and_b32_e32 v2, 0x3ffffff0, v2
	v_cmp_lt_i32_e32 vcc, 0, v0
	v_max_i32_e32 v15, s81, v2
	s_and_b64 s[26:27], s[54:55], vcc
	v_mov_b32_e32 v0, 0
	v_mov_b32_e32 v2, 0
	s_and_saveexec_b64 s[28:29], s[26:27]
	s_cbranch_execz .LBB10_1547
; %bb.1408:                             ;   in Loop: Header=BB10_47 Depth=1
	v_accvgpr_read_b32 v2, a34
	v_accvgpr_read_b32 v3, a35
	v_add_co_u32_e32 v4, vcc, v4, v2
	v_addc_co_u32_e32 v5, vcc, v5, v3, vcc
	s_mov_b32 s46, 1
	s_mov_b64 s[34:35], -1
	s_mov_b64 s[30:31], 0
	v_mov_b32_e32 v2, 0
	v_lshlrev_b64 v[8:9], 1, v[4:5]
	s_branch .LBB10_1410
.LBB10_1409:                            ;   in Loop: Header=BB10_1410 Depth=2
	s_or_b64 exec, exec, s[26:27]
	v_add_u32_e32 v2, v15, v2
	v_cmp_ge_i32_e32 vcc, v2, v14
	s_xor_b64 s[26:27], s[34:35], -1
	s_or_b64 s[26:27], s[26:27], vcc
	s_and_b64 s[26:27], exec, s[26:27]
	s_or_b64 s[30:31], s[26:27], s[30:31]
	s_mov_b64 s[34:35], 0
	v_mov_b32_e32 v0, s46
	s_mov_b32 s46, 2
	s_andn2_b64 exec, exec, s[30:31]
	s_cbranch_execz .LBB10_1546
.LBB10_1410:                            ;   Parent Loop BB10_47 Depth=1
                                        ; =>  This Loop Header: Depth=2
                                        ;       Child Loop BB10_1418 Depth 3
                                        ;       Child Loop BB10_1442 Depth 3
	;; [unrolled: 1-line block ×9, first 2 shown]
	s_and_saveexec_b64 s[26:27], s[4:5]
	s_cbranch_execz .LBB10_1412
; %bb.1411:                             ;   in Loop: Header=BB10_1410 Depth=2
	s_trap 2
	ds_read_b128 v[10:13], v0
	v_ashrrev_i32_e32 v3, 31, v2
	v_lshlrev_b64 v[4:5], 1, v[2:3]
	s_waitcnt lgkmcnt(0)
	v_add_co_u32_e32 v0, vcc, v10, v8
	v_addc_co_u32_e32 v11, vcc, v11, v9, vcc
	v_add_co_u32_e32 v10, vcc, v0, v4
	v_addc_co_u32_e32 v11, vcc, v11, v5, vcc
	ds_write_b64 v0, v[10:11]
	v_add_co_u32_e32 v0, vcc, v12, v8
	v_addc_co_u32_e32 v3, vcc, v13, v9, vcc
	v_add_co_u32_e32 v0, vcc, v0, v4
	v_addc_co_u32_e32 v3, vcc, v3, v5, vcc
	v_cmp_ne_u64_e32 vcc, 0, v[12:13]
	v_cndmask_b32_e32 v5, 0, v3, vcc
	v_cndmask_b32_e32 v4, 0, v0, vcc
	ds_write_b64 v0, v[4:5]
.LBB10_1412:                            ;   in Loop: Header=BB10_1410 Depth=2
	s_or_b64 exec, exec, s[26:27]
	v_and_b32_e32 v0, 4, v55
	v_cmp_ne_u32_e32 vcc, 0, v0
	s_mov_b64 s[36:37], -1
	s_and_saveexec_b64 s[26:27], vcc
	s_cbranch_execz .LBB10_1422
; %bb.1413:                             ;   in Loop: Header=BB10_1410 Depth=2
	v_add_co_u32_e32 v4, vcc, 2, v32
	v_addc_co_u32_e32 v5, vcc, 0, v33, vcc
	v_cmp_lt_u64_e32 vcc, v[50:51], v[4:5]
	v_mov_b32_e32 v0, 1
	s_and_saveexec_b64 s[36:37], vcc
	s_cbranch_execz .LBB10_1433
; %bb.1414:                             ;   in Loop: Header=BB10_1410 Depth=2
	s_mov_b64 s[38:39], 0
	v_mov_b32_e32 v0, 0
                                        ; implicit-def: $sgpr56_sgpr57
	s_branch .LBB10_1418
.LBB10_1415:                            ;   in Loop: Header=BB10_1418 Depth=3
	s_or_b64 exec, exec, s[64:65]
	v_mov_b32_e32 v3, 0
	s_orn2_b64 s[62:63], s[62:63], exec
.LBB10_1416:                            ;   in Loop: Header=BB10_1418 Depth=3
	s_or_b64 exec, exec, s[60:61]
	s_andn2_b64 vcc, s[56:57], exec
	s_and_b64 s[56:57], s[62:63], exec
	s_or_b64 s[56:57], vcc, s[56:57]
	v_mov_b32_e32 v0, v3
.LBB10_1417:                            ;   in Loop: Header=BB10_1418 Depth=3
	s_or_b64 exec, exec, s[58:59]
	s_waitcnt vmcnt(0) lgkmcnt(0)
	v_cmp_ge_u64_e32 vcc, v[50:51], v[4:5]
	s_xor_b64 s[58:59], s[56:57], -1
	s_or_b64 vcc, s[58:59], vcc
	s_and_b64 vcc, exec, vcc
	s_or_b64 s[38:39], vcc, s[38:39]
	s_andn2_b64 exec, exec, s[38:39]
	s_cbranch_execz .LBB10_1432
.LBB10_1418:                            ;   Parent Loop BB10_47 Depth=1
                                        ;     Parent Loop BB10_1410 Depth=2
                                        ; =>    This Inner Loop Header: Depth=3
	s_sleep 1
	flat_load_dwordx2 v[50:51], v[34:35] glc
	v_and_b32_e32 v3, 64, v55
	v_cmp_eq_u32_e32 vcc, 0, v3
	s_andn2_b64 s[56:57], s[56:57], exec
	s_and_saveexec_b64 s[58:59], vcc
	s_cbranch_execz .LBB10_1417
; %bb.1419:                             ;   in Loop: Header=BB10_1418 Depth=3
	v_add_u32_e32 v3, 1, v0
	v_cmp_lt_i32_e32 vcc, s85, v0
	s_mov_b64 s[62:63], -1
	s_and_saveexec_b64 s[60:61], vcc
	s_cbranch_execz .LBB10_1416
; %bb.1420:                             ;   in Loop: Header=BB10_1418 Depth=3
	s_trap 2
	ds_read_b64 v[10:11], v0
	s_waitcnt vmcnt(0) lgkmcnt(0)
	flat_load_dword v0, v[10:11] glc
	s_waitcnt vmcnt(0) lgkmcnt(0)
	buffer_invl2
	buffer_wbinvl1_vol
	v_cmp_ne_u32_e32 vcc, 0, v0
	s_and_saveexec_b64 s[64:65], vcc
	s_cbranch_execz .LBB10_1415
; %bb.1421:                             ;   in Loop: Header=BB10_1418 Depth=3
	v_or_b32_e32 v55, 64, v55
	s_xor_b64 s[62:63], exec, -1
	ds_write_b32 v0, v0
	s_trap 2
	s_branch .LBB10_1415
.LBB10_1422:                            ;   in Loop: Header=BB10_1410 Depth=2
	s_or_b64 exec, exec, s[26:27]
	s_xor_b64 s[26:27], s[36:37], -1
	s_and_saveexec_b64 s[36:37], s[26:27]
	s_cbranch_execz .LBB10_1434
.LBB10_1423:                            ;   in Loop: Header=BB10_1410 Depth=2
	v_and_b32_e32 v0, 0x100, v55
	v_cmp_ne_u32_e32 vcc, 0, v0
	v_and_b32_e32 v0, 7, v32
	s_mov_b64 s[26:27], -1
                                        ; implicit-def: $vgpr4_vgpr5
	s_and_saveexec_b64 s[38:39], vcc
	s_cbranch_execz .LBB10_1427
; %bb.1424:                             ;   in Loop: Header=BB10_1410 Depth=2
	v_mad_u64_u32 v[10:11], s[26:27], v0, 24, v[6:7]
	flat_load_dword v3, v[10:11]
                                        ; implicit-def: $vgpr4_vgpr5
	s_waitcnt vmcnt(0) lgkmcnt(0)
	v_cmp_ne_u32_e32 vcc, 1, v3
	v_cmp_eq_u32_e64 s[26:27], 1, v3
	s_and_saveexec_b64 s[56:57], s[26:27]
	s_cbranch_execz .LBB10_1426
; %bb.1425:                             ;   in Loop: Header=BB10_1410 Depth=2
	flat_load_dword v4, v[10:11] offset:4 glc
	s_waitcnt vmcnt(0) lgkmcnt(0)
	v_ashrrev_i32_e32 v5, 31, v4
	v_lshrrev_b64 v[4:5], 1, v[4:5]
.LBB10_1426:                            ;   in Loop: Header=BB10_1410 Depth=2
	s_or_b64 exec, exec, s[56:57]
	s_orn2_b64 s[26:27], vcc, exec
.LBB10_1427:                            ;   in Loop: Header=BB10_1410 Depth=2
	s_or_b64 exec, exec, s[38:39]
	s_and_saveexec_b64 vcc, s[26:27]
; %bb.1428:                             ;   in Loop: Header=BB10_1410 Depth=2
	v_mad_i64_i32 v[4:5], s[26:27], v0, v30, 0
; %bb.1429:                             ;   in Loop: Header=BB10_1410 Depth=2
	s_or_b64 exec, exec, vcc
	v_lshlrev_b64 v[4:5], 1, v[4:5]
	v_add_co_u32_e32 v4, vcc, v36, v4
	v_addc_co_u32_e32 v5, vcc, v37, v5, vcc
	ds_write_b64 v0, v[4:5] offset:720
	v_and_b32_e32 v0, 0x2000, v55
	v_cmp_ne_u32_e32 vcc, 0, v0
	s_and_saveexec_b64 s[26:27], vcc
	s_cbranch_execz .LBB10_1431
; %bb.1430:                             ;   in Loop: Header=BB10_1410 Depth=2
	ds_read_b64 v[4:5], v0 offset:584
	s_waitcnt lgkmcnt(0)
	v_add_co_u32_e32 v4, vcc, 1, v4
	v_addc_co_u32_e32 v5, vcc, 0, v5, vcc
	ds_write_b64 v0, v[4:5] offset:584
.LBB10_1431:                            ;   in Loop: Header=BB10_1410 Depth=2
	s_or_b64 exec, exec, s[26:27]
	v_add_co_u32_e32 v32, vcc, 2, v32
	v_addc_co_u32_e32 v33, vcc, 0, v33, vcc
	s_or_b64 exec, exec, s[36:37]
	s_and_saveexec_b64 s[26:27], s[10:11]
	s_cbranch_execz .LBB10_1453
	s_branch .LBB10_1435
.LBB10_1432:                            ;   in Loop: Header=BB10_1410 Depth=2
	s_or_b64 exec, exec, s[38:39]
	v_and_b32_e32 v0, 4, v55
.LBB10_1433:                            ;   in Loop: Header=BB10_1410 Depth=2
	s_or_b64 exec, exec, s[36:37]
	v_cmp_eq_u32_e32 vcc, 0, v0
	s_orn2_b64 s[36:37], vcc, exec
	;;#ASMSTART
	s_wakeup
	;;#ASMEND
	s_or_b64 exec, exec, s[26:27]
	s_xor_b64 s[26:27], s[36:37], -1
	s_and_saveexec_b64 s[36:37], s[26:27]
	s_cbranch_execnz .LBB10_1423
.LBB10_1434:                            ;   in Loop: Header=BB10_1410 Depth=2
	s_or_b64 exec, exec, s[36:37]
	s_and_saveexec_b64 s[26:27], s[10:11]
	s_cbranch_execz .LBB10_1453
.LBB10_1435:                            ;   in Loop: Header=BB10_1410 Depth=2
	s_and_saveexec_b64 vcc, s[48:49]
	s_xor_b64 s[36:37], exec, vcc
	s_cbranch_execz .LBB10_1450
; %bb.1436:                             ;   in Loop: Header=BB10_1410 Depth=2
	s_and_saveexec_b64 s[38:39], s[16:17]
	s_cbranch_execz .LBB10_1449
; %bb.1437:                             ;   in Loop: Header=BB10_1410 Depth=2
	s_mov_b64 s[58:59], exec
	v_mbcnt_lo_u32_b32 v0, s58, 0
	v_mbcnt_hi_u32_b32 v0, s59, v0
	v_cmp_eq_u32_e32 vcc, 0, v0
	s_waitcnt vmcnt(0) lgkmcnt(0)
	buffer_wbinvl1_vol
	s_and_saveexec_b64 s[56:57], vcc
	s_cbranch_execz .LBB10_1439
; %bb.1438:                             ;   in Loop: Header=BB10_1410 Depth=2
	s_bcnt1_i32_b64 vcc_lo, s[58:59]
	v_mov_b32_e32 v4, vcc_lo
	v_mov_b32_e32 v5, v52
	ds_add_u64 v0, v[4:5]
	s_trap 2
.LBB10_1439:                            ;   in Loop: Header=BB10_1410 Depth=2
	s_or_b64 exec, exec, s[56:57]
	s_trap 2
	ds_read_b64 v[4:5], v0
	v_add_co_u32_e32 v48, vcc, v48, v54
	v_addc_co_u32_e32 v49, vcc, 0, v49, vcc
	s_waitcnt lgkmcnt(0)
	v_cmp_lt_u64_e32 vcc, v[4:5], v[48:49]
	s_and_saveexec_b64 s[56:57], vcc
	s_cbranch_execz .LBB10_1448
; %bb.1440:                             ;   in Loop: Header=BB10_1410 Depth=2
	s_mov_b32 s68, 0
	s_mov_b64 s[58:59], 0
                                        ; implicit-def: $sgpr60_sgpr61
                                        ; implicit-def: $sgpr62_sgpr63
	s_branch .LBB10_1442
.LBB10_1441:                            ;   in Loop: Header=BB10_1442 Depth=3
	s_or_b64 exec, exec, s[66:67]
	s_and_b64 vcc, exec, vcc
	s_or_b64 s[58:59], vcc, s[58:59]
	s_andn2_b64 vcc, s[60:61], exec
	s_and_b64 s[60:61], s[62:63], exec
	s_or_b64 s[60:61], vcc, s[60:61]
	s_andn2_b64 exec, exec, s[58:59]
	s_cbranch_execz .LBB10_1446
.LBB10_1442:                            ;   Parent Loop BB10_47 Depth=1
                                        ;     Parent Loop BB10_1410 Depth=2
                                        ; =>    This Inner Loop Header: Depth=3
	s_add_i32 s68, s68, 1
	s_cmpk_lg_i32 s68, 0x2710
	s_cselect_b64 s[64:65], -1, 0
	s_and_b64 vcc, exec, s[64:65]
                                        ; implicit-def: $sgpr66_sgpr67
	s_cbranch_vccnz .LBB10_1444
; %bb.1443:                             ;   in Loop: Header=BB10_1442 Depth=3
	s_trap 2
	ds_read_b64 v[4:5], v0
	s_andn2_b64 s[64:65], s[64:65], exec
	s_mov_b32 s68, 0
	s_mov_b64 s[66:67], -1
	s_waitcnt lgkmcnt(0)
	flat_load_dword v0, v[4:5] glc
	s_waitcnt vmcnt(0) lgkmcnt(0)
	buffer_invl2
	buffer_wbinvl1_vol
	v_cmp_eq_u32_e32 vcc, 0, v0
	s_and_b64 vcc, vcc, exec
	s_or_b64 s[64:65], s[64:65], vcc
.LBB10_1444:                            ;   in Loop: Header=BB10_1442 Depth=3
	s_andn2_b64 s[62:63], s[62:63], exec
	s_and_b64 s[66:67], s[66:67], exec
	s_mov_b64 vcc, -1
	s_or_b64 s[62:63], s[62:63], s[66:67]
	s_and_saveexec_b64 s[66:67], s[64:65]
	s_cbranch_execz .LBB10_1441
; %bb.1445:                             ;   in Loop: Header=BB10_1442 Depth=3
	s_sleep 1
	s_trap 2
	ds_read_b64 v[4:5], v0
	s_andn2_b64 s[62:63], s[62:63], exec
	s_waitcnt lgkmcnt(0)
	v_cmp_ge_u64_e32 vcc, v[4:5], v[48:49]
	s_orn2_b64 vcc, vcc, exec
	s_branch .LBB10_1441
.LBB10_1446:                            ;   in Loop: Header=BB10_1410 Depth=2
	s_or_b64 exec, exec, s[58:59]
	s_and_saveexec_b64 vcc, s[60:61]
	s_xor_b64 vcc, exec, vcc
	s_cbranch_execz .LBB10_1448
; %bb.1447:                             ;   in Loop: Header=BB10_1410 Depth=2
	ds_write_b32 v0, v57
	s_trap 2
.LBB10_1448:                            ;   in Loop: Header=BB10_1410 Depth=2
	s_or_b64 exec, exec, s[56:57]
	;;#ASMSTART
	s_wakeup
	;;#ASMEND
.LBB10_1449:                            ;   in Loop: Header=BB10_1410 Depth=2
	s_or_b64 exec, exec, s[38:39]
.LBB10_1450:                            ;   in Loop: Header=BB10_1410 Depth=2
	s_andn2_saveexec_b64 vcc, s[36:37]
	s_cbranch_execz .LBB10_1452
; %bb.1451:                             ;   in Loop: Header=BB10_1410 Depth=2
	s_waitcnt vmcnt(0) lgkmcnt(0)
	buffer_wbinvl1_vol
	s_barrier
.LBB10_1452:                            ;   in Loop: Header=BB10_1410 Depth=2
	s_or_b64 exec, exec, vcc
.LBB10_1453:                            ;   in Loop: Header=BB10_1410 Depth=2
	s_or_b64 exec, exec, s[26:27]
	s_trap 2
	ds_read_b32 v0, v0
	v_and_b32_e32 v3, 0x4000, v55
	v_cmp_ne_u32_e32 vcc, 0, v3
	s_xor_b64 s[26:27], s[6:7], -1
	s_and_b64 vcc, s[26:27], vcc
	s_and_saveexec_b64 s[26:27], vcc
	s_cbranch_execz .LBB10_1472
; %bb.1454:                             ;   in Loop: Header=BB10_1410 Depth=2
	s_and_saveexec_b64 vcc, s[48:49]
	s_xor_b64 s[36:37], exec, vcc
	s_cbranch_execz .LBB10_1469
; %bb.1455:                             ;   in Loop: Header=BB10_1410 Depth=2
	s_and_saveexec_b64 s[38:39], s[16:17]
	s_cbranch_execz .LBB10_1468
; %bb.1456:                             ;   in Loop: Header=BB10_1410 Depth=2
	s_mov_b64 s[58:59], exec
	v_mbcnt_lo_u32_b32 v3, s58, 0
	v_mbcnt_hi_u32_b32 v3, s59, v3
	v_cmp_eq_u32_e32 vcc, 0, v3
	s_waitcnt vmcnt(0) lgkmcnt(0)
	buffer_wbinvl1_vol
	s_and_saveexec_b64 s[56:57], vcc
	s_cbranch_execz .LBB10_1458
; %bb.1457:                             ;   in Loop: Header=BB10_1410 Depth=2
	s_bcnt1_i32_b64 vcc_lo, s[58:59]
	v_mov_b32_e32 v4, vcc_lo
	v_mov_b32_e32 v5, v52
	ds_add_u64 v0, v[4:5]
	s_trap 2
.LBB10_1458:                            ;   in Loop: Header=BB10_1410 Depth=2
	s_or_b64 exec, exec, s[56:57]
	s_trap 2
	ds_read_b64 v[4:5], v0
	v_add_co_u32_e32 v48, vcc, v48, v54
	v_addc_co_u32_e32 v49, vcc, 0, v49, vcc
	s_waitcnt lgkmcnt(0)
	v_cmp_lt_u64_e32 vcc, v[4:5], v[48:49]
	s_and_saveexec_b64 s[56:57], vcc
	s_cbranch_execz .LBB10_1467
; %bb.1459:                             ;   in Loop: Header=BB10_1410 Depth=2
	s_mov_b32 s68, 0
	s_mov_b64 s[58:59], 0
                                        ; implicit-def: $sgpr60_sgpr61
                                        ; implicit-def: $sgpr62_sgpr63
	s_branch .LBB10_1461
.LBB10_1460:                            ;   in Loop: Header=BB10_1461 Depth=3
	s_or_b64 exec, exec, s[66:67]
	s_and_b64 vcc, exec, vcc
	s_or_b64 s[58:59], vcc, s[58:59]
	s_andn2_b64 vcc, s[60:61], exec
	s_and_b64 s[60:61], s[62:63], exec
	s_or_b64 s[60:61], vcc, s[60:61]
	s_andn2_b64 exec, exec, s[58:59]
	s_cbranch_execz .LBB10_1465
.LBB10_1461:                            ;   Parent Loop BB10_47 Depth=1
                                        ;     Parent Loop BB10_1410 Depth=2
                                        ; =>    This Inner Loop Header: Depth=3
	s_add_i32 s68, s68, 1
	s_cmpk_lg_i32 s68, 0x2710
	s_cselect_b64 s[64:65], -1, 0
	s_and_b64 vcc, exec, s[64:65]
                                        ; implicit-def: $sgpr66_sgpr67
	s_cbranch_vccnz .LBB10_1463
; %bb.1462:                             ;   in Loop: Header=BB10_1461 Depth=3
	s_trap 2
	ds_read_b64 v[4:5], v0
	s_andn2_b64 s[64:65], s[64:65], exec
	s_mov_b32 s68, 0
	s_mov_b64 s[66:67], -1
	s_waitcnt lgkmcnt(0)
	flat_load_dword v3, v[4:5] glc
	s_waitcnt vmcnt(0) lgkmcnt(0)
	buffer_invl2
	buffer_wbinvl1_vol
	v_cmp_eq_u32_e32 vcc, 0, v3
	s_and_b64 vcc, vcc, exec
	s_or_b64 s[64:65], s[64:65], vcc
.LBB10_1463:                            ;   in Loop: Header=BB10_1461 Depth=3
	s_andn2_b64 s[62:63], s[62:63], exec
	s_and_b64 s[66:67], s[66:67], exec
	s_mov_b64 vcc, -1
	s_or_b64 s[62:63], s[62:63], s[66:67]
	s_and_saveexec_b64 s[66:67], s[64:65]
	s_cbranch_execz .LBB10_1460
; %bb.1464:                             ;   in Loop: Header=BB10_1461 Depth=3
	s_sleep 1
	s_trap 2
	ds_read_b64 v[4:5], v0
	s_andn2_b64 s[62:63], s[62:63], exec
	s_waitcnt lgkmcnt(0)
	v_cmp_ge_u64_e32 vcc, v[4:5], v[48:49]
	s_orn2_b64 vcc, vcc, exec
	s_branch .LBB10_1460
.LBB10_1465:                            ;   in Loop: Header=BB10_1410 Depth=2
	s_or_b64 exec, exec, s[58:59]
	s_and_saveexec_b64 vcc, s[60:61]
	s_xor_b64 vcc, exec, vcc
	s_cbranch_execz .LBB10_1467
; %bb.1466:                             ;   in Loop: Header=BB10_1410 Depth=2
	ds_write_b32 v0, v57
	s_trap 2
.LBB10_1467:                            ;   in Loop: Header=BB10_1410 Depth=2
	s_or_b64 exec, exec, s[56:57]
	;;#ASMSTART
	s_wakeup
	;;#ASMEND
.LBB10_1468:                            ;   in Loop: Header=BB10_1410 Depth=2
	s_or_b64 exec, exec, s[38:39]
.LBB10_1469:                            ;   in Loop: Header=BB10_1410 Depth=2
	s_andn2_saveexec_b64 vcc, s[36:37]
	s_cbranch_execz .LBB10_1471
; %bb.1470:                             ;   in Loop: Header=BB10_1410 Depth=2
	s_waitcnt vmcnt(0) lgkmcnt(0)
	buffer_wbinvl1_vol
	s_barrier
.LBB10_1471:                            ;   in Loop: Header=BB10_1410 Depth=2
	s_or_b64 exec, exec, vcc
.LBB10_1472:                            ;   in Loop: Header=BB10_1410 Depth=2
	s_or_b64 exec, exec, s[26:27]
	s_trap 2
	s_waitcnt lgkmcnt(0)
	ds_read_b64 v[4:5], v0
	v_sub_u32_e32 v3, v14, v2
	v_min_i32_e32 v15, v15, v3
	v_mov_b32_e32 v16, 0
	s_waitcnt lgkmcnt(0)
	v_readfirstlane_b32 s26, v4
	v_readfirstlane_b32 s27, v5
	s_cmp_eq_u64 s[26:27], 0
	s_cselect_b64 s[26:27], -1, 0
	s_or_b64 s[26:27], s[26:27], s[26:27]
	s_and_b64 vcc, exec, s[26:27]
	s_cbranch_vccnz .LBB10_1488
; %bb.1473:                             ;   in Loop: Header=BB10_1410 Depth=2
	s_mov_b64 s[26:27], -1
	s_and_saveexec_b64 s[36:37], s[20:21]
	s_cbranch_execz .LBB10_1475
; %bb.1474:                             ;   in Loop: Header=BB10_1410 Depth=2
	ds_read_b32 v3, v0 offset:720
	s_waitcnt lgkmcnt(0)
	v_and_b32_e32 v3, 15, v3
	v_cmp_eq_u32_e32 vcc, 0, v3
	s_orn2_b64 s[26:27], vcc, exec
.LBB10_1475:                            ;   in Loop: Header=BB10_1410 Depth=2
	s_or_b64 exec, exec, s[36:37]
	s_and_saveexec_b64 s[36:37], s[18:19]
	s_cbranch_execz .LBB10_1477
; %bb.1476:                             ;   in Loop: Header=BB10_1410 Depth=2
	ds_read_b32 v3, v0 offset:784
	s_waitcnt lgkmcnt(0)
	v_and_b32_e32 v3, 15, v3
	v_cmp_eq_u32_e32 vcc, 0, v3
	s_and_b64 vcc, s[26:27], vcc
	s_andn2_b64 s[26:27], s[26:27], exec
	s_and_b64 vcc, vcc, exec
	s_or_b64 s[26:27], s[26:27], vcc
.LBB10_1477:                            ;   in Loop: Header=BB10_1410 Depth=2
	s_or_b64 exec, exec, s[36:37]
	v_cmp_eq_u32_e32 vcc, 0, v0
	s_xor_b64 s[26:27], s[26:27], -1
	v_cndmask_b32_e32 v16, 0, v15, vcc
	v_cndmask_b32_e64 v3, 0, 1, s[26:27]
	v_mov_b32_e32 v11, 0
	v_lshlrev_b32_e32 v0, 1, v16
	s_mov_b64 s[38:39], -1
	;;#ASMSTART
	;;#ASMEND
	v_cmp_ne_u32_e32 vcc, 0, v3
	s_cbranch_vccz .LBB10_1500
; %bb.1478:                             ;   in Loop: Header=BB10_1410 Depth=2
	v_mov_b32_e32 v17, v47
	v_mov_b32_e32 v3, v60
	s_and_saveexec_b64 s[26:27], s[38:39]
	s_cbranch_execz .LBB10_1513
.LBB10_1479:                            ;   in Loop: Header=BB10_1410 Depth=2
	v_ashrrev_i32_e32 v4, 31, v0
	v_lshrrev_b32_e32 v4, 21, v4
	v_add_u32_e32 v4, v0, v4
	v_ashrrev_i32_e32 v20, 11, v4
	v_sub_u32_e32 v18, v20, v3
	v_ashrrev_i32_e32 v4, 31, v17
	v_cmp_lt_i32_e32 vcc, 0, v18
	v_lshrrev_b32_e32 v19, 26, v4
	s_and_saveexec_b64 s[36:37], vcc
	s_cbranch_execz .LBB10_1483
; %bb.1480:                             ;   in Loop: Header=BB10_1410 Depth=2
	s_trap 2
	ds_read_b64 v[4:5], v0
	v_add_u32_e32 v10, v17, v19
	v_and_b32_e32 v10, 0x7fffffc0, v10
	v_sub_u32_e32 v10, v17, v10
	v_lshlrev_b32_e32 v10, 1, v10
	v_lshlrev_b32_e32 v3, 11, v3
	v_add3_u32 v10, v10, v11, v3
	v_ashrrev_i32_e32 v3, 31, v10
	s_mov_b64 s[38:39], 0
	s_waitcnt lgkmcnt(0)
	v_pk_mov_b32 v[12:13], v[4:5], v[4:5] op_sel:[0,1]
.LBB10_1481:                            ;   Parent Loop BB10_47 Depth=1
                                        ;     Parent Loop BB10_1410 Depth=2
                                        ; =>    This Inner Loop Header: Depth=3
	v_add_co_u32_e32 v22, vcc, v10, v12
	v_addc_co_u32_e32 v23, vcc, v3, v13, vcc
	flat_load_ushort v21, v[22:23] glc slc
	flat_load_ushort v24, v[22:23] offset:128 glc slc
	flat_load_ushort v25, v[22:23] offset:256 glc slc
	;; [unrolled: 1-line block ×15, first 2 shown]
	v_add_co_u32_e32 v22, vcc, v10, v4
	v_addc_co_u32_e32 v23, vcc, v3, v5, vcc
	v_add_co_u32_e32 v12, vcc, v12, v28
	v_addc_co_u32_e32 v13, vcc, v13, v29, vcc
	v_add_co_u32_e32 v4, vcc, v4, v28
	v_sub_u32_e32 v18, v18, v54
	v_addc_co_u32_e32 v5, vcc, v5, v29, vcc
	v_cmp_gt_i32_e32 vcc, 1, v18
	s_or_b64 s[38:39], vcc, s[38:39]
	s_waitcnt vmcnt(0) lgkmcnt(0)
	flat_store_short v[22:23], v21 glc slc
	flat_store_short v[22:23], v24 offset:128 glc slc
	flat_store_short v[22:23], v25 offset:256 glc slc
	;; [unrolled: 1-line block ×15, first 2 shown]
	s_andn2_b64 exec, exec, s[38:39]
	s_cbranch_execnz .LBB10_1481
; %bb.1482:                             ;   in Loop: Header=BB10_1410 Depth=2
	s_or_b64 exec, exec, s[38:39]
	v_accvgpr_read_b32 v59, a13
	v_accvgpr_read_b32 v25, a17
	;; [unrolled: 1-line block ×6, first 2 shown]
	v_mov_b32_e32 v57, 1
.LBB10_1483:                            ;   in Loop: Header=BB10_1410 Depth=2
	s_or_b64 exec, exec, s[36:37]
	v_lshlrev_b32_e32 v3, 11, v20
	v_cmp_ne_u32_e32 vcc, v0, v3
	s_and_saveexec_b64 s[36:37], vcc
	s_cbranch_execz .LBB10_1487
; %bb.1484:                             ;   in Loop: Header=BB10_1410 Depth=2
	v_add_u32_e32 v4, v17, v19
	v_and_b32_e32 v4, 0xffffffc0, v4
	v_sub_u32_e32 v4, v17, v4
	v_lshlrev_b32_e32 v5, 6, v18
	v_sub_u32_e32 v4, v4, v5
	v_ashrrev_i32_e32 v5, 31, v4
	v_lshrrev_b32_e32 v5, 26, v5
	v_add_u32_e32 v5, v4, v5
	v_and_b32_e32 v10, 0x7fffffc0, v5
	v_sub_u32_e32 v4, v4, v10
	v_lshlrev_b32_e32 v5, 1, v5
	v_and_b32_e32 v5, 0xffffff80, v5
	v_lshlrev_b32_e32 v4, 1, v4
	v_add3_u32 v3, v5, v4, v3
	v_sub_u32_e32 v0, v0, v3
	v_cmp_lt_i32_e32 vcc, 1, v0
	s_and_b64 exec, exec, vcc
	s_cbranch_execz .LBB10_1487
; %bb.1485:                             ;   in Loop: Header=BB10_1410 Depth=2
	s_trap 2
	ds_read_b64 v[4:5], v0
	v_add_u32_e32 v10, v3, v11
	v_ashrrev_i32_e32 v3, 31, v10
	s_mov_b64 s[38:39], 0
.LBB10_1486:                            ;   Parent Loop BB10_47 Depth=1
                                        ;     Parent Loop BB10_1410 Depth=2
                                        ; =>    This Inner Loop Header: Depth=3
	s_waitcnt lgkmcnt(0)
	v_add_co_u32_e32 v12, vcc, v4, v10
	v_addc_co_u32_e32 v13, vcc, v5, v3, vcc
	flat_load_ushort v11, v[12:13] glc slc
	v_add_co_u32_e32 v10, vcc, v10, v44
	v_sub_u32_e32 v0, v0, v61
	v_addc_co_u32_e32 v3, vcc, v3, v45, vcc
	v_cmp_gt_i32_e32 vcc, 2, v0
	s_or_b64 s[38:39], vcc, s[38:39]
	s_waitcnt vmcnt(0) lgkmcnt(0)
	flat_store_short v[12:13], v11 glc slc
	s_andn2_b64 exec, exec, s[38:39]
	s_cbranch_execnz .LBB10_1486
.LBB10_1487:                            ;   in Loop: Header=BB10_1410 Depth=2
	s_or_b64 exec, exec, s[36:37]
	s_or_b64 exec, exec, s[26:27]
	s_and_saveexec_b64 s[26:27], s[10:11]
	s_cbranch_execz .LBB10_1514
	s_branch .LBB10_1489
.LBB10_1488:                            ;   in Loop: Header=BB10_1410 Depth=2
	s_and_saveexec_b64 s[26:27], s[10:11]
	s_cbranch_execz .LBB10_1514
.LBB10_1489:                            ;   in Loop: Header=BB10_1410 Depth=2
	s_and_saveexec_b64 vcc, s[48:49]
	s_xor_b64 s[36:37], exec, vcc
	s_cbranch_execz .LBB10_1522
; %bb.1490:                             ;   in Loop: Header=BB10_1410 Depth=2
	s_and_saveexec_b64 s[38:39], s[16:17]
	s_cbranch_execz .LBB10_1521
; %bb.1491:                             ;   in Loop: Header=BB10_1410 Depth=2
	s_mov_b64 s[58:59], exec
	v_mbcnt_lo_u32_b32 v0, s58, 0
	v_mbcnt_hi_u32_b32 v0, s59, v0
	v_cmp_eq_u32_e32 vcc, 0, v0
	s_waitcnt vmcnt(0) lgkmcnt(0)
	buffer_wbinvl1_vol
	s_and_saveexec_b64 s[56:57], vcc
	s_cbranch_execz .LBB10_1493
; %bb.1492:                             ;   in Loop: Header=BB10_1410 Depth=2
	s_bcnt1_i32_b64 vcc_lo, s[58:59]
	v_mov_b32_e32 v4, vcc_lo
	v_mov_b32_e32 v5, v52
	ds_add_u64 v0, v[4:5]
	s_trap 2
.LBB10_1493:                            ;   in Loop: Header=BB10_1410 Depth=2
	s_or_b64 exec, exec, s[56:57]
	s_trap 2
	ds_read_b64 v[4:5], v0
	v_add_co_u32_e32 v48, vcc, v48, v54
	v_addc_co_u32_e32 v49, vcc, 0, v49, vcc
	s_waitcnt lgkmcnt(0)
	v_cmp_lt_u64_e32 vcc, v[4:5], v[48:49]
	s_and_saveexec_b64 s[56:57], vcc
	s_cbranch_execz .LBB10_1520
; %bb.1494:                             ;   in Loop: Header=BB10_1410 Depth=2
	s_mov_b32 s68, 0
	s_mov_b64 s[58:59], 0
                                        ; implicit-def: $sgpr60_sgpr61
                                        ; implicit-def: $sgpr62_sgpr63
	s_branch .LBB10_1496
.LBB10_1495:                            ;   in Loop: Header=BB10_1496 Depth=3
	s_or_b64 exec, exec, s[66:67]
	s_and_b64 vcc, exec, vcc
	s_or_b64 s[58:59], vcc, s[58:59]
	s_andn2_b64 vcc, s[60:61], exec
	s_and_b64 s[60:61], s[62:63], exec
	s_or_b64 s[60:61], vcc, s[60:61]
	s_andn2_b64 exec, exec, s[58:59]
	s_cbranch_execz .LBB10_1518
.LBB10_1496:                            ;   Parent Loop BB10_47 Depth=1
                                        ;     Parent Loop BB10_1410 Depth=2
                                        ; =>    This Inner Loop Header: Depth=3
	s_add_i32 s68, s68, 1
	s_cmpk_lg_i32 s68, 0x2710
	s_cselect_b64 s[64:65], -1, 0
	s_and_b64 vcc, exec, s[64:65]
                                        ; implicit-def: $sgpr66_sgpr67
	s_cbranch_vccnz .LBB10_1498
; %bb.1497:                             ;   in Loop: Header=BB10_1496 Depth=3
	s_trap 2
	ds_read_b64 v[4:5], v0
	s_andn2_b64 s[64:65], s[64:65], exec
	s_mov_b32 s68, 0
	s_mov_b64 s[66:67], -1
	s_waitcnt lgkmcnt(0)
	flat_load_dword v0, v[4:5] glc
	s_waitcnt vmcnt(0) lgkmcnt(0)
	buffer_invl2
	buffer_wbinvl1_vol
	v_cmp_eq_u32_e32 vcc, 0, v0
	s_and_b64 vcc, vcc, exec
	s_or_b64 s[64:65], s[64:65], vcc
.LBB10_1498:                            ;   in Loop: Header=BB10_1496 Depth=3
	s_andn2_b64 s[62:63], s[62:63], exec
	s_and_b64 s[66:67], s[66:67], exec
	s_mov_b64 vcc, -1
	s_or_b64 s[62:63], s[62:63], s[66:67]
	s_and_saveexec_b64 s[66:67], s[64:65]
	s_cbranch_execz .LBB10_1495
; %bb.1499:                             ;   in Loop: Header=BB10_1496 Depth=3
	s_sleep 1
	s_trap 2
	ds_read_b64 v[4:5], v0
	s_andn2_b64 s[62:63], s[62:63], exec
	s_waitcnt lgkmcnt(0)
	v_cmp_ge_u64_e32 vcc, v[4:5], v[48:49]
	s_orn2_b64 vcc, vcc, exec
	s_branch .LBB10_1495
.LBB10_1500:                            ;   in Loop: Header=BB10_1410 Depth=2
	v_ashrrev_i32_e32 v3, 31, v0
	v_lshrrev_b32_e32 v3, 20, v3
	v_add_u32_e32 v3, v0, v3
	v_ashrrev_i32_e32 v3, 12, v3
	v_sub_u32_e32 v13, v3, v60
	v_cmp_lt_i32_e32 vcc, 0, v13
	s_and_saveexec_b64 s[26:27], vcc
	s_cbranch_execz .LBB10_1504
; %bb.1501:                             ;   in Loop: Header=BB10_1410 Depth=2
	s_trap 2
	ds_read_b64 v[4:5], v0
	s_mov_b64 s[36:37], 0
	v_accvgpr_read_b32 v12, a24
	v_accvgpr_read_b32 v17, a25
	s_waitcnt lgkmcnt(0)
	v_pk_mov_b32 v[10:11], v[4:5], v[4:5] op_sel:[0,1]
.LBB10_1502:                            ;   Parent Loop BB10_47 Depth=1
                                        ;     Parent Loop BB10_1410 Depth=2
                                        ; =>    This Inner Loop Header: Depth=3
	v_add_co_u32_e32 v26, vcc, v12, v10
	v_addc_co_u32_e32 v27, vcc, v17, v11, vcc
	global_load_dwordx4 v[18:21], v[26:27], off glc slc
	global_load_dwordx4 v[22:25], v[26:27], off offset:1024 glc slc
	global_load_dwordx4 v[38:41], v[26:27], off offset:2048 glc slc
	;; [unrolled: 1-line block ×3, first 2 shown]
	v_add_co_u32_e32 v26, vcc, v12, v4
	v_addc_co_u32_e32 v27, vcc, v17, v5, vcc
	v_add_co_u32_e32 v10, vcc, v10, v31
	v_addc_co_u32_e32 v11, vcc, v11, v1, vcc
	v_add_co_u32_e32 v4, vcc, v4, v31
	v_sub_u32_e32 v13, v13, v54
	v_addc_co_u32_e32 v5, vcc, v5, v1, vcc
	v_cmp_gt_i32_e32 vcc, 1, v13
	s_or_b64 s[36:37], vcc, s[36:37]
	s_waitcnt vmcnt(0)
	global_store_dwordx4 v[26:27], v[18:21], off glc slc
	global_store_dwordx4 v[26:27], v[22:25], off offset:1024 glc slc
	global_store_dwordx4 v[26:27], v[38:41], off offset:2048 glc slc
	;; [unrolled: 1-line block ×3, first 2 shown]
	s_andn2_b64 exec, exec, s[36:37]
	s_cbranch_execnz .LBB10_1502
; %bb.1503:                             ;   in Loop: Header=BB10_1410 Depth=2
	s_or_b64 exec, exec, s[36:37]
	v_accvgpr_read_b32 v59, a13
	v_accvgpr_read_b32 v25, a17
	;; [unrolled: 1-line block ×4, first 2 shown]
	v_mov_b32_e32 v57, 1
.LBB10_1504:                            ;   in Loop: Header=BB10_1410 Depth=2
	s_or_b64 exec, exec, s[26:27]
	v_lshlrev_b32_e32 v12, 12, v3
	v_cmp_ne_u32_e32 vcc, v0, v12
	s_mov_b64 s[38:39], 0
	v_mov_b32_e32 v11, 0
                                        ; implicit-def: $vgpr17
                                        ; implicit-def: $vgpr3
	s_and_saveexec_b64 s[36:37], vcc
	s_cbranch_execz .LBB10_1512
; %bb.1505:                             ;   in Loop: Header=BB10_1410 Depth=2
	v_lshlrev_b32_e32 v3, 6, v13
	v_accvgpr_read_b32 v5, a22
	v_sub_u32_e32 v3, v5, v3
	v_ashrrev_i32_e32 v5, 31, v3
	v_lshrrev_b32_e32 v5, 26, v5
	v_add_u32_e32 v5, v3, v5
	v_sub_u32_e32 v4, v0, v12
	v_ashrrev_i32_e32 v10, 6, v5
	v_and_b32_e32 v5, 0xffffffc0, v5
	v_sub_u32_e32 v13, v3, v5
	v_ashrrev_i32_e32 v5, 31, v4
	v_lshrrev_b32_e32 v5, 22, v5
	v_add_u32_e32 v5, v4, v5
	v_and_b32_e32 v18, 0xfffffc00, v5
	v_lshlrev_b32_e32 v3, 4, v13
	v_sub_u32_e32 v20, v4, v18
	v_lshl_add_u32 v3, v10, 10, v3
	v_ashrrev_i32_e32 v17, 10, v5
	v_cmp_lt_i32_e32 vcc, 15, v20
	v_sub_u32_e32 v11, v4, v3
	v_addc_co_u32_e64 v4, s[26:27], 0, v17, vcc
	v_sub_u32_e32 v19, v4, v10
	v_cmp_lt_i32_e64 s[26:27], 15, v11
	s_and_saveexec_b64 s[38:39], s[26:27]
	s_cbranch_execz .LBB10_1509
; %bb.1506:                             ;   in Loop: Header=BB10_1410 Depth=2
	s_trap 2
	ds_read_b64 v[4:5], v0
	v_add_u32_e32 v10, v3, v12
	v_ashrrev_i32_e32 v3, 31, v10
	s_mov_b64 s[56:57], 0
.LBB10_1507:                            ;   Parent Loop BB10_47 Depth=1
                                        ;     Parent Loop BB10_1410 Depth=2
                                        ; =>    This Inner Loop Header: Depth=3
	s_waitcnt lgkmcnt(0)
	v_add_co_u32_e64 v26, s[26:27], v4, v10
	v_addc_co_u32_e64 v27, s[26:27], v5, v3, s[26:27]
	global_load_dwordx4 v[22:25], v[26:27], off glc slc
	v_add_co_u32_e64 v10, s[26:27], v10, v42
	v_sub_u32_e32 v11, v11, v46
	v_addc_co_u32_e64 v3, s[26:27], v3, v43, s[26:27]
	v_cmp_gt_i32_e64 s[26:27], 16, v11
	v_sub_u32_e32 v19, v19, v54
	s_or_b64 s[56:57], s[26:27], s[56:57]
	s_waitcnt vmcnt(0)
	global_store_dwordx4 v[26:27], v[22:25], off glc slc
	s_andn2_b64 exec, exec, s[56:57]
	s_cbranch_execnz .LBB10_1507
; %bb.1508:                             ;   in Loop: Header=BB10_1410 Depth=2
	s_or_b64 exec, exec, s[56:57]
	v_accvgpr_read_b32 v25, a17
	v_accvgpr_read_b32 v24, a16
.LBB10_1509:                            ;   in Loop: Header=BB10_1410 Depth=2
	s_or_b64 exec, exec, s[38:39]
	v_and_b32_e32 v4, 14, v0
	v_cndmask_b32_e32 v0, v20, v4, vcc
	v_cmp_ne_u32_e64 s[26:27], 0, v0
	s_mov_b64 s[38:39], 0
	v_mov_b32_e32 v11, 0
                                        ; implicit-def: $vgpr17
                                        ; implicit-def: $vgpr3
	s_and_saveexec_b64 s[56:57], s[26:27]
	s_cbranch_execz .LBB10_1511
; %bb.1510:                             ;   in Loop: Header=BB10_1410 Depth=2
	v_sub_u32_e32 v3, v20, v4
	v_cndmask_b32_e32 v3, 0, v3, vcc
	v_cmp_lt_i32_e32 vcc, 0, v19
	v_add3_u32 v11, v18, v12, v3
	v_cndmask_b32_e32 v3, 0, v54, vcc
	v_sub_u32_e32 v3, v3, v19
	v_lshl_add_u32 v17, v3, 6, v13
	v_ashrrev_i32_e32 v3, 31, v17
	v_lshrrev_b32_e32 v3, 26, v3
	v_add_u32_e32 v3, v17, v3
	s_mov_b64 s[38:39], exec
	v_ashrrev_i32_e32 v3, 6, v3
.LBB10_1511:                            ;   in Loop: Header=BB10_1410 Depth=2
	s_or_b64 exec, exec, s[56:57]
	s_and_b64 s[38:39], s[38:39], exec
.LBB10_1512:                            ;   in Loop: Header=BB10_1410 Depth=2
	s_or_b64 exec, exec, s[36:37]
	s_and_saveexec_b64 s[26:27], s[38:39]
	s_cbranch_execnz .LBB10_1479
.LBB10_1513:                            ;   in Loop: Header=BB10_1410 Depth=2
	s_or_b64 exec, exec, s[26:27]
	s_and_saveexec_b64 s[26:27], s[10:11]
	s_cbranch_execnz .LBB10_1489
.LBB10_1514:                            ;   in Loop: Header=BB10_1410 Depth=2
	s_or_b64 exec, exec, s[26:27]
	s_and_saveexec_b64 s[26:27], s[22:23]
	s_xor_b64 s[36:37], exec, s[26:27]
	s_cbranch_execz .LBB10_1525
.LBB10_1515:                            ;   in Loop: Header=BB10_1410 Depth=2
	v_and_b32_e32 v0, 16, v55
	v_cmp_lt_i32_e32 vcc, 0, v16
	v_cmp_ne_u32_e64 s[26:27], 0, v0
	s_and_b64 vcc, s[26:27], vcc
	s_and_saveexec_b64 s[26:27], vcc
	s_cbranch_execz .LBB10_1517
; %bb.1516:                             ;   in Loop: Header=BB10_1410 Depth=2
	s_waitcnt vmcnt(0) lgkmcnt(0)
	buffer_wbinvl1_vol
.LBB10_1517:                            ;   in Loop: Header=BB10_1410 Depth=2
	s_or_b64 exec, exec, s[26:27]
	s_andn2_saveexec_b64 s[26:27], s[36:37]
	s_cbranch_execz .LBB10_1544
	s_branch .LBB10_1526
.LBB10_1518:                            ;   in Loop: Header=BB10_1410 Depth=2
	s_or_b64 exec, exec, s[58:59]
	s_and_saveexec_b64 vcc, s[60:61]
	s_xor_b64 vcc, exec, vcc
	s_cbranch_execz .LBB10_1520
; %bb.1519:                             ;   in Loop: Header=BB10_1410 Depth=2
	ds_write_b32 v0, v57
	s_trap 2
.LBB10_1520:                            ;   in Loop: Header=BB10_1410 Depth=2
	s_or_b64 exec, exec, s[56:57]
	;;#ASMSTART
	s_wakeup
	;;#ASMEND
.LBB10_1521:                            ;   in Loop: Header=BB10_1410 Depth=2
	s_or_b64 exec, exec, s[38:39]
.LBB10_1522:                            ;   in Loop: Header=BB10_1410 Depth=2
	s_andn2_saveexec_b64 vcc, s[36:37]
	s_cbranch_execz .LBB10_1524
; %bb.1523:                             ;   in Loop: Header=BB10_1410 Depth=2
	s_waitcnt vmcnt(0) lgkmcnt(0)
	buffer_wbinvl1_vol
	s_barrier
.LBB10_1524:                            ;   in Loop: Header=BB10_1410 Depth=2
	s_or_b64 exec, exec, vcc
	s_or_b64 exec, exec, s[26:27]
	s_and_saveexec_b64 s[26:27], s[22:23]
	s_xor_b64 s[36:37], exec, s[26:27]
	s_cbranch_execnz .LBB10_1515
.LBB10_1525:                            ;   in Loop: Header=BB10_1410 Depth=2
	s_andn2_saveexec_b64 s[26:27], s[36:37]
	s_cbranch_execz .LBB10_1544
.LBB10_1526:                            ;   in Loop: Header=BB10_1410 Depth=2
	s_and_saveexec_b64 vcc, s[48:49]
	s_xor_b64 s[36:37], exec, vcc
	s_cbranch_execz .LBB10_1541
; %bb.1527:                             ;   in Loop: Header=BB10_1410 Depth=2
	s_and_saveexec_b64 s[38:39], s[16:17]
	s_cbranch_execz .LBB10_1540
; %bb.1528:                             ;   in Loop: Header=BB10_1410 Depth=2
	s_mov_b64 s[58:59], exec
	v_mbcnt_lo_u32_b32 v0, s58, 0
	v_mbcnt_hi_u32_b32 v0, s59, v0
	v_cmp_eq_u32_e32 vcc, 0, v0
	;;#ASMSTART
	s_waitcnt lgkmcnt(0) vmcnt(0)
	;;#ASMEND
	s_and_saveexec_b64 s[56:57], vcc
	s_cbranch_execz .LBB10_1530
; %bb.1529:                             ;   in Loop: Header=BB10_1410 Depth=2
	s_bcnt1_i32_b64 vcc_lo, s[58:59]
	v_mov_b32_e32 v4, vcc_lo
	v_mov_b32_e32 v5, v52
	ds_add_u64 v0, v[4:5]
	s_trap 2
.LBB10_1530:                            ;   in Loop: Header=BB10_1410 Depth=2
	s_or_b64 exec, exec, s[56:57]
	s_trap 2
	ds_read_b64 v[4:5], v0
	v_add_co_u32_e32 v48, vcc, v48, v54
	v_addc_co_u32_e32 v49, vcc, 0, v49, vcc
	s_waitcnt lgkmcnt(0)
	v_cmp_lt_u64_e32 vcc, v[4:5], v[48:49]
	s_and_saveexec_b64 s[56:57], vcc
	s_cbranch_execz .LBB10_1539
; %bb.1531:                             ;   in Loop: Header=BB10_1410 Depth=2
	s_mov_b32 s68, 0
	s_mov_b64 s[58:59], 0
                                        ; implicit-def: $sgpr60_sgpr61
                                        ; implicit-def: $sgpr62_sgpr63
	s_branch .LBB10_1533
.LBB10_1532:                            ;   in Loop: Header=BB10_1533 Depth=3
	s_or_b64 exec, exec, s[66:67]
	s_and_b64 vcc, exec, vcc
	s_or_b64 s[58:59], vcc, s[58:59]
	s_andn2_b64 vcc, s[60:61], exec
	s_and_b64 s[60:61], s[62:63], exec
	s_or_b64 s[60:61], vcc, s[60:61]
	s_andn2_b64 exec, exec, s[58:59]
	s_cbranch_execz .LBB10_1537
.LBB10_1533:                            ;   Parent Loop BB10_47 Depth=1
                                        ;     Parent Loop BB10_1410 Depth=2
                                        ; =>    This Inner Loop Header: Depth=3
	s_add_i32 s68, s68, 1
	s_cmpk_lg_i32 s68, 0x2710
	s_cselect_b64 s[64:65], -1, 0
	s_and_b64 vcc, exec, s[64:65]
                                        ; implicit-def: $sgpr66_sgpr67
	s_cbranch_vccnz .LBB10_1535
; %bb.1534:                             ;   in Loop: Header=BB10_1533 Depth=3
	s_trap 2
	ds_read_b64 v[4:5], v0
	s_andn2_b64 s[64:65], s[64:65], exec
	s_mov_b32 s68, 0
	s_mov_b64 s[66:67], -1
	s_waitcnt vmcnt(0) lgkmcnt(0)
	flat_load_dword v0, v[4:5] glc
	s_waitcnt vmcnt(0) lgkmcnt(0)
	buffer_invl2
	buffer_wbinvl1_vol
	v_cmp_eq_u32_e32 vcc, 0, v0
	s_and_b64 vcc, vcc, exec
	s_or_b64 s[64:65], s[64:65], vcc
.LBB10_1535:                            ;   in Loop: Header=BB10_1533 Depth=3
	s_andn2_b64 s[62:63], s[62:63], exec
	s_and_b64 s[66:67], s[66:67], exec
	s_mov_b64 vcc, -1
	s_or_b64 s[62:63], s[62:63], s[66:67]
	s_and_saveexec_b64 s[66:67], s[64:65]
	s_cbranch_execz .LBB10_1532
; %bb.1536:                             ;   in Loop: Header=BB10_1533 Depth=3
	s_sleep 1
	s_trap 2
	ds_read_b64 v[4:5], v0
	s_andn2_b64 s[62:63], s[62:63], exec
	s_waitcnt lgkmcnt(0)
	v_cmp_ge_u64_e32 vcc, v[4:5], v[48:49]
	s_orn2_b64 vcc, vcc, exec
	s_branch .LBB10_1532
.LBB10_1537:                            ;   in Loop: Header=BB10_1410 Depth=2
	s_or_b64 exec, exec, s[58:59]
	s_and_saveexec_b64 vcc, s[60:61]
	s_xor_b64 vcc, exec, vcc
	s_cbranch_execz .LBB10_1539
; %bb.1538:                             ;   in Loop: Header=BB10_1410 Depth=2
	ds_write_b32 v0, v57
	s_trap 2
.LBB10_1539:                            ;   in Loop: Header=BB10_1410 Depth=2
	s_or_b64 exec, exec, s[56:57]
	;;#ASMSTART
	s_wakeup
	;;#ASMEND
.LBB10_1540:                            ;   in Loop: Header=BB10_1410 Depth=2
	s_or_b64 exec, exec, s[38:39]
.LBB10_1541:                            ;   in Loop: Header=BB10_1410 Depth=2
	s_andn2_saveexec_b64 vcc, s[36:37]
	s_cbranch_execz .LBB10_1543
; %bb.1542:                             ;   in Loop: Header=BB10_1410 Depth=2
	;;#ASMSTART
	s_waitcnt lgkmcnt(0) vmcnt(0)
	;;#ASMEND
	s_barrier
.LBB10_1543:                            ;   in Loop: Header=BB10_1410 Depth=2
	s_or_b64 exec, exec, vcc
.LBB10_1544:                            ;   in Loop: Header=BB10_1410 Depth=2
	s_or_b64 exec, exec, s[26:27]
	v_and_b32_e32 v0, 32, v55
	v_cmp_ne_u32_e32 vcc, 0, v0
	s_and_saveexec_b64 s[26:27], vcc
	s_cbranch_execz .LBB10_1409
; %bb.1545:                             ;   in Loop: Header=BB10_1410 Depth=2
	v_add_co_u32_e32 v32, vcc, 2, v32
	v_addc_co_u32_e32 v33, vcc, 0, v33, vcc
	flat_store_dwordx2 v[34:35], v[32:33]
	s_branch .LBB10_1409
.LBB10_1546:                            ;   in Loop: Header=BB10_47 Depth=1
	s_or_b64 exec, exec, s[30:31]
.LBB10_1547:                            ;   in Loop: Header=BB10_47 Depth=1
	s_or_b64 exec, exec, s[28:29]
	v_cmp_gt_i32_e32 vcc, 2, v0
	s_and_saveexec_b64 s[28:29], vcc
	s_cbranch_execz .LBB10_46
; %bb.1548:                             ;   in Loop: Header=BB10_47 Depth=1
	v_cmp_eq_u32_e64 s[26:27], 0, v0
	s_mov_b64 s[30:31], 0
	s_branch .LBB10_1550
.LBB10_1549:                            ;   in Loop: Header=BB10_1550 Depth=2
	s_or_b64 exec, exec, s[26:27]
	v_add_u32_e32 v2, v15, v2
	s_mov_b64 s[26:27], 0
	s_andn2_b64 exec, exec, s[30:31]
	s_cbranch_execz .LBB10_45
.LBB10_1550:                            ;   Parent Loop BB10_47 Depth=1
                                        ; =>  This Loop Header: Depth=2
                                        ;       Child Loop BB10_1556 Depth 3
                                        ;       Child Loop BB10_1580 Depth 3
	;; [unrolled: 1-line block ×3, first 2 shown]
	v_and_b32_e32 v0, 4, v55
	s_mov_b64 s[36:37], -1
	v_cmp_ne_u32_e32 vcc, 0, v0
	s_and_saveexec_b64 s[34:35], vcc
	s_cbranch_execz .LBB10_1562
; %bb.1551:                             ;   in Loop: Header=BB10_1550 Depth=2
	v_add_co_u32_e32 v4, vcc, 2, v32
	v_addc_co_u32_e32 v5, vcc, 0, v33, vcc
	v_cmp_lt_u64_e32 vcc, v[50:51], v[4:5]
	v_mov_b32_e32 v0, 1
	s_and_saveexec_b64 s[36:37], vcc
	s_cbranch_execz .LBB10_1561
; %bb.1552:                             ;   in Loop: Header=BB10_1550 Depth=2
	s_mov_b64 s[38:39], 0
	v_mov_b32_e32 v0, 0
                                        ; implicit-def: $sgpr56_sgpr57
	s_branch .LBB10_1556
.LBB10_1553:                            ;   in Loop: Header=BB10_1556 Depth=3
	s_or_b64 exec, exec, s[64:65]
	v_mov_b32_e32 v3, 0
	s_orn2_b64 s[62:63], s[62:63], exec
.LBB10_1554:                            ;   in Loop: Header=BB10_1556 Depth=3
	s_or_b64 exec, exec, s[60:61]
	s_andn2_b64 vcc, s[56:57], exec
	s_and_b64 s[56:57], s[62:63], exec
	s_or_b64 s[56:57], vcc, s[56:57]
	v_mov_b32_e32 v0, v3
.LBB10_1555:                            ;   in Loop: Header=BB10_1556 Depth=3
	s_or_b64 exec, exec, s[58:59]
	s_waitcnt vmcnt(0) lgkmcnt(0)
	v_cmp_ge_u64_e32 vcc, v[50:51], v[4:5]
	s_xor_b64 s[58:59], s[56:57], -1
	s_or_b64 vcc, s[58:59], vcc
	s_and_b64 vcc, exec, vcc
	s_or_b64 s[38:39], vcc, s[38:39]
	s_andn2_b64 exec, exec, s[38:39]
	s_cbranch_execz .LBB10_1560
.LBB10_1556:                            ;   Parent Loop BB10_47 Depth=1
                                        ;     Parent Loop BB10_1550 Depth=2
                                        ; =>    This Inner Loop Header: Depth=3
	s_sleep 1
	flat_load_dwordx2 v[50:51], v[34:35] glc
	v_and_b32_e32 v3, 64, v55
	v_cmp_eq_u32_e32 vcc, 0, v3
	s_andn2_b64 s[56:57], s[56:57], exec
	s_and_saveexec_b64 s[58:59], vcc
	s_cbranch_execz .LBB10_1555
; %bb.1557:                             ;   in Loop: Header=BB10_1556 Depth=3
	v_add_u32_e32 v3, 1, v0
	v_cmp_lt_i32_e32 vcc, s85, v0
	s_mov_b64 s[62:63], -1
	s_and_saveexec_b64 s[60:61], vcc
	s_cbranch_execz .LBB10_1554
; %bb.1558:                             ;   in Loop: Header=BB10_1556 Depth=3
	s_trap 2
	ds_read_b64 v[8:9], v0
	s_waitcnt vmcnt(0) lgkmcnt(0)
	flat_load_dword v0, v[8:9] glc
	s_waitcnt vmcnt(0) lgkmcnt(0)
	buffer_invl2
	buffer_wbinvl1_vol
	v_cmp_ne_u32_e32 vcc, 0, v0
	s_and_saveexec_b64 s[64:65], vcc
	s_cbranch_execz .LBB10_1553
; %bb.1559:                             ;   in Loop: Header=BB10_1556 Depth=3
	v_or_b32_e32 v55, 64, v55
	s_xor_b64 s[62:63], exec, -1
	ds_write_b32 v0, v0
	s_trap 2
	s_branch .LBB10_1553
.LBB10_1560:                            ;   in Loop: Header=BB10_1550 Depth=2
	s_or_b64 exec, exec, s[38:39]
	v_and_b32_e32 v0, 4, v55
.LBB10_1561:                            ;   in Loop: Header=BB10_1550 Depth=2
	s_or_b64 exec, exec, s[36:37]
	v_cmp_eq_u32_e32 vcc, 0, v0
	s_orn2_b64 s[36:37], vcc, exec
	;;#ASMSTART
	s_wakeup
	;;#ASMEND
.LBB10_1562:                            ;   in Loop: Header=BB10_1550 Depth=2
	s_or_b64 exec, exec, s[34:35]
	s_xor_b64 s[26:27], s[26:27], -1
	s_and_b64 s[26:27], exec, s[26:27]
	s_or_b64 s[30:31], s[26:27], s[30:31]
	s_xor_b64 s[26:27], s[36:37], -1
	s_and_saveexec_b64 s[34:35], s[26:27]
	s_cbranch_execz .LBB10_1572
; %bb.1563:                             ;   in Loop: Header=BB10_1550 Depth=2
	v_and_b32_e32 v0, 0x100, v55
	v_cmp_ne_u32_e32 vcc, 0, v0
	v_and_b32_e32 v0, 7, v32
	s_mov_b64 s[26:27], -1
                                        ; implicit-def: $vgpr4_vgpr5
	s_and_saveexec_b64 s[36:37], vcc
	s_cbranch_execz .LBB10_1567
; %bb.1564:                             ;   in Loop: Header=BB10_1550 Depth=2
	v_mad_u64_u32 v[8:9], s[26:27], v0, 24, v[6:7]
	flat_load_dword v3, v[8:9]
                                        ; implicit-def: $vgpr4_vgpr5
	s_waitcnt vmcnt(0) lgkmcnt(0)
	v_cmp_ne_u32_e32 vcc, 1, v3
	v_cmp_eq_u32_e64 s[26:27], 1, v3
	s_and_saveexec_b64 s[38:39], s[26:27]
	s_cbranch_execz .LBB10_1566
; %bb.1565:                             ;   in Loop: Header=BB10_1550 Depth=2
	flat_load_dword v4, v[8:9] offset:4 glc
	s_waitcnt vmcnt(0) lgkmcnt(0)
	v_ashrrev_i32_e32 v5, 31, v4
	v_lshrrev_b64 v[4:5], 1, v[4:5]
.LBB10_1566:                            ;   in Loop: Header=BB10_1550 Depth=2
	s_or_b64 exec, exec, s[38:39]
	s_orn2_b64 s[26:27], vcc, exec
.LBB10_1567:                            ;   in Loop: Header=BB10_1550 Depth=2
	s_or_b64 exec, exec, s[36:37]
	s_and_saveexec_b64 vcc, s[26:27]
; %bb.1568:                             ;   in Loop: Header=BB10_1550 Depth=2
	v_mad_i64_i32 v[4:5], s[26:27], v0, v30, 0
; %bb.1569:                             ;   in Loop: Header=BB10_1550 Depth=2
	s_or_b64 exec, exec, vcc
	v_lshlrev_b64 v[4:5], 1, v[4:5]
	v_add_co_u32_e32 v4, vcc, v36, v4
	v_addc_co_u32_e32 v5, vcc, v37, v5, vcc
	ds_write_b64 v0, v[4:5] offset:720
	v_and_b32_e32 v0, 0x2000, v55
	v_cmp_ne_u32_e32 vcc, 0, v0
	s_and_saveexec_b64 s[26:27], vcc
	s_cbranch_execz .LBB10_1571
; %bb.1570:                             ;   in Loop: Header=BB10_1550 Depth=2
	ds_read_b64 v[4:5], v0 offset:584
	s_waitcnt lgkmcnt(0)
	v_add_co_u32_e32 v4, vcc, 1, v4
	v_addc_co_u32_e32 v5, vcc, 0, v5, vcc
	ds_write_b64 v0, v[4:5] offset:584
.LBB10_1571:                            ;   in Loop: Header=BB10_1550 Depth=2
	s_or_b64 exec, exec, s[26:27]
	v_add_co_u32_e32 v32, vcc, 2, v32
	v_addc_co_u32_e32 v33, vcc, 0, v33, vcc
.LBB10_1572:                            ;   in Loop: Header=BB10_1550 Depth=2
	s_or_b64 exec, exec, s[34:35]
	s_and_saveexec_b64 s[26:27], s[10:11]
	s_cbranch_execz .LBB10_1591
; %bb.1573:                             ;   in Loop: Header=BB10_1550 Depth=2
	s_and_saveexec_b64 vcc, s[48:49]
	s_xor_b64 s[34:35], exec, vcc
	s_cbranch_execz .LBB10_1588
; %bb.1574:                             ;   in Loop: Header=BB10_1550 Depth=2
	s_and_saveexec_b64 s[36:37], s[16:17]
	s_cbranch_execz .LBB10_1587
; %bb.1575:                             ;   in Loop: Header=BB10_1550 Depth=2
	s_mov_b64 s[56:57], exec
	v_mbcnt_lo_u32_b32 v0, s56, 0
	v_mbcnt_hi_u32_b32 v0, s57, v0
	v_cmp_eq_u32_e32 vcc, 0, v0
	s_waitcnt vmcnt(0) lgkmcnt(0)
	buffer_wbinvl1_vol
	s_and_saveexec_b64 s[38:39], vcc
	s_cbranch_execz .LBB10_1577
; %bb.1576:                             ;   in Loop: Header=BB10_1550 Depth=2
	s_bcnt1_i32_b64 vcc_lo, s[56:57]
	v_mov_b32_e32 v4, vcc_lo
	v_mov_b32_e32 v5, v52
	ds_add_u64 v0, v[4:5]
	s_trap 2
.LBB10_1577:                            ;   in Loop: Header=BB10_1550 Depth=2
	s_or_b64 exec, exec, s[38:39]
	s_trap 2
	ds_read_b64 v[4:5], v0
	v_add_co_u32_e32 v48, vcc, v48, v54
	v_addc_co_u32_e32 v49, vcc, 0, v49, vcc
	s_waitcnt lgkmcnt(0)
	v_cmp_lt_u64_e32 vcc, v[4:5], v[48:49]
	s_and_saveexec_b64 s[38:39], vcc
	s_cbranch_execz .LBB10_1586
; %bb.1578:                             ;   in Loop: Header=BB10_1550 Depth=2
	s_mov_b32 s46, 0
	s_mov_b64 s[56:57], 0
                                        ; implicit-def: $sgpr58_sgpr59
                                        ; implicit-def: $sgpr60_sgpr61
	s_branch .LBB10_1580
.LBB10_1579:                            ;   in Loop: Header=BB10_1580 Depth=3
	s_or_b64 exec, exec, s[64:65]
	s_and_b64 vcc, exec, vcc
	s_or_b64 s[56:57], vcc, s[56:57]
	s_andn2_b64 vcc, s[58:59], exec
	s_and_b64 s[58:59], s[60:61], exec
	s_or_b64 s[58:59], vcc, s[58:59]
	s_andn2_b64 exec, exec, s[56:57]
	s_cbranch_execz .LBB10_1584
.LBB10_1580:                            ;   Parent Loop BB10_47 Depth=1
                                        ;     Parent Loop BB10_1550 Depth=2
                                        ; =>    This Inner Loop Header: Depth=3
	s_add_i32 s46, s46, 1
	s_cmpk_lg_i32 s46, 0x2710
	s_cselect_b64 s[62:63], -1, 0
	s_and_b64 vcc, exec, s[62:63]
                                        ; implicit-def: $sgpr64_sgpr65
	s_cbranch_vccnz .LBB10_1582
; %bb.1581:                             ;   in Loop: Header=BB10_1580 Depth=3
	s_trap 2
	ds_read_b64 v[4:5], v0
	s_andn2_b64 s[62:63], s[62:63], exec
	s_mov_b32 s46, 0
	s_mov_b64 s[64:65], -1
	s_waitcnt lgkmcnt(0)
	flat_load_dword v0, v[4:5] glc
	s_waitcnt vmcnt(0) lgkmcnt(0)
	buffer_invl2
	buffer_wbinvl1_vol
	v_cmp_eq_u32_e32 vcc, 0, v0
	s_and_b64 vcc, vcc, exec
	s_or_b64 s[62:63], s[62:63], vcc
.LBB10_1582:                            ;   in Loop: Header=BB10_1580 Depth=3
	s_andn2_b64 s[60:61], s[60:61], exec
	s_and_b64 s[64:65], s[64:65], exec
	s_mov_b64 vcc, -1
	s_or_b64 s[60:61], s[60:61], s[64:65]
	s_and_saveexec_b64 s[64:65], s[62:63]
	s_cbranch_execz .LBB10_1579
; %bb.1583:                             ;   in Loop: Header=BB10_1580 Depth=3
	s_sleep 1
	s_trap 2
	ds_read_b64 v[4:5], v0
	s_andn2_b64 s[60:61], s[60:61], exec
	s_waitcnt lgkmcnt(0)
	v_cmp_ge_u64_e32 vcc, v[4:5], v[48:49]
	s_orn2_b64 vcc, vcc, exec
	s_branch .LBB10_1579
.LBB10_1584:                            ;   in Loop: Header=BB10_1550 Depth=2
	s_or_b64 exec, exec, s[56:57]
	s_and_saveexec_b64 vcc, s[58:59]
	s_xor_b64 vcc, exec, vcc
	s_cbranch_execz .LBB10_1586
; %bb.1585:                             ;   in Loop: Header=BB10_1550 Depth=2
	ds_write_b32 v0, v57
	s_trap 2
.LBB10_1586:                            ;   in Loop: Header=BB10_1550 Depth=2
	s_or_b64 exec, exec, s[38:39]
	;;#ASMSTART
	s_wakeup
	;;#ASMEND
.LBB10_1587:                            ;   in Loop: Header=BB10_1550 Depth=2
	s_or_b64 exec, exec, s[36:37]
.LBB10_1588:                            ;   in Loop: Header=BB10_1550 Depth=2
	s_andn2_saveexec_b64 vcc, s[34:35]
	s_cbranch_execz .LBB10_1590
; %bb.1589:                             ;   in Loop: Header=BB10_1550 Depth=2
	s_waitcnt vmcnt(0) lgkmcnt(0)
	buffer_wbinvl1_vol
	s_barrier
.LBB10_1590:                            ;   in Loop: Header=BB10_1550 Depth=2
	s_or_b64 exec, exec, vcc
.LBB10_1591:                            ;   in Loop: Header=BB10_1550 Depth=2
	s_or_b64 exec, exec, s[26:27]
	v_sub_u32_e32 v0, v14, v2
	v_min_i32_e32 v15, v15, v0
	s_and_saveexec_b64 s[26:27], s[22:23]
	s_xor_b64 s[26:27], exec, s[26:27]
	s_cbranch_execz .LBB10_1595
; %bb.1592:                             ;   in Loop: Header=BB10_1550 Depth=2
	s_trap 2
	ds_read_b32 v0, v0
	v_cmp_lt_i32_e32 vcc, 0, v15
	v_and_b32_e32 v3, 16, v55
	s_waitcnt lgkmcnt(0)
	v_readfirstlane_b32 s34, v0
	s_cmp_eq_u32 s34, 0
	s_cselect_b64 s[34:35], -1, 0
	s_and_b64 s[34:35], vcc, s[34:35]
	v_cmp_ne_u32_e32 vcc, 0, v3
	s_and_b64 s[34:35], vcc, s[34:35]
	s_and_saveexec_b64 vcc, s[34:35]
	s_cbranch_execz .LBB10_1594
; %bb.1593:                             ;   in Loop: Header=BB10_1550 Depth=2
	s_waitcnt vmcnt(0)
	buffer_wbinvl1_vol
.LBB10_1594:                            ;   in Loop: Header=BB10_1550 Depth=2
	s_or_b64 exec, exec, vcc
.LBB10_1595:                            ;   in Loop: Header=BB10_1550 Depth=2
	s_andn2_saveexec_b64 s[26:27], s[26:27]
	s_cbranch_execz .LBB10_1614
; %bb.1596:                             ;   in Loop: Header=BB10_1550 Depth=2
	s_and_saveexec_b64 vcc, s[48:49]
	s_xor_b64 s[34:35], exec, vcc
	s_cbranch_execz .LBB10_1611
; %bb.1597:                             ;   in Loop: Header=BB10_1550 Depth=2
	s_and_saveexec_b64 s[36:37], s[16:17]
	s_cbranch_execz .LBB10_1610
; %bb.1598:                             ;   in Loop: Header=BB10_1550 Depth=2
	s_mov_b64 s[56:57], exec
	v_mbcnt_lo_u32_b32 v0, s56, 0
	v_mbcnt_hi_u32_b32 v0, s57, v0
	v_cmp_eq_u32_e32 vcc, 0, v0
	;;#ASMSTART
	s_waitcnt lgkmcnt(0) vmcnt(0)
	;;#ASMEND
	s_and_saveexec_b64 s[38:39], vcc
	s_cbranch_execz .LBB10_1600
; %bb.1599:                             ;   in Loop: Header=BB10_1550 Depth=2
	s_bcnt1_i32_b64 vcc_lo, s[56:57]
	v_mov_b32_e32 v4, vcc_lo
	v_mov_b32_e32 v5, v52
	ds_add_u64 v0, v[4:5]
	s_trap 2
.LBB10_1600:                            ;   in Loop: Header=BB10_1550 Depth=2
	s_or_b64 exec, exec, s[38:39]
	s_trap 2
	ds_read_b64 v[4:5], v0
	v_add_co_u32_e32 v48, vcc, v48, v54
	v_addc_co_u32_e32 v49, vcc, 0, v49, vcc
	s_waitcnt lgkmcnt(0)
	v_cmp_lt_u64_e32 vcc, v[4:5], v[48:49]
	s_and_saveexec_b64 s[38:39], vcc
	s_cbranch_execz .LBB10_1609
; %bb.1601:                             ;   in Loop: Header=BB10_1550 Depth=2
	s_mov_b32 s46, 0
	s_mov_b64 s[56:57], 0
                                        ; implicit-def: $sgpr58_sgpr59
                                        ; implicit-def: $sgpr60_sgpr61
	s_branch .LBB10_1603
.LBB10_1602:                            ;   in Loop: Header=BB10_1603 Depth=3
	s_or_b64 exec, exec, s[64:65]
	s_and_b64 vcc, exec, vcc
	s_or_b64 s[56:57], vcc, s[56:57]
	s_andn2_b64 vcc, s[58:59], exec
	s_and_b64 s[58:59], s[60:61], exec
	s_or_b64 s[58:59], vcc, s[58:59]
	s_andn2_b64 exec, exec, s[56:57]
	s_cbranch_execz .LBB10_1607
.LBB10_1603:                            ;   Parent Loop BB10_47 Depth=1
                                        ;     Parent Loop BB10_1550 Depth=2
                                        ; =>    This Inner Loop Header: Depth=3
	s_add_i32 s46, s46, 1
	s_cmpk_lg_i32 s46, 0x2710
	s_cselect_b64 s[62:63], -1, 0
	s_and_b64 vcc, exec, s[62:63]
                                        ; implicit-def: $sgpr64_sgpr65
	s_cbranch_vccnz .LBB10_1605
; %bb.1604:                             ;   in Loop: Header=BB10_1603 Depth=3
	s_trap 2
	ds_read_b64 v[4:5], v0
	s_andn2_b64 s[62:63], s[62:63], exec
	s_mov_b32 s46, 0
	s_mov_b64 s[64:65], -1
	s_waitcnt vmcnt(0) lgkmcnt(0)
	flat_load_dword v0, v[4:5] glc
	s_waitcnt vmcnt(0) lgkmcnt(0)
	buffer_invl2
	buffer_wbinvl1_vol
	v_cmp_eq_u32_e32 vcc, 0, v0
	s_and_b64 vcc, vcc, exec
	s_or_b64 s[62:63], s[62:63], vcc
.LBB10_1605:                            ;   in Loop: Header=BB10_1603 Depth=3
	s_andn2_b64 s[60:61], s[60:61], exec
	s_and_b64 s[64:65], s[64:65], exec
	s_mov_b64 vcc, -1
	s_or_b64 s[60:61], s[60:61], s[64:65]
	s_and_saveexec_b64 s[64:65], s[62:63]
	s_cbranch_execz .LBB10_1602
; %bb.1606:                             ;   in Loop: Header=BB10_1603 Depth=3
	s_sleep 1
	s_trap 2
	ds_read_b64 v[4:5], v0
	s_andn2_b64 s[60:61], s[60:61], exec
	s_waitcnt lgkmcnt(0)
	v_cmp_ge_u64_e32 vcc, v[4:5], v[48:49]
	s_orn2_b64 vcc, vcc, exec
	s_branch .LBB10_1602
.LBB10_1607:                            ;   in Loop: Header=BB10_1550 Depth=2
	s_or_b64 exec, exec, s[56:57]
	s_and_saveexec_b64 vcc, s[58:59]
	s_xor_b64 vcc, exec, vcc
	s_cbranch_execz .LBB10_1609
; %bb.1608:                             ;   in Loop: Header=BB10_1550 Depth=2
	ds_write_b32 v0, v57
	s_trap 2
.LBB10_1609:                            ;   in Loop: Header=BB10_1550 Depth=2
	s_or_b64 exec, exec, s[38:39]
	;;#ASMSTART
	s_wakeup
	;;#ASMEND
.LBB10_1610:                            ;   in Loop: Header=BB10_1550 Depth=2
	s_or_b64 exec, exec, s[36:37]
.LBB10_1611:                            ;   in Loop: Header=BB10_1550 Depth=2
	s_andn2_saveexec_b64 vcc, s[34:35]
	s_cbranch_execz .LBB10_1613
; %bb.1612:                             ;   in Loop: Header=BB10_1550 Depth=2
	;;#ASMSTART
	s_waitcnt lgkmcnt(0) vmcnt(0)
	;;#ASMEND
	s_barrier
.LBB10_1613:                            ;   in Loop: Header=BB10_1550 Depth=2
	s_or_b64 exec, exec, vcc
.LBB10_1614:                            ;   in Loop: Header=BB10_1550 Depth=2
	s_or_b64 exec, exec, s[26:27]
	v_and_b32_e32 v0, 32, v55
	v_cmp_ne_u32_e32 vcc, 0, v0
	s_and_saveexec_b64 s[26:27], vcc
	s_cbranch_execz .LBB10_1549
; %bb.1615:                             ;   in Loop: Header=BB10_1550 Depth=2
	v_add_co_u32_e32 v32, vcc, 2, v32
	v_addc_co_u32_e32 v33, vcc, 0, v33, vcc
	flat_store_dwordx2 v[34:35], v[32:33]
	s_branch .LBB10_1549
.LBB10_1616:
	s_or_b64 exec, exec, s[44:45]
	v_accvgpr_read_b32 v21, a11
	v_accvgpr_read_b32 v18, a0
	;; [unrolled: 1-line block ×5, first 2 shown]
.LBB10_1617:
	s_or_b64 exec, exec, s[42:43]
	v_and_b32_e32 v0, 0x800, v55
	v_cmp_eq_u32_e32 vcc, 0, v0
	s_and_saveexec_b64 s[4:5], vcc
	s_cbranch_execz .LBB10_1652
; %bb.1618:
	v_and_b32_e32 v0, 48, v55
	v_cmp_ne_u32_e32 vcc, 0, v0
	s_and_saveexec_b64 s[6:7], vcc
	s_cbranch_execz .LBB10_1620
; %bb.1619:
	flat_store_dwordx2 v[20:21], v[32:33] offset:104
.LBB10_1620:
	s_or_b64 exec, exec, s[6:7]
	s_movk_i32 s6, 0x88
	v_and_b32_e32 v0, 0x88, v55
	v_cmp_eq_u32_e32 vcc, s6, v0
	s_and_saveexec_b64 s[6:7], vcc
	s_cbranch_execz .LBB10_1632
; %bb.1621:
	v_add_u32_e32 v0, 6, v32
	v_and_b32_e32 v0, 7, v0
	v_mad_u64_u32 v[0:1], s[10:11], v0, 24, v[6:7]
	v_add_co_u32_e32 v2, vcc, 8, v0
	v_addc_co_u32_e32 v3, vcc, 0, v1, vcc
	s_mov_b64 s[10:11], 0
	v_mov_b32_e32 v0, 0
	s_movk_i32 s24, 0x270e
                                        ; implicit-def: $sgpr12_sgpr13
	s_branch .LBB10_1626
.LBB10_1622:                            ;   in Loop: Header=BB10_1626 Depth=1
	s_or_b64 exec, exec, s[22:23]
	v_mov_b32_e32 v1, 0
	s_orn2_b64 s[20:21], s[20:21], exec
.LBB10_1623:                            ;   in Loop: Header=BB10_1626 Depth=1
	s_or_b64 exec, exec, s[18:19]
	s_and_b64 s[18:19], s[20:21], exec
	v_mov_b32_e32 v0, v1
.LBB10_1624:                            ;   in Loop: Header=BB10_1626 Depth=1
	s_or_b64 exec, exec, s[16:17]
	s_xor_b64 s[16:17], s[18:19], -1
	s_andn2_b64 s[12:13], s[12:13], exec
	s_and_b64 s[16:17], s[16:17], exec
	s_or_b64 s[12:13], s[12:13], s[16:17]
.LBB10_1625:                            ;   in Loop: Header=BB10_1626 Depth=1
	s_or_b64 exec, exec, s[14:15]
	s_and_b64 s[14:15], exec, s[12:13]
	s_or_b64 s[10:11], s[14:15], s[10:11]
	s_andn2_b64 exec, exec, s[10:11]
	s_cbranch_execz .LBB10_1631
.LBB10_1626:                            ; =>This Inner Loop Header: Depth=1
	flat_load_dwordx2 v[4:5], v[2:3] glc
	s_waitcnt vmcnt(0)
	s_or_b64 s[12:13], s[12:13], exec
	s_waitcnt lgkmcnt(0)
	v_cmp_ne_u64_e32 vcc, -1, v[4:5]
	s_and_saveexec_b64 s[14:15], vcc
	s_cbranch_execz .LBB10_1625
; %bb.1627:                             ;   in Loop: Header=BB10_1626 Depth=1
	v_and_b32_e32 v1, 64, v55
	v_cmp_eq_u32_e32 vcc, 0, v1
	s_mov_b64 s[18:19], 0
	s_and_saveexec_b64 s[16:17], vcc
	s_cbranch_execz .LBB10_1624
; %bb.1628:                             ;   in Loop: Header=BB10_1626 Depth=1
	v_add_u32_e32 v1, 1, v0
	v_cmp_lt_i32_e32 vcc, s24, v0
	s_mov_b64 s[20:21], -1
	s_and_saveexec_b64 s[18:19], vcc
	s_cbranch_execz .LBB10_1623
; %bb.1629:                             ;   in Loop: Header=BB10_1626 Depth=1
	s_trap 2
	ds_read_b64 v[0:1], v0
	s_waitcnt lgkmcnt(0)
	flat_load_dword v0, v[0:1] glc
	s_waitcnt vmcnt(0) lgkmcnt(0)
	buffer_invl2
	buffer_wbinvl1_vol
	v_cmp_ne_u32_e32 vcc, 0, v0
	s_and_saveexec_b64 s[22:23], vcc
	s_cbranch_execz .LBB10_1622
; %bb.1630:                             ;   in Loop: Header=BB10_1626 Depth=1
	v_or_b32_e32 v55, 64, v55
	s_xor_b64 s[20:21], exec, -1
	ds_write_b32 v0, v0
	s_trap 2
	s_branch .LBB10_1622
.LBB10_1631:
	s_or_b64 exec, exec, s[10:11]
.LBB10_1632:
	s_or_b64 exec, exec, s[6:7]
	v_and_b32_e32 v0, 0x2000, v55
	v_cmp_ne_u32_e32 vcc, 0, v0
	s_and_saveexec_b64 s[6:7], vcc
	s_cbranch_execz .LBB10_1634
; %bb.1633:
	s_trap 2
	ds_read_b64 v[0:1], v0
	v_accvgpr_read_b32 v2, a8
	v_accvgpr_read_b32 v3, a9
	s_waitcnt lgkmcnt(0)
	flat_store_dwordx2 v[2:3], v[0:1] offset:16
.LBB10_1634:
	s_or_b64 exec, exec, s[6:7]
	v_cmp_ne_u32_e32 vcc, 64, v18
	s_and_b64 exec, exec, vcc
	s_cbranch_execz .LBB10_1652
; %bb.1635:
	v_cmp_ne_u32_sdwa s[6:7], v19, v18 src0_sel:WORD_0 src1_sel:DWORD
	s_and_saveexec_b64 s[10:11], s[6:7]
	s_xor_b64 s[6:7], exec, s[10:11]
	s_cbranch_execz .LBB10_1650
; %bb.1636:
	v_and_b32_e32 v0, 63, v31
	v_cmp_eq_u32_e32 vcc, 0, v0
	s_and_saveexec_b64 s[10:11], vcc
	s_cbranch_execz .LBB10_1649
; %bb.1637:
	s_mov_b64 s[14:15], exec
	v_mbcnt_lo_u32_b32 v0, s14, 0
	v_mbcnt_hi_u32_b32 v0, s15, v0
	v_cmp_eq_u32_e32 vcc, 0, v0
	s_waitcnt vmcnt(0) lgkmcnt(0)
	buffer_wbinvl1_vol
	s_and_saveexec_b64 s[12:13], vcc
	s_cbranch_execz .LBB10_1639
; %bb.1638:
	s_bcnt1_i32_b64 s14, s[14:15]
	v_mov_b32_e32 v0, s14
	v_mov_b32_e32 v1, 0
	ds_add_u64 v0, v[0:1]
	s_trap 2
.LBB10_1639:
	s_or_b64 exec, exec, s[12:13]
	v_ashrrev_i32_e32 v0, 31, v18
	v_lshrrev_b32_e32 v0, 26, v0
	v_add_u32_e32 v0, v18, v0
	v_ashrrev_i32_e32 v0, 6, v0
	s_trap 2
	ds_read_b64 v[2:3], v0
	v_ashrrev_i32_e32 v1, 31, v0
	v_add_co_u32_e32 v0, vcc, v48, v0
	v_addc_co_u32_e32 v1, vcc, v49, v1, vcc
	s_waitcnt lgkmcnt(0)
	v_cmp_lt_u64_e32 vcc, v[2:3], v[0:1]
	s_and_saveexec_b64 s[12:13], vcc
	s_cbranch_execz .LBB10_1648
; %bb.1640:
	s_mov_b32 s26, 0
	s_mov_b64 s[14:15], 0
                                        ; implicit-def: $sgpr16_sgpr17
                                        ; implicit-def: $sgpr18_sgpr19
	s_branch .LBB10_1642
.LBB10_1641:                            ;   in Loop: Header=BB10_1642 Depth=1
	s_or_b64 exec, exec, s[24:25]
	s_and_b64 s[20:21], exec, s[22:23]
	s_or_b64 s[14:15], s[20:21], s[14:15]
	s_andn2_b64 s[16:17], s[16:17], exec
	s_and_b64 s[20:21], s[18:19], exec
	s_or_b64 s[16:17], s[16:17], s[20:21]
	s_andn2_b64 exec, exec, s[14:15]
	s_cbranch_execz .LBB10_1646
.LBB10_1642:                            ; =>This Inner Loop Header: Depth=1
	s_add_i32 s26, s26, 1
	s_cmpk_lg_i32 s26, 0x2710
	s_cselect_b64 s[20:21], -1, 0
	s_and_b64 vcc, exec, s[20:21]
                                        ; implicit-def: $sgpr24_sgpr25
	s_cbranch_vccnz .LBB10_1644
; %bb.1643:                             ;   in Loop: Header=BB10_1642 Depth=1
	s_trap 2
	ds_read_b64 v[2:3], v0
	s_andn2_b64 s[20:21], s[20:21], exec
	s_mov_b32 s26, 0
	s_mov_b64 s[24:25], -1
	s_waitcnt lgkmcnt(0)
	flat_load_dword v2, v[2:3] glc
	s_waitcnt vmcnt(0) lgkmcnt(0)
	buffer_invl2
	buffer_wbinvl1_vol
	v_cmp_eq_u32_e32 vcc, 0, v2
	s_and_b64 s[22:23], vcc, exec
	s_or_b64 s[20:21], s[20:21], s[22:23]
.LBB10_1644:                            ;   in Loop: Header=BB10_1642 Depth=1
	s_andn2_b64 s[18:19], s[18:19], exec
	s_and_b64 s[24:25], s[24:25], exec
	s_mov_b64 s[22:23], -1
	s_or_b64 s[18:19], s[18:19], s[24:25]
	s_and_saveexec_b64 s[24:25], s[20:21]
	s_cbranch_execz .LBB10_1641
; %bb.1645:                             ;   in Loop: Header=BB10_1642 Depth=1
	s_sleep 1
	s_trap 2
	ds_read_b64 v[2:3], v0
	s_andn2_b64 s[18:19], s[18:19], exec
	s_waitcnt lgkmcnt(0)
	v_cmp_ge_u64_e32 vcc, v[2:3], v[0:1]
	s_orn2_b64 s[22:23], vcc, exec
	s_branch .LBB10_1641
.LBB10_1646:
	s_or_b64 exec, exec, s[14:15]
	s_and_saveexec_b64 s[14:15], s[16:17]
	s_xor_b64 s[14:15], exec, s[14:15]
	s_cbranch_execz .LBB10_1648
; %bb.1647:
	v_mov_b32_e32 v0, 1
	ds_write_b32 v0, v0
	s_trap 2
.LBB10_1648:
	s_or_b64 exec, exec, s[12:13]
	;;#ASMSTART
	s_wakeup
	;;#ASMEND
.LBB10_1649:
	s_or_b64 exec, exec, s[10:11]
.LBB10_1650:
	s_andn2_saveexec_b64 s[6:7], s[6:7]
	s_cbranch_execz .LBB10_1652
; %bb.1651:
	s_waitcnt vmcnt(0) lgkmcnt(0)
	buffer_wbinvl1_vol
	s_barrier
.LBB10_1652:
	s_or_b64 exec, exec, s[4:5]
.LBB10_1653:
	s_andn2_saveexec_b64 s[26:27], s[40:41]
	s_cbranch_execz .LBB10_1655
; %bb.1654:
	s_getpc_b64 s[4:5]
	s_add_u32 s4, s4, __PRETTY_FUNCTION__._ZN10PrimitivesI12hip_bfloat1610FuncMinMaxIS0_E12FanSymmetricILi1EELi0E11ProtoSimpleILi2ELi2ELi0ELi4ELi0ELi0EELi0ELb0ELi0ELi0ELi0EEC2EiiPKiS9_PKvPvmhhhP15ncclDevWorkCollP14ncclDevWorkP2pii@rel32@lo+4
	s_addc_u32 s5, s5, __PRETTY_FUNCTION__._ZN10PrimitivesI12hip_bfloat1610FuncMinMaxIS0_E12FanSymmetricILi1EELi0E11ProtoSimpleILi2ELi2ELi0ELi4ELi0ELi0EELi0ELb0ELi0ELi0ELi0EEC2EiiPKiS9_PKvPvmhhhP15ncclDevWorkCollP14ncclDevWorkP2pii@rel32@hi+12
	v_mov_b32_e32 v0, s4
	v_mov_b32_e32 v1, s5
	s_getpc_b64 s[6:7]
	s_add_u32 s6, s6, __assert_fail@rel32@lo+4
	s_addc_u32 s7, s7, __assert_fail@rel32@hi+12
	s_swappc_b64 s[30:31], s[6:7]
	; divergent unreachable
.LBB10_1655:
	s_or_b64 exec, exec, s[26:27]
	buffer_load_dword a38, off, s[0:3], s33 ; 4-byte Folded Reload
	buffer_load_dword a37, off, s[0:3], s33 offset:4 ; 4-byte Folded Reload
	buffer_load_dword a36, off, s[0:3], s33 offset:8 ; 4-byte Folded Reload
	;; [unrolled: 1-line block ×8, first 2 shown]
	s_waitcnt lgkmcnt(0)
	buffer_load_dword v59, off, s[0:3], s33 offset:36 ; 4-byte Folded Reload
	buffer_load_dword v58, off, s[0:3], s33 offset:40 ; 4-byte Folded Reload
	buffer_load_dword v57, off, s[0:3], s33 offset:44 ; 4-byte Folded Reload
	buffer_load_dword v56, off, s[0:3], s33 offset:48 ; 4-byte Folded Reload
	buffer_load_dword v47, off, s[0:3], s33 offset:52 ; 4-byte Folded Reload
	buffer_load_dword v46, off, s[0:3], s33 offset:56 ; 4-byte Folded Reload
	buffer_load_dword v45, off, s[0:3], s33 offset:60 ; 4-byte Folded Reload
	buffer_load_dword v44, off, s[0:3], s33 offset:64 ; 4-byte Folded Reload
	buffer_load_dword v43, off, s[0:3], s33 offset:68 ; 4-byte Folded Reload
	buffer_load_dword v42, off, s[0:3], s33 offset:72 ; 4-byte Folded Reload
	buffer_load_dword v41, off, s[0:3], s33 offset:76 ; 4-byte Folded Reload
	buffer_load_dword v40, off, s[0:3], s33 offset:80 ; 4-byte Folded Reload
	v_readlane_b32 s30, v62, 0
	v_readlane_b32 s31, v62, 1
	;; [unrolled: 1-line block ×67, first 2 shown]
	s_or_saveexec_b64 s[6:7], -1
	buffer_load_dword v63, off, s[0:3], s33 offset:84 ; 4-byte Folded Reload
	buffer_load_dword v62, off, s[0:3], s33 offset:88 ; 4-byte Folded Reload
	s_mov_b64 exec, s[6:7]
	s_addk_i32 s32, 0xe800
	s_mov_b32 s33, s4
	s_waitcnt vmcnt(0)
	s_setpc_b64 s[30:31]
.Lfunc_end10:
	.size	_ZN12_GLOBAL__N_17runRingI12hip_bfloat1610FuncMinMaxIS1_E11ProtoSimpleILi2ELi2ELi0ELi4ELi0ELi0EELi0ELi0ELi4ELi0EEEviiP15ncclDevWorkColl, .Lfunc_end10-_ZN12_GLOBAL__N_17runRingI12hip_bfloat1610FuncMinMaxIS1_E11ProtoSimpleILi2ELi2ELi0ELi4ELi0ELi0EELi0ELi0ELi4ELi0EEEviiP15ncclDevWorkColl
                                        ; -- End function
	.section	.AMDGPU.csdata,"",@progbits
; Function info:
; codeLenInByte = 50932
; NumSgprs: 102
; NumVgprs: 64
; NumAgprs: 39
; TotalNumVgprs: 103
; ScratchSize: 160
; MemoryBound: 1
	.text
	.p2align	2                               ; -- Begin function _Z51ncclDevFunc_AllReduce_RING_SIMPLE_MinMax_bf16_0_0_4v
	.type	_Z51ncclDevFunc_AllReduce_RING_SIMPLE_MinMax_bf16_0_0_4v,@function
_Z51ncclDevFunc_AllReduce_RING_SIMPLE_MinMax_bf16_0_0_4v: ; @_Z51ncclDevFunc_AllReduce_RING_SIMPLE_MinMax_bf16_0_0_4v
; %bb.0:
	s_waitcnt vmcnt(0) expcnt(0) lgkmcnt(0)
	s_mov_b32 s4, s33
	s_mov_b32 s33, s32
	s_or_saveexec_b64 s[6:7], -1
	buffer_store_dword a32, off, s[0:3], s33 offset:16 ; 4-byte Folded Spill
	buffer_store_dword v63, off, s[0:3], s33 offset:20 ; 4-byte Folded Spill
	;; [unrolled: 1-line block ×5, first 2 shown]
	s_mov_b64 exec, s[6:7]
	v_writelane_b32 v45, s4, 6
	v_writelane_b32 v45, s100, 4
	;; [unrolled: 1-line block ×3, first 2 shown]
	s_addk_i32 s32, 0xc00
	buffer_store_dword v40, off, s[0:3], s33 offset:12 ; 4-byte Folded Spill
	buffer_store_dword v41, off, s[0:3], s33 offset:8 ; 4-byte Folded Spill
	;; [unrolled: 1-line block ×3, first 2 shown]
	buffer_store_dword v62, off, s[0:3], s33 ; 4-byte Folded Spill
	v_writelane_b32 v44, s34, 0
	v_writelane_b32 v44, s35, 1
	;; [unrolled: 1-line block ×68, first 2 shown]
	s_trap 2
	ds_read_b32 v0, v0
	v_mov_b32_e32 v40, v31
                                        ; implicit-def: $vgpr43 : SGPR spill to VGPR lane
	v_and_b32_e32 v41, 0x3ff, v40
	s_mov_b32 s99, s12
	v_writelane_b32 v43, s8, 0
	s_waitcnt lgkmcnt(0)
	v_cmp_lt_i32_e32 vcc, v41, v0
	v_writelane_b32 v43, s9, 1
	s_and_saveexec_b64 s[4:5], vcc
	s_cbranch_execz .LBB11_5
; %bb.1:
	v_readlane_b32 s8, v43, 0
	v_readlane_b32 s9, v43, 1
	s_load_dword s6, s[8:9], 0x0
	v_mov_b32_e32 v1, 0
	s_mov_b32 s10, 0
	v_mov_b32_e32 v4, v41
                                        ; implicit-def: $vgpr2
	s_waitcnt lgkmcnt(0)
	s_cmp_lt_u32 s99, s6
	s_cselect_b32 s6, 12, 18
	s_add_u32 s6, s8, s6
	s_addc_u32 s7, s9, 0
	global_load_ushort v1, v1, s[6:7]
	s_trap 2
	ds_read_b32 v3, v0
	s_mov_b64 s[6:7], 0
	s_waitcnt vmcnt(0) lgkmcnt(0)
	v_mul_lo_u32 v3, v3, v1
	s_branch .LBB11_3
.LBB11_2:                               ;   in Loop: Header=BB11_3 Depth=1
	s_or_b64 exec, exec, s[8:9]
	v_add_u32_e32 v4, v4, v1
	v_cmp_ge_i32_e32 vcc, v4, v0
	s_or_b64 s[6:7], vcc, s[6:7]
	v_add_u32_e32 v2, v2, v3
	s_andn2_b64 exec, exec, s[6:7]
	s_cbranch_execz .LBB11_5
.LBB11_3:                               ; =>This Inner Loop Header: Depth=1
	ds_read_b32 v5, v2
	s_waitcnt lgkmcnt(0)
	v_and_b32_e32 v5, 0x1000000, v5
	v_cmp_ne_u32_e32 vcc, 0, v5
	s_and_saveexec_b64 s[8:9], vcc
	s_cbranch_execz .LBB11_2
; %bb.4:                                ;   in Loop: Header=BB11_3 Depth=1
	ds_read_b64 v[6:7], v2 offset:104
	s_waitcnt lgkmcnt(0)
	flat_load_ushort v5, v[6:7]
	v_mov_b32_e32 v7, s10
	s_waitcnt vmcnt(0) lgkmcnt(0)
	v_and_b32_e32 v6, 0xffff, v5
	ds_write_b64 v2, v[6:7] offset:104
	s_branch .LBB11_2
.LBB11_5:
	s_or_b64 exec, exec, s[4:5]
	s_waitcnt lgkmcnt(0)
	s_barrier
	s_trap 2
	ds_read_b32 v0, v0
	s_waitcnt lgkmcnt(0)
	v_cmp_gt_i32_e32 vcc, 1, v0
	s_cbranch_vccnz .LBB11_13
; %bb.6:
	s_mov_b32 s98, 0
	v_mov_b32_e32 v42, 6
	s_branch .LBB11_8
.LBB11_7:                               ;   in Loop: Header=BB11_8 Depth=1
	s_or_b64 exec, exec, s[6:7]
	s_trap 2
	ds_read_b32 v0, v0
	s_add_i32 s98, s98, 1
	s_waitcnt lgkmcnt(0)
	v_cmp_lt_i32_e32 vcc, s98, v0
	s_cbranch_vccz .LBB11_13
.LBB11_8:                               ; =>This Inner Loop Header: Depth=1
	s_trap 2
	ds_read_b32 v0, v0
	s_cmp_eq_u32 s98, 0
	s_cbranch_scc1 .LBB11_11
; %bb.9:                                ;   in Loop: Header=BB11_8 Depth=1
	s_trap 2
	s_waitcnt lgkmcnt(0)
	ds_read_b32 v1, v0
	s_waitcnt lgkmcnt(0)
	v_xor_b32_e32 v1, v1, v0
	v_and_b32_e32 v1, 0xff0000, v1
	v_cmp_eq_u32_e32 vcc, 0, v1
	s_cbranch_vccnz .LBB11_11
; %bb.10:                               ;   in Loop: Header=BB11_8 Depth=1
	s_barrier
	ds_read_b32 v0, v0
.LBB11_11:                              ;   in Loop: Header=BB11_8 Depth=1
	s_waitcnt lgkmcnt(0)
	v_lshlrev_b32_sdwa v1, v42, v0 dst_sel:DWORD dst_unused:UNUSED_PAD src0_sel:DWORD src1_sel:BYTE_2
	v_cmp_lt_u32_e32 vcc, v41, v1
	s_and_saveexec_b64 s[6:7], vcc
	s_cbranch_execz .LBB11_7
; %bb.12:                               ;   in Loop: Header=BB11_8 Depth=1
	v_readlane_b32 s8, v43, 0
	v_readlane_b32 s9, v43, 1
	v_writelane_b32 v43, s6, 2
	v_writelane_b32 v43, s7, 3
	s_mov_b64 s[6:7], src_shared_base
	s_getpc_b64 s[4:5]
	s_add_u32 s4, s4, _ZN12_GLOBAL__N_17runRingI12hip_bfloat1610FuncMinMaxIS1_E11ProtoSimpleILi2ELi2ELi0ELi4ELi0ELi0EELi0ELi0ELi4ELi0EEEviiP15ncclDevWorkColl@rel32@lo+4
	s_addc_u32 s5, s5, _ZN12_GLOBAL__N_17runRingI12hip_bfloat1610FuncMinMaxIS1_E11ProtoSimpleILi2ELi2ELi0ELi4ELi0ELi0EELi0ELi0ELi4ELi0EEEviiP15ncclDevWorkColl@rel32@hi+12
	s_mov_b32 s12, s99
	v_mov_b32_e32 v31, v40
	v_mov_b32_e32 v0, v41
	;; [unrolled: 1-line block ×3, first 2 shown]
	s_or_saveexec_b64 s[100:101], -1
	v_accvgpr_write_b32 a32, v43
	s_mov_b64 exec, s[100:101]
	s_swappc_b64 s[30:31], s[4:5]
	s_or_saveexec_b64 s[100:101], -1
	v_accvgpr_read_b32 v43, a32
	s_mov_b64 exec, s[100:101]
	v_readlane_b32 s6, v43, 2
	v_readlane_b32 s7, v43, 3
	s_branch .LBB11_7
.LBB11_13:
	buffer_load_dword v62, off, s[0:3], s33 ; 4-byte Folded Reload
	buffer_load_dword v42, off, s[0:3], s33 offset:4 ; 4-byte Folded Reload
	buffer_load_dword v41, off, s[0:3], s33 offset:8 ; 4-byte Folded Reload
	;; [unrolled: 1-line block ×3, first 2 shown]
	v_readlane_b32 s30, v45, 2
	v_readlane_b32 s31, v45, 3
	;; [unrolled: 1-line block ×71, first 2 shown]
	s_or_saveexec_b64 s[6:7], -1
	buffer_load_dword a32, off, s[0:3], s33 offset:16 ; 4-byte Folded Reload
	buffer_load_dword v63, off, s[0:3], s33 offset:20 ; 4-byte Folded Reload
	;; [unrolled: 1-line block ×5, first 2 shown]
	s_mov_b64 exec, s[6:7]
	s_addk_i32 s32, 0xf400
	s_mov_b32 s33, s4
	s_waitcnt vmcnt(0)
	s_setpc_b64 s[30:31]
.Lfunc_end11:
	.size	_Z51ncclDevFunc_AllReduce_RING_SIMPLE_MinMax_bf16_0_0_4v, .Lfunc_end11-_Z51ncclDevFunc_AllReduce_RING_SIMPLE_MinMax_bf16_0_0_4v
                                        ; -- End function
	.section	.AMDGPU.csdata,"",@progbits
; Function info:
; codeLenInByte = 1896
; NumSgprs: 106
; NumVgprs: 64
; NumAgprs: 39
; TotalNumVgprs: 103
; ScratchSize: 208
; MemoryBound: 0
	.text
	.p2align	2                               ; -- Begin function _ZN12_GLOBAL__N_17runRingI12hip_bfloat1610FuncMinMaxIS1_E11ProtoSimpleILi2ELi2ELi0ELi4ELi0ELi0EELi0ELi0ELi4ELi1EEEviiP15ncclDevWorkColl
	.type	_ZN12_GLOBAL__N_17runRingI12hip_bfloat1610FuncMinMaxIS1_E11ProtoSimpleILi2ELi2ELi0ELi4ELi0ELi0EELi0ELi0ELi4ELi1EEEviiP15ncclDevWorkColl,@function
_ZN12_GLOBAL__N_17runRingI12hip_bfloat1610FuncMinMaxIS1_E11ProtoSimpleILi2ELi2ELi0ELi4ELi0ELi0EELi0ELi0ELi4ELi1EEEviiP15ncclDevWorkColl: ; @_ZN12_GLOBAL__N_17runRingI12hip_bfloat1610FuncMinMaxIS1_E11ProtoSimpleILi2ELi2ELi0ELi4ELi0ELi0EELi0ELi0ELi4ELi1EEEviiP15ncclDevWorkColl
; %bb.0:
	s_waitcnt vmcnt(0) expcnt(0) lgkmcnt(0)
	s_mov_b32 s4, s33
	s_mov_b32 s33, s32
	s_or_saveexec_b64 s[6:7], -1
	buffer_store_dword v63, off, s[0:3], s33 offset:304 ; 4-byte Folded Spill
	buffer_store_dword v62, off, s[0:3], s33 offset:308 ; 4-byte Folded Spill
	s_mov_b64 exec, s[6:7]
	v_writelane_b32 v62, s4, 1
	s_addk_i32 s32, 0x5000
	buffer_store_dword v40, off, s[0:3], s33 offset:180 ; 4-byte Folded Spill
	buffer_store_dword v41, off, s[0:3], s33 offset:176 ; 4-byte Folded Spill
	;; [unrolled: 1-line block ×45, first 2 shown]
	buffer_store_dword a63, off, s[0:3], s33 ; 4-byte Folded Spill
	v_writelane_b32 v63, s34, 0
	v_writelane_b32 v63, s35, 1
	;; [unrolled: 1-line block ×65, first 2 shown]
	s_trap 2
	flat_load_dword v6, v[2:3]
	ds_read_b32 v7, v0
	v_mov_b32_e32 v18, v1
                                        ; implicit-def: $vgpr4_vgpr5
                                        ; implicit-def: $vgpr8_vgpr9
                                        ; kill: killed $vgpr8_vgpr9
                                        ; implicit-def: $vgpr20_vgpr21
	s_waitcnt lgkmcnt(0)
	v_readfirstlane_b32 s76, v7
	s_waitcnt vmcnt(0)
	v_cmp_ne_u32_sdwa s[4:5], v6, v7 src0_sel:BYTE_0 src1_sel:DWORD
	s_and_saveexec_b64 s[6:7], s[4:5]
	s_xor_b64 s[4:5], exec, s[6:7]
	s_cbranch_execz .LBB12_6
; %bb.1:
	v_not_b32_sdwa v1, v6 dst_sel:DWORD dst_unused:UNUSED_PAD src0_sel:BYTE_0
	v_cmp_ne_u32_sdwa s[6:7], v6, v7 src0_sel:BYTE_1 src1_sel:DWORD
                                        ; implicit-def: $vgpr4_vgpr5
                                        ; implicit-def: $vgpr8_vgpr9
                                        ; kill: killed $vgpr8_vgpr9
                                        ; implicit-def: $vgpr20_vgpr21
	s_and_saveexec_b64 s[10:11], s[6:7]
	s_xor_b64 s[6:7], exec, s[10:11]
	s_cbranch_execz .LBB12_3
; %bb.2:
	flat_load_dwordx4 v[8:11], v[2:3] offset:72
	flat_load_dwordx2 v[4:5], v[2:3] offset:96
	v_add_u32_e32 v1, v7, v1
	v_ashrrev_i32_e32 v6, 31, v1
	s_waitcnt vmcnt(0) lgkmcnt(0)
	v_mul_lo_u32 v6, v10, v6
	v_mad_u64_u32 v[8:9], s[10:11], v10, v1, v[8:9]
	v_mul_lo_u32 v1, v11, v1
	v_add3_u32 v9, v1, v9, v6
	v_lshrrev_b64 v[4:5], 13, v[4:5]
	buffer_store_dword v8, off, s[0:3], s33 offset:256 ; 4-byte Folded Spill
	s_nop 0
	buffer_store_dword v9, off, s[0:3], s33 offset:260 ; 4-byte Folded Spill
	v_pk_mov_b32 v[20:21], v[10:11], v[10:11] op_sel:[0,1]
                                        ; implicit-def: $vgpr6
                                        ; implicit-def: $vgpr1
.LBB12_3:
	s_andn2_saveexec_b64 s[6:7], s[6:7]
	s_cbranch_execz .LBB12_5
; %bb.4:
	flat_load_dwordx4 v[8:11], v[2:3] offset:72
	flat_load_dwordx4 v[20:23], v[2:3] offset:88
	v_add_u32_sdwa v1, v6, v1 dst_sel:DWORD dst_unused:UNUSED_PAD src0_sel:BYTE_1 src1_sel:DWORD
	v_ashrrev_i32_e32 v4, 31, v1
	s_waitcnt vmcnt(0) lgkmcnt(0)
	v_mul_lo_u32 v4, v10, v4
	v_mad_u64_u32 v[6:7], s[10:11], v10, v1, v[8:9]
	v_mul_lo_u32 v1, v11, v1
	v_add3_u32 v7, v1, v7, v4
	v_lshrrev_b32_e32 v4, 2, v23
	buffer_store_dword v6, off, s[0:3], s33 offset:256 ; 4-byte Folded Spill
	s_nop 0
	buffer_store_dword v7, off, s[0:3], s33 offset:260 ; 4-byte Folded Spill
.LBB12_5:
	s_or_b64 exec, exec, s[6:7]
.LBB12_6:
	s_andn2_saveexec_b64 s[4:5], s[4:5]
	s_cbranch_execz .LBB12_8
; %bb.7:
	flat_load_dwordx2 v[4:5], v[2:3] offset:96
	flat_load_dwordx2 v[20:21], v[2:3] offset:72
	v_pk_mov_b32 v[6:7], 0, 0
	buffer_store_dword v6, off, s[0:3], s33 offset:256 ; 4-byte Folded Spill
	s_nop 0
	buffer_store_dword v7, off, s[0:3], s33 offset:260 ; 4-byte Folded Spill
	s_waitcnt vmcnt(0) lgkmcnt(0)
	v_lshlrev_b64 v[4:5], 8, v[4:5]
.LBB12_8:
	s_or_b64 exec, exec, s[4:5]
	s_trap 2
	ds_read_b64 v[6:7], v0
	s_waitcnt lgkmcnt(0)
	v_cmp_ne_u32_e32 vcc, -1, v6
	v_cndmask_b32_e64 v5, 0, 1, vcc
	v_cmp_ne_u32_e32 vcc, -1, v7
	v_addc_co_u32_e64 v1, s[4:5], 0, v5, vcc
	v_lshlrev_b32_e32 v6, 1, v1
	v_cmp_le_i32_e64 s[4:5], v6, v18
	s_and_saveexec_b64 s[6:7], s[4:5]
	s_xor_b64 s[38:39], exec, s[6:7]
	s_cbranch_execz .LBB12_2684
; %bb.9:
	flat_load_dwordx2 v[6:7], v[2:3] offset:104
	flat_load_dwordx4 v[10:13], v[2:3] offset:16
	flat_load_ushort v15, v[2:3] offset:8
	flat_load_dword v14, v[2:3] offset:4
	s_trap 2
	s_load_dword s4, s[8:9], 0x0
	v_mov_b32_e32 v8, 0
	v_mov_b32_e32 v29, 4
	s_waitcnt lgkmcnt(0)
	s_cmp_lt_u32 s12, s4
	s_cselect_b32 s4, 12, 18
	s_add_u32 s4, s8, s4
	s_addc_u32 s5, s9, 0
	global_load_ushort a2, v8, s[4:5]
	ds_read_b32 v8, v0
	v_cmp_ge_i32_e64 s[4:5], v0, v5
	s_waitcnt lgkmcnt(0)
	v_readfirstlane_b32 s18, v8
	s_and_saveexec_b64 s[6:7], s[4:5]
	s_cbranch_execz .LBB12_19
; %bb.10:
	v_cmp_le_u32_e64 s[4:5], v1, v0
                                        ; implicit-def: $vgpr29
	s_and_saveexec_b64 s[10:11], s[4:5]
	s_xor_b64 s[4:5], exec, s[10:11]
	s_cbranch_execz .LBB12_16
; %bb.11:
	v_cndmask_b32_e64 v8, 0, 1, vcc
	v_sub_u32_e32 v8, v18, v8
	v_cmp_ge_u32_e32 vcc, v0, v8
                                        ; implicit-def: $sgpr12
	s_and_saveexec_b64 s[10:11], vcc
	s_xor_b64 s[10:11], exec, s[10:11]
; %bb.12:
	s_mov_b32 s12, 16
                                        ; implicit-def: $vgpr1
; %bb.13:
	s_or_saveexec_b64 s[10:11], s[10:11]
	v_mov_b32_e32 v29, s12
	s_xor_b64 exec, exec, s[10:11]
; %bb.14:
	v_sub_u32_e32 v1, v18, v1
	v_cmp_ge_i32_e32 vcc, v0, v1
	v_cndmask_b32_e64 v1, 0, 1, vcc
	v_lshlrev_b32_e32 v29, 5, v1
; %bb.15:
	s_or_b64 exec, exec, s[10:11]
.LBB12_16:
	s_andn2_saveexec_b64 s[4:5], s[4:5]
; %bb.17:
	v_mov_b32_e32 v29, 8
; %bb.18:
	s_or_b64 exec, exec, s[4:5]
.LBB12_19:
	s_or_b64 exec, exec, s[6:7]
	v_and_b32_e32 v1, 36, v29
	v_cmp_ne_u32_e32 vcc, 0, v1
	v_mov_b32_e32 v8, -1
	s_and_saveexec_b64 s[4:5], vcc
	s_cbranch_execz .LBB12_21
; %bb.20:
	s_trap 2
	ds_read_b32 v8, v0
.LBB12_21:
	s_or_b64 exec, exec, s[4:5]
	v_and_b32_e32 v1, 24, v29
	v_cmp_ne_u32_e64 s[4:5], 0, v1
	s_and_saveexec_b64 s[6:7], s[4:5]
	s_cbranch_execz .LBB12_23
; %bb.22:
	s_trap 2
	s_waitcnt lgkmcnt(0)
	ds_read_b32 v8, v0
.LBB12_23:
	s_or_b64 exec, exec, s[6:7]
	v_pk_mov_b32 v[22:23], 0, 0
	s_waitcnt vmcnt(0)
	v_lshrrev_b64 v[14:15], 31, v[14:15]
	v_accvgpr_write_b32 a12, v22
	v_and_b32_e32 v1, 3, v14
	s_waitcnt lgkmcnt(0)
	v_ashrrev_i32_e32 v9, 31, v8
	v_accvgpr_write_b32 a13, v23
                                        ; implicit-def: $vgpr14_vgpr15
                                        ; kill: killed $vgpr14_vgpr15
                                        ; implicit-def: $agpr16
                                        ; implicit-def: $vgpr44_vgpr45
                                        ; implicit-def: $agpr18_agpr19
                                        ; implicit-def: $vgpr60_vgpr61
                                        ; implicit-def: $vgpr46_vgpr47
	s_and_saveexec_b64 s[4:5], vcc
	s_cbranch_execz .LBB12_33
; %bb.24:
	s_trap 2
	ds_read_b64 v[14:15], v0
	v_lshlrev_b64 v[16:17], 3, v[8:9]
	s_movk_i32 s6, 0xa8
	s_waitcnt lgkmcnt(0)
	v_add_co_u32_e32 v14, vcc, v14, v16
	v_addc_co_u32_e32 v15, vcc, v15, v17, vcc
	flat_load_dwordx2 v[14:15], v[14:15]
	v_and_b32_e32 v16, 0xffff, v1
	s_waitcnt vmcnt(0) lgkmcnt(0)
	v_mad_u64_u32 v[14:15], s[6:7], v16, s6, v[14:15]
	flat_load_dword v16, v[14:15] offset:640
	v_add_co_u32_e32 v22, vcc, 0x1f8, v14
	v_addc_co_u32_e32 v23, vcc, 0, v15, vcc
                                        ; implicit-def: $vgpr14_vgpr15
                                        ; kill: killed $vgpr14_vgpr15
	s_waitcnt vmcnt(0) lgkmcnt(0)
	v_cmp_eq_u32_e32 vcc, 1, v16
	s_and_saveexec_b64 s[6:7], vcc
	s_cbranch_execz .LBB12_26
; %bb.25:
	flat_load_dwordx2 v[16:17], v[22:23] offset:144
	v_or_b32_e32 v29, 0x2000, v29
	s_waitcnt vmcnt(0) lgkmcnt(0)
	flat_load_dwordx2 v[14:15], v[16:17]
	s_trap 2
	s_waitcnt vmcnt(0) lgkmcnt(0)
	ds_write_b64 v0, v[14:15]
	flat_load_dwordx2 v[14:15], v[16:17] offset:8
	s_waitcnt vmcnt(0) lgkmcnt(0)
	ds_write_b64 v0, v[14:15]
	buffer_store_dword v16, off, s[0:3], s33 offset:296 ; 4-byte Folded Spill
	s_nop 0
	buffer_store_dword v17, off, s[0:3], s33 offset:300 ; 4-byte Folded Spill
	flat_load_dwordx2 v[14:15], v[16:17] offset:16
	s_waitcnt vmcnt(0) lgkmcnt(0)
	ds_write_b64 v0, v[14:15]
.LBB12_26:
	s_or_b64 exec, exec, s[6:7]
	flat_load_dwordx2 v[14:15], v[22:23] offset:104
	v_and_b32_e32 v16, 32, v29
                                        ; implicit-def: $vgpr46_vgpr47
	s_waitcnt vmcnt(0) lgkmcnt(0)
	v_add_co_u32_e32 v14, vcc, 3, v14
	v_addc_co_u32_e32 v45, vcc, 0, v15, vcc
	v_and_b32_e32 v44, -4, v14
	v_cmp_ne_u32_e32 vcc, 0, v16
	s_and_saveexec_b64 s[6:7], vcc
	s_cbranch_execz .LBB12_28
; %bb.27:
	flat_load_dwordx2 v[46:47], v[22:23] offset:56
	s_waitcnt vmcnt(0) lgkmcnt(0)
	flat_store_dwordx2 v[46:47], v[44:45]
.LBB12_28:
	s_or_b64 exec, exec, s[6:7]
	v_and_b32_e32 v14, 4, v29
	v_cmp_ne_u32_e32 vcc, 0, v14
	v_pk_mov_b32 v[14:15], 0, 0
	v_accvgpr_write_b32 a12, v14
	v_accvgpr_write_b32 a13, v15
                                        ; implicit-def: $agpr16
                                        ; implicit-def: $agpr18_agpr19
                                        ; implicit-def: $vgpr60_vgpr61
	s_and_saveexec_b64 s[6:7], vcc
	s_cbranch_execz .LBB12_32
; %bb.29:
	v_and_b32_e32 v14, 0x800, v29
	v_cmp_eq_u32_e32 vcc, 0, v14
	s_and_saveexec_b64 s[10:11], vcc
	s_cbranch_execz .LBB12_31
; %bb.30:
	s_trap 2
	ds_write_b64 v0, v[22:23]
.LBB12_31:
	s_or_b64 exec, exec, s[10:11]
	flat_load_dwordx2 v[46:47], v[22:23] offset:48
	v_or_b32_e32 v15, 0x100, v29
	s_waitcnt vmcnt(0) lgkmcnt(0)
	flat_load_dwordx2 v[60:61], v[46:47] glc
	flat_load_dword v14, v[22:23] offset:72
	flat_load_dwordx2 v[16:17], v[22:23] offset:96
	flat_load_dwordx2 a[18:19], v[22:23] offset:16
	s_waitcnt vmcnt(0) lgkmcnt(0)
	v_ashrrev_i32_e32 v14, 1, v14
	v_accvgpr_write_b32 a12, v16
	v_cmp_eq_u64_e32 vcc, 0, v[16:17]
	v_accvgpr_write_b32 a16, v14
	v_accvgpr_write_b32 a13, v17
	v_cndmask_b32_e32 v29, v15, v29, vcc
.LBB12_32:
	s_or_b64 exec, exec, s[6:7]
.LBB12_33:
	s_or_b64 exec, exec, s[4:5]
	v_and_b32_e32 v14, 24, v29
	v_cmp_ne_u32_e32 vcc, 0, v14
                                        ; implicit-def: $agpr20_agpr21
	s_and_saveexec_b64 s[4:5], vcc
	s_cbranch_execz .LBB12_41
; %bb.34:
	s_trap 2
	ds_read_b64 v[14:15], v0
	v_lshlrev_b64 v[8:9], 3, v[8:9]
	v_and_b32_e32 v1, 0xffff, v1
	s_movk_i32 s6, 0xa8
                                        ; implicit-def: $agpr20_agpr21
	s_waitcnt lgkmcnt(0)
	v_add_co_u32_e32 v8, vcc, v14, v8
	v_addc_co_u32_e32 v9, vcc, v15, v9, vcc
	flat_load_dwordx2 v[8:9], v[8:9]
	s_waitcnt vmcnt(0) lgkmcnt(0)
	v_mad_u64_u32 v[22:23], s[6:7], v1, s6, v[8:9]
	flat_load_dwordx4 v[14:17], v[22:23] offset:96
	v_or_b32_e32 v1, 0x100, v29
	s_waitcnt vmcnt(0) lgkmcnt(0)
	v_cmp_eq_u64_e32 vcc, 0, v[14:15]
	v_cndmask_b32_e32 v29, v1, v29, vcc
	v_accvgpr_write_b32 a12, v14
	v_and_b32_e32 v1, 16, v29
	v_accvgpr_write_b32 a13, v15
	v_accvgpr_write_b32 a14, v16
	;; [unrolled: 1-line block ×3, first 2 shown]
	v_cmp_ne_u32_e32 vcc, 0, v1
	s_and_saveexec_b64 s[6:7], vcc
	s_cbranch_execz .LBB12_36
; %bb.35:
	flat_load_dwordx2 a[20:21], v[22:23] offset:120
	flat_load_dwordx2 v[46:47], v[22:23] offset:48
	;; [unrolled: 1-line block ×3, first 2 shown]
.LBB12_36:
	s_or_b64 exec, exec, s[6:7]
	v_accvgpr_read_b32 v17, a15
	v_accvgpr_read_b32 v16, a14
	v_add_co_u32_e32 v1, vcc, 3, v16
	v_addc_co_u32_e32 v45, vcc, 0, v17, vcc
	v_and_b32_e32 v44, -4, v1
	v_and_b32_e32 v1, 8, v29
	v_cmp_ne_u32_e32 vcc, 0, v1
	v_accvgpr_read_b32 v15, a13
	v_accvgpr_read_b32 v14, a12
	s_and_saveexec_b64 s[6:7], vcc
	s_cbranch_execz .LBB12_40
; %bb.37:
	v_and_b32_e32 v1, 0x800, v29
	v_cmp_eq_u32_e32 vcc, 0, v1
	s_and_saveexec_b64 s[10:11], vcc
	s_cbranch_execz .LBB12_39
; %bb.38:
	s_trap 2
	ds_write_b64 v0, v[22:23]
.LBB12_39:
	s_or_b64 exec, exec, s[10:11]
	s_waitcnt vmcnt(0) lgkmcnt(0)
	flat_load_dwordx2 v[46:47], v[22:23] offset:56
	s_waitcnt vmcnt(0) lgkmcnt(0)
	flat_load_dwordx2 v[60:61], v[46:47] glc
	flat_load_dword v1, v[22:23] offset:72
	flat_load_dwordx2 a[18:19], v[22:23] offset:16
	s_waitcnt vmcnt(0) lgkmcnt(0)
	v_ashrrev_i32_e32 v8, 1, v1
	v_accvgpr_write_b32 a16, v8
.LBB12_40:
	s_or_b64 exec, exec, s[6:7]
.LBB12_41:
	s_or_b64 exec, exec, s[4:5]
	v_cmp_eq_u32_e64 s[4:5], 0, v0
	s_and_saveexec_b64 s[6:7], s[4:5]
	s_cbranch_execz .LBB12_43
; %bb.42:
	flat_load_dwordx2 v[8:9], v[2:3] offset:32
	ds_write2_b64 v0, v[12:13], v[10:11] offset1:1
	s_trap 2
	s_waitcnt vmcnt(0) lgkmcnt(0)
	ds_write_b64 v0, v[8:9]
	ds_write_b64 v0, v[6:7]
.LBB12_43:
	s_or_b64 exec, exec, s[6:7]
	v_pk_mov_b32 v[6:7], 0, 0
	v_accvgpr_write_b32 a15, v7
	s_mov_b64 s[42:43], 0
	v_cmp_lt_i64_e32 vcc, 0, v[20:21]
	v_accvgpr_write_b32 a14, v6
	s_and_saveexec_b64 s[40:41], vcc
	s_cbranch_execz .LBB12_2648
; %bb.44:
	buffer_store_dword v22, off, s[0:3], s33 offset:280 ; 4-byte Folded Spill
	s_nop 0
	buffer_store_dword v23, off, s[0:3], s33 offset:284 ; 4-byte Folded Spill
	flat_load_dword v2, v[2:3] offset:4
	v_and_b32_e32 v12, 0x1fffff00, v4
	v_accvgpr_read_b32 v4, a16
	s_waitcnt vmcnt(0) lgkmcnt(0)
	v_accvgpr_read_b32 v6, a20
	v_ashrrev_i32_e32 v3, 31, v4
	v_lshrrev_b32_e32 v10, 6, v18
	v_mov_b32_e32 v4, 0xfffff000
	v_accvgpr_read_b32 v7, a21
	s_ashr_i32 s19, s18, 31
	v_cmp_eq_u64_e64 s[12:13], 0, v[6:7]
	v_cmp_ne_u64_e64 s[14:15], 0, v[6:7]
	v_lshrrev_b32_e64 v6, 6, s33
	v_lshl_add_u32 v14, v10, 12, v4
	v_accvgpr_write_b32 a3, v3
	v_accvgpr_read_b32 v3, a2
	s_movk_i32 s78, 0x1000
	v_add_u32_e32 v6, 0xe0, v6
	v_mov_b32_e32 v8, 0xfffff800
	s_lshr_b32 s19, s19, 29
	v_ashrrev_i32_e32 v15, 31, v14
	v_cmp_ne_u32_sdwa s[44:45], v3, v18 src0_sel:WORD_0 src1_sel:DWORD
	v_ashrrev_i32_e32 v3, 31, v0
	v_lshl_add_u32 v8, v10, 11, v8
	v_add_u32_e32 v9, 16, v6
	s_add_i32 s24, s18, s19
	v_add_co_u32_e64 v16, s[18:19], s78, v14
	v_accvgpr_write_b32 a27, v15
	s_movk_i32 s80, 0x800
	v_lshrrev_b32_e32 v3, 26, v3
	v_accvgpr_write_b32 a30, v9
	v_ashrrev_i32_e32 v9, 31, v8
	v_accvgpr_write_b32 a26, v14
	v_addc_co_u32_e64 v14, s[18:19], 0, v15, s[18:19]
	v_lshlrev_b32_e32 v4, 10, v10
	v_add_u32_e32 v3, v0, v3
	v_accvgpr_write_b32 a34, v14
	v_add_co_u32_e64 v14, s[18:19], s80, v8
	v_accvgpr_write_b32 a29, v9
	s_ashr_i32 s77, s76, 31
	s_movk_i32 s79, 0x400
	v_accvgpr_write_b32 a17, v4
	v_add_u32_e32 v4, 0xfffffc00, v4
	s_ashr_i32 s25, s24, 4
	v_ashrrev_i32_e32 v11, 6, v3
	v_and_b32_e32 v3, 0xffffffc0, v3
	v_accvgpr_write_b32 a28, v8
	v_addc_co_u32_e64 v8, s[18:19], 0, v9, s[18:19]
	v_cmp_ge_i32_e32 vcc, v0, v18
	v_ashrrev_i32_e32 v15, 31, v4
	s_add_u32 s81, s76, -1
	v_sub_u32_e32 v3, v0, v3
	v_add_co_u32_e64 v0, s[18:19], s79, v4
	v_accvgpr_write_b32 a39, v0
	v_addc_co_u32_e64 v0, s[18:19], 0, v15, s[18:19]
	s_addc_u32 s82, s77, -1
	s_add_i32 s83, s76, s76
	s_not_b32 s26, s76
	v_accvgpr_write_b32 a40, v0
	v_lshlrev_b32_e32 v0, 4, v3
	s_cmp_gt_i32 s76, 0
	v_accvgpr_write_b32 a32, v4
	v_lshlrev_b32_e32 v4, 11, v11
	v_lshl_add_u32 v0, v11, 12, v0
	s_cselect_b32 s26, s26, -1
	s_ashr_i32 s24, s24, 31
	v_lshrrev_b32_e64 v7, 6, s33
	v_cmp_gt_i32_e64 s[18:19], 1, v3
	v_cmp_lt_i32_e64 s[20:21], v3, v5
	v_accvgpr_write_b32 a38, v3
	v_cmp_le_i32_e64 s[22:23], v3, v5
	v_ashrrev_i32_e32 v3, 31, v0
	v_accvgpr_write_b32 a42, v0
	v_sub_u32_e32 v0, v0, v4
	s_lshr_b32 s24, s24, 28
	v_add_u32_e32 v7, 0xc0, v7
	v_accvgpr_write_b32 a43, v3
	s_add_i32 s84, s26, s83
	v_accvgpr_write_b32 a44, v0
	v_ashrrev_i32_e32 v3, 31, v0
	s_add_i32 s25, s25, s24
	v_and_b32_e32 v0, 1, v2
	s_ashr_i32 s85, s84, 31
	s_ashr_i32 s86, s25, 4
	v_cmp_eq_u32_e64 s[24:25], 1, v0
	v_add_u32_e32 v0, 16, v7
	s_cmp_gt_i32 s76, 2
	v_accvgpr_write_b32 a46, v0
	v_add_u32_e32 v0, 16, v6
	s_cselect_b64 s[46:47], -1, 0
	s_xor_b64 s[48:49], s[24:25], -1
	v_accvgpr_write_b32 a47, v0
	v_add_u32_e32 v0, 16, v7
	s_add_i32 s26, s76, 1
	v_accvgpr_write_b32 a48, v0
	s_cmp_le_i32 s76, s26
	v_lshlrev_b32_e32 v0, 7, v10
	v_mov_b32_e32 v42, 0
	s_cselect_b32 s27, s76, 0
	v_add_u32_e32 v2, 0xffffff80, v0
	v_mov_b32_e32 v13, v42
	v_accvgpr_write_b32 a45, v3
	s_sub_i32 s87, s26, s27
	v_ashrrev_i32_e32 v3, 31, v2
	s_movk_i32 s26, 0x80
	v_accvgpr_write_b32 a57, v13
	v_accvgpr_write_b32 a49, v0
	v_add_co_u32_e64 v0, s[26:27], s26, v2
	v_accvgpr_write_b32 a51, v3
	v_and_b32_e32 v1, 63, v31
	v_accvgpr_write_b32 a56, v12
	v_mad_i64_i32 v[12:13], s[16:17], v12, s76, 0
	v_accvgpr_write_b32 a52, v0
	v_accvgpr_write_b32 a50, v2
	v_addc_co_u32_e64 v0, s[26:27], 0, v3, s[26:27]
	v_pk_mov_b32 v[2:3], 0, 0
	v_cmp_eq_u32_e64 s[16:17], 0, v1
	v_add_u32_e32 v1, 16, v6
	v_accvgpr_write_b32 a15, v3
	v_cmp_eq_u32_e64 s[6:7], 64, v18
	v_cmp_ne_u32_e64 s[10:11], 64, v18
	v_accvgpr_write_b32 a23, v1
	v_add_u32_e32 v1, 16, v7
	v_accvgpr_write_b32 a33, v16
	v_accvgpr_write_b32 a36, v14
	;; [unrolled: 1-line block ×6, first 2 shown]
	s_ashr_i32 s88, s87, 31
	v_accvgpr_write_b32 a22, v10
	v_accvgpr_write_b32 a53, v0
	s_add_i32 s89, s76, -2
	s_xor_b64 s[50:51], vcc, -1
	s_movk_i32 s90, 0x270e
	s_movk_i32 s91, 0x108
	s_mov_b32 s92, 0x7f800000
	s_movk_i32 s93, 0x7fff
	s_mov_b32 s94, 0xffff0000
	v_accvgpr_write_b32 a14, v2
	buffer_store_dword v31, off, s[0:3], s33 offset:288 ; 4-byte Folded Spill
	s_trap 2
	buffer_store_dword v18, off, s[0:3], s33 offset:292 ; 4-byte Folded Spill
	buffer_store_dword v20, off, s[0:3], s33 offset:264 ; 4-byte Folded Spill
	s_nop 0
	buffer_store_dword v21, off, s[0:3], s33 offset:268 ; 4-byte Folded Spill
	buffer_store_dword v22, off, s[0:3], s33 offset:272 ; 4-byte Folded Spill
	;; [unrolled: 1-line block ×3, first 2 shown]
	s_branch .LBB12_47
.LBB12_45:                              ;   in Loop: Header=BB12_47 Depth=1
	s_or_b64 exec, exec, s[30:31]
.LBB12_46:                              ;   in Loop: Header=BB12_47 Depth=1
	s_or_b64 exec, exec, s[28:29]
	buffer_load_dword v20, off, s[0:3], s33 offset:264 ; 4-byte Folded Reload
	buffer_load_dword v21, off, s[0:3], s33 offset:268 ; 4-byte Folded Reload
	;; [unrolled: 1-line block ×4, first 2 shown]
	v_accvgpr_read_b32 v12, a24
	v_accvgpr_read_b32 v2, a54
	;; [unrolled: 1-line block ×4, first 2 shown]
	v_add_co_u32_e32 v2, vcc, v2, v12
	v_addc_co_u32_e32 v3, vcc, v3, v13, vcc
	s_waitcnt vmcnt(0)
	v_cmp_ge_i64_e32 vcc, v[2:3], v[20:21]
	s_or_b64 s[42:43], vcc, s[42:43]
	s_andn2_b64 exec, exec, s[42:43]
	s_cbranch_execz .LBB12_2647
.LBB12_47:                              ; =>This Loop Header: Depth=1
                                        ;     Child Loop BB12_57 Depth 2
                                        ;       Child Loop BB12_65 Depth 3
                                        ;       Child Loop BB12_89 Depth 3
	;; [unrolled: 1-line block ×9, first 2 shown]
                                        ;     Child Loop BB12_228 Depth 2
                                        ;       Child Loop BB12_234 Depth 3
                                        ;       Child Loop BB12_258 Depth 3
	;; [unrolled: 1-line block ×3, first 2 shown]
                                        ;     Child Loop BB12_300 Depth 2
                                        ;       Child Loop BB12_303 Depth 3
                                        ;         Child Loop BB12_311 Depth 4
                                        ;         Child Loop BB12_339 Depth 4
	;; [unrolled: 1-line block ×5, first 2 shown]
                                        ;           Child Loop BB12_585 Depth 5
                                        ;           Child Loop BB12_622 Depth 5
                                        ;         Child Loop BB12_699 Depth 4
                                        ;         Child Loop BB12_806 Depth 4
                                        ;           Child Loop BB12_807 Depth 5
                                        ;           Child Loop BB12_816 Depth 5
                                        ;         Child Loop BB12_838 Depth 4
                                        ;         Child Loop BB12_861 Depth 4
                                        ;       Child Loop BB12_880 Depth 3
                                        ;         Child Loop BB12_886 Depth 4
                                        ;         Child Loop BB12_926 Depth 4
	;; [unrolled: 1-line block ×3, first 2 shown]
                                        ;     Child Loop BB12_955 Depth 2
                                        ;       Child Loop BB12_963 Depth 3
                                        ;       Child Loop BB12_991 Depth 3
	;; [unrolled: 1-line block ×5, first 2 shown]
                                        ;         Child Loop BB12_1715 Depth 4
                                        ;         Child Loop BB12_1752 Depth 4
                                        ;       Child Loop BB12_1829 Depth 3
                                        ;       Child Loop BB12_1936 Depth 3
                                        ;         Child Loop BB12_1937 Depth 4
                                        ;         Child Loop BB12_1946 Depth 4
                                        ;       Child Loop BB12_1032 Depth 3
                                        ;       Child Loop BB12_1240 Depth 3
                                        ;         Child Loop BB12_1241 Depth 4
                                        ;         Child Loop BB12_1276 Depth 4
	;; [unrolled: 1-line block ×4, first 2 shown]
                                        ;       Child Loop BB12_1352 Depth 3
                                        ;       Child Loop BB12_1360 Depth 3
	;; [unrolled: 1-line block ×3, first 2 shown]
                                        ;         Child Loop BB12_1470 Depth 4
                                        ;         Child Loop BB12_1477 Depth 4
	;; [unrolled: 1-line block ×4, first 2 shown]
                                        ;       Child Loop BB12_1497 Depth 3
                                        ;       Child Loop BB12_1968 Depth 3
	;; [unrolled: 1-line block ×3, first 2 shown]
                                        ;     Child Loop BB12_2009 Depth 2
                                        ;       Child Loop BB12_2015 Depth 3
                                        ;       Child Loop BB12_2043 Depth 3
	;; [unrolled: 1-line block ×3, first 2 shown]
                                        ;     Child Loop BB12_2085 Depth 2
                                        ;       Child Loop BB12_2088 Depth 3
                                        ;         Child Loop BB12_2096 Depth 4
                                        ;         Child Loop BB12_2124 Depth 4
	;; [unrolled: 1-line block ×9, first 2 shown]
                                        ;           Child Loop BB12_2181 Depth 5
                                        ;           Child Loop BB12_2186 Depth 5
                                        ;         Child Loop BB12_2192 Depth 4
                                        ;         Child Loop BB12_2200 Depth 4
	;; [unrolled: 1-line block ×3, first 2 shown]
                                        ;           Child Loop BB12_2212 Depth 5
                                        ;           Child Loop BB12_2217 Depth 5
                                        ;         Child Loop BB12_2222 Depth 4
                                        ;         Child Loop BB12_2292 Depth 4
	;; [unrolled: 1-line block ×3, first 2 shown]
                                        ;       Child Loop BB12_2333 Depth 3
                                        ;         Child Loop BB12_2339 Depth 4
                                        ;         Child Loop BB12_2367 Depth 4
	;; [unrolled: 1-line block ×3, first 2 shown]
                                        ;     Child Loop BB12_2412 Depth 2
                                        ;       Child Loop BB12_2420 Depth 3
                                        ;       Child Loop BB12_2444 Depth 3
	;; [unrolled: 1-line block ×9, first 2 shown]
                                        ;     Child Loop BB12_2581 Depth 2
                                        ;       Child Loop BB12_2587 Depth 3
                                        ;       Child Loop BB12_2611 Depth 3
	;; [unrolled: 1-line block ×3, first 2 shown]
	v_sub_co_u32_e32 v4, vcc, v20, v2
	v_subb_co_u32_e32 v5, vcc, v21, v3, vcc
	v_accvgpr_write_b32 a55, v3
	v_accvgpr_write_b32 a25, v13
	;; [unrolled: 1-line block ×6, first 2 shown]
	v_cmp_lt_i64_e32 vcc, v[4:5], v[12:13]
	s_and_saveexec_b64 s[28:29], vcc
	s_cbranch_execz .LBB12_53
; %bb.48:                               ;   in Loop: Header=BB12_47 Depth=1
	v_accvgpr_read_b32 v4, a58
	v_mov_b32_e32 v2, s82
	v_accvgpr_read_b32 v5, a59
	v_add_co_u32_e32 v0, vcc, s81, v4
	v_addc_co_u32_e32 v4, vcc, v2, v5, vcc
	v_or_b32_e32 v43, s77, v4
	v_cmp_ne_u64_e32 vcc, 0, v[42:43]
                                        ; implicit-def: $vgpr2_vgpr3
	s_and_saveexec_b64 s[26:27], vcc
	s_xor_b64 s[30:31], exec, s[26:27]
	s_cbranch_execz .LBB12_50
; %bb.49:                               ;   in Loop: Header=BB12_47 Depth=1
	s_add_u32 s26, s76, s77
	s_mov_b32 s34, s77
	s_mov_b32 s35, s77
	s_addc_u32 s27, s77, s77
	s_xor_b64 s[36:37], s[26:27], s[34:35]
	v_cvt_f32_u32_e32 v2, s36
	v_cvt_f32_u32_e32 v3, s37
	s_sub_u32 s26, 0, s36
	s_subb_u32 s27, 0, s37
	v_mac_f32_e32 v2, 0x4f800000, v3
	v_rcp_f32_e32 v2, v2
	v_mul_f32_e32 v2, 0x5f7ffffc, v2
	v_mul_f32_e32 v3, 0x2f800000, v2
	v_trunc_f32_e32 v3, v3
	v_mac_f32_e32 v2, 0xcf800000, v3
	v_cvt_u32_f32_e32 v3, v3
	v_cvt_u32_f32_e32 v2, v2
	v_mul_lo_u32 v5, s26, v3
	v_mul_hi_u32 v7, s26, v2
	v_mul_lo_u32 v6, s27, v2
	v_add_u32_e32 v5, v7, v5
	v_mul_lo_u32 v8, s26, v2
	v_add_u32_e32 v5, v5, v6
	v_mul_lo_u32 v7, v2, v5
	v_mul_hi_u32 v9, v2, v8
	v_mul_hi_u32 v6, v2, v5
	v_add_co_u32_e32 v7, vcc, v9, v7
	v_addc_co_u32_e32 v6, vcc, 0, v6, vcc
	v_mul_hi_u32 v10, v3, v8
	v_mul_lo_u32 v8, v3, v8
	v_add_co_u32_e32 v7, vcc, v7, v8
	v_mul_hi_u32 v9, v3, v5
	v_addc_co_u32_e32 v6, vcc, v6, v10, vcc
	v_addc_co_u32_e32 v7, vcc, 0, v9, vcc
	v_mul_lo_u32 v5, v3, v5
	v_add_co_u32_e32 v5, vcc, v6, v5
	v_addc_co_u32_e32 v6, vcc, 0, v7, vcc
	v_add_co_u32_e32 v2, vcc, v2, v5
	v_addc_co_u32_e32 v3, vcc, v3, v6, vcc
	v_mul_lo_u32 v5, s26, v3
	v_mul_hi_u32 v6, s26, v2
	v_add_u32_e32 v5, v6, v5
	v_mul_lo_u32 v6, s27, v2
	v_add_u32_e32 v5, v5, v6
	v_mul_lo_u32 v7, s26, v2
	v_mul_hi_u32 v8, v3, v7
	v_mul_lo_u32 v9, v3, v7
	v_mul_lo_u32 v11, v2, v5
	v_mul_hi_u32 v7, v2, v7
	v_mul_hi_u32 v10, v2, v5
	v_add_co_u32_e32 v7, vcc, v7, v11
	v_addc_co_u32_e32 v10, vcc, 0, v10, vcc
	v_add_co_u32_e32 v7, vcc, v7, v9
	v_mul_hi_u32 v6, v3, v5
	v_addc_co_u32_e32 v7, vcc, v10, v8, vcc
	v_addc_co_u32_e32 v6, vcc, 0, v6, vcc
	v_mul_lo_u32 v5, v3, v5
	v_add_co_u32_e32 v5, vcc, v7, v5
	v_addc_co_u32_e32 v6, vcc, 0, v6, vcc
	v_add_co_u32_e32 v5, vcc, v2, v5
	v_addc_co_u32_e32 v6, vcc, v3, v6, vcc
	v_ashrrev_i32_e32 v7, 31, v4
	v_add_co_u32_e32 v0, vcc, v0, v7
	v_addc_co_u32_e32 v2, vcc, v4, v7, vcc
	v_xor_b32_e32 v0, v0, v7
	v_xor_b32_e32 v8, v2, v7
	v_mad_u64_u32 v[2:3], s[26:27], v0, v6, 0
	v_mul_hi_u32 v4, v0, v5
	v_add_co_u32_e32 v9, vcc, v4, v2
	v_addc_co_u32_e32 v10, vcc, 0, v3, vcc
	v_mad_u64_u32 v[4:5], s[26:27], v8, v5, 0
	v_add_co_u32_e32 v4, vcc, v9, v4
	v_mad_u64_u32 v[2:3], s[26:27], v8, v6, 0
	v_addc_co_u32_e32 v4, vcc, v10, v5, vcc
	v_addc_co_u32_e32 v3, vcc, 0, v3, vcc
	v_add_co_u32_e32 v4, vcc, v4, v2
	v_addc_co_u32_e32 v5, vcc, 0, v3, vcc
	v_mul_lo_u32 v6, s37, v4
	v_mul_lo_u32 v9, s36, v5
	v_mad_u64_u32 v[2:3], s[26:27], s36, v4, 0
	v_add3_u32 v3, v3, v9, v6
	v_sub_u32_e32 v6, v8, v3
	v_mov_b32_e32 v9, s37
	v_sub_co_u32_e32 v0, vcc, v0, v2
	v_subb_co_u32_e64 v2, s[26:27], v6, v9, vcc
	v_subrev_co_u32_e64 v6, s[26:27], s36, v0
	v_subbrev_co_u32_e64 v2, s[26:27], 0, v2, s[26:27]
	v_cmp_le_u32_e64 s[26:27], s37, v2
	v_cndmask_b32_e64 v9, 0, -1, s[26:27]
	v_cmp_le_u32_e64 s[26:27], s36, v6
	v_cndmask_b32_e64 v6, 0, -1, s[26:27]
	v_cmp_eq_u32_e64 s[26:27], s37, v2
	v_cndmask_b32_e64 v2, v9, v6, s[26:27]
	v_add_co_u32_e64 v6, s[26:27], 2, v4
	v_subb_co_u32_e32 v3, vcc, v8, v3, vcc
	v_addc_co_u32_e64 v9, s[26:27], 0, v5, s[26:27]
	v_cmp_le_u32_e32 vcc, s37, v3
	v_add_co_u32_e64 v10, s[26:27], 1, v4
	v_cndmask_b32_e64 v8, 0, -1, vcc
	v_cmp_le_u32_e32 vcc, s36, v0
	v_addc_co_u32_e64 v11, s[26:27], 0, v5, s[26:27]
	v_cndmask_b32_e64 v0, 0, -1, vcc
	v_cmp_eq_u32_e32 vcc, s37, v3
	v_cmp_ne_u32_e64 s[26:27], 0, v2
	v_cndmask_b32_e32 v0, v8, v0, vcc
	v_cndmask_b32_e64 v2, v11, v9, s[26:27]
	v_cmp_ne_u32_e32 vcc, 0, v0
	v_cndmask_b32_e32 v0, v5, v2, vcc
	v_cndmask_b32_e64 v2, v10, v6, s[26:27]
	v_cndmask_b32_e32 v2, v4, v2, vcc
	v_xor_b32_e32 v4, s34, v7
	v_xor_b32_e32 v3, s35, v7
	;; [unrolled: 1-line block ×4, first 2 shown]
	v_sub_co_u32_e32 v2, vcc, v2, v4
	v_subb_co_u32_e32 v3, vcc, v0, v3, vcc
                                        ; implicit-def: $vgpr0
.LBB12_50:                              ;   in Loop: Header=BB12_47 Depth=1
	s_andn2_saveexec_b64 s[26:27], s[30:31]
	s_cbranch_execz .LBB12_52
; %bb.51:                               ;   in Loop: Header=BB12_47 Depth=1
	v_cvt_f32_u32_e32 v2, s76
	s_sub_i32 vcc_lo, 0, s76
	v_rcp_iflag_f32_e32 v2, v2
	v_mul_f32_e32 v2, 0x4f7ffffe, v2
	v_cvt_u32_f32_e32 v2, v2
	v_mul_lo_u32 v3, vcc_lo, v2
	v_mul_hi_u32 v3, v2, v3
	v_add_u32_e32 v2, v2, v3
	v_mul_hi_u32 v2, v0, v2
	v_mul_lo_u32 v3, v2, s76
	v_sub_u32_e32 v0, v0, v3
	v_add_u32_e32 v4, 1, v2
	v_subrev_u32_e32 v3, s76, v0
	v_cmp_le_u32_e32 vcc, s76, v0
	v_cndmask_b32_e32 v0, v0, v3, vcc
	v_cndmask_b32_e32 v2, v2, v4, vcc
	v_add_u32_e32 v3, 1, v2
	v_cmp_le_u32_e32 vcc, s76, v0
	v_cndmask_b32_e32 v2, v2, v3, vcc
	v_mov_b32_e32 v3, v42
.LBB12_52:                              ;   in Loop: Header=BB12_47 Depth=1
	s_or_b64 exec, exec, s[26:27]
	v_add_co_u32_e32 v0, vcc, 7, v2
	v_addc_co_u32_e32 v3, vcc, 0, v3, vcc
	v_and_b32_e32 v2, -8, v0
	v_accvgpr_write_b32 a57, v3
	v_accvgpr_write_b32 a56, v2
.LBB12_53:                              ;   in Loop: Header=BB12_47 Depth=1
	s_or_b64 exec, exec, s[28:29]
	v_accvgpr_read_b32 v8, a56
	v_accvgpr_read_b32 v9, a57
	v_mul_lo_u32 v0, v9, s84
	v_mul_lo_u32 v2, v8, s85
	v_mad_u64_u32 v[6:7], s[26:27], v8, s84, 0
	v_add3_u32 v7, v7, v2, v0
	buffer_load_dword v2, off, s[0:3], s33 offset:256 ; 4-byte Folded Reload
	buffer_load_dword v3, off, s[0:3], s33 offset:260 ; 4-byte Folded Reload
	v_accvgpr_read_b32 v4, a54
	v_accvgpr_read_b32 v5, a55
	s_waitcnt vmcnt(0)
	v_add_co_u32_e32 v2, vcc, v4, v2
	s_waitcnt vmcnt(0)
	v_addc_co_u32_e32 v3, vcc, v5, v3, vcc
	v_accvgpr_write_b32 a61, v3
	v_accvgpr_write_b32 a60, v2
	v_accvgpr_read_b32 v2, a58
	v_accvgpr_read_b32 v3, a59
	v_sub_co_u32_e32 v2, vcc, v2, v6
	v_subb_co_u32_e32 v3, vcc, v3, v7, vcc
	v_cmp_lt_i64_e32 vcc, v[8:9], v[2:3]
	v_cndmask_b32_e32 v0, v2, v8, vcc
	v_max_i32_e32 v58, 0, v0
	v_add_u32_e32 v2, 31, v58
	v_lshrrev_b32_e32 v2, 1, v2
	v_and_b32_e32 v2, 0x3ffffff0, v2
	v_cmp_lt_i32_e32 vcc, 0, v0
	v_max_i32_e32 v2, s86, v2
	s_and_b64 s[26:27], s[50:51], vcc
	v_mov_b32_e32 v0, 0
	v_mov_b32_e32 v4, 0
	s_and_saveexec_b64 s[28:29], s[26:27]
	s_cbranch_execz .LBB12_224
; %bb.54:                               ;   in Loop: Header=BB12_47 Depth=1
	s_mov_b32 s66, 1
	s_mov_b64 s[34:35], -1
	s_mov_b64 s[30:31], 0
	v_mov_b32_e32 v4, 0
	s_waitcnt lgkmcnt(0)
	v_lshlrev_b64 v[30:31], 1, v[6:7]
	s_branch .LBB12_57
.LBB12_55:                              ;   in Loop: Header=BB12_57 Depth=2
	s_or_b64 exec, exec, vcc
	v_add_co_u32_e32 v44, vcc, 2, v44
	v_addc_co_u32_e32 v45, vcc, 0, v45, vcc
	flat_store_dwordx2 v[46:47], v[44:45]
.LBB12_56:                              ;   in Loop: Header=BB12_57 Depth=2
	s_or_b64 exec, exec, s[26:27]
	v_add_u32_e32 v4, v2, v4
	v_cmp_ge_i32_e32 vcc, v4, v58
	s_xor_b64 s[26:27], s[34:35], -1
	s_or_b64 s[26:27], s[26:27], vcc
	s_and_b64 s[26:27], exec, s[26:27]
	s_or_b64 s[30:31], s[26:27], s[30:31]
	s_mov_b64 s[34:35], 0
	v_mov_b32_e32 v0, s66
	s_mov_b32 s66, 2
	s_andn2_b64 exec, exec, s[30:31]
	s_cbranch_execz .LBB12_223
.LBB12_57:                              ;   Parent Loop BB12_47 Depth=1
                                        ; =>  This Loop Header: Depth=2
                                        ;       Child Loop BB12_65 Depth 3
                                        ;       Child Loop BB12_89 Depth 3
	;; [unrolled: 1-line block ×9, first 2 shown]
	s_and_saveexec_b64 s[26:27], s[4:5]
	s_cbranch_execz .LBB12_59
; %bb.58:                               ;   in Loop: Header=BB12_57 Depth=2
	s_trap 2
	ds_read_b64 v[6:7], v0
	v_accvgpr_read_b32 v8, a60
	v_accvgpr_read_b32 v9, a61
	v_lshlrev_b64 v[8:9], 1, v[8:9]
	v_ashrrev_i32_e32 v5, 31, v4
	s_waitcnt lgkmcnt(0)
	v_add_co_u32_e32 v0, vcc, v6, v8
	v_addc_co_u32_e32 v3, vcc, v7, v9, vcc
	v_add_co_u32_e32 v0, vcc, v0, v30
	v_addc_co_u32_e32 v3, vcc, v3, v31, vcc
	v_lshlrev_b64 v[6:7], 1, v[4:5]
	v_add_co_u32_e32 v6, vcc, v0, v6
	v_addc_co_u32_e32 v7, vcc, v3, v7, vcc
	v_mov_b32_e32 v43, v42
	ds_write_b64 v0, v[6:7]
	ds_write_b64 v0, v[42:43]
.LBB12_59:                              ;   in Loop: Header=BB12_57 Depth=2
	s_or_b64 exec, exec, s[26:27]
	v_and_b32_e32 v0, 8, v29
	v_cmp_ne_u32_e32 vcc, 0, v0
	s_mov_b64 s[36:37], -1
	s_and_saveexec_b64 s[26:27], vcc
	s_cbranch_execz .LBB12_71
; %bb.60:                               ;   in Loop: Header=BB12_57 Depth=2
	v_add_co_u32_e32 v8, vcc, 8, v60
	v_addc_co_u32_e32 v9, vcc, 0, v61, vcc
	v_add_co_u32_e32 v6, vcc, 2, v44
	v_addc_co_u32_e32 v7, vcc, 0, v45, vcc
	v_cmp_lt_u64_e32 vcc, v[8:9], v[6:7]
	v_mov_b32_e32 v0, 1
	s_and_saveexec_b64 s[36:37], vcc
	s_cbranch_execz .LBB12_70
; %bb.61:                               ;   in Loop: Header=BB12_57 Depth=2
	s_mov_b64 s[52:53], 0
	v_mov_b32_e32 v0, 0
                                        ; implicit-def: $sgpr54_sgpr55
	s_branch .LBB12_65
.LBB12_62:                              ;   in Loop: Header=BB12_65 Depth=3
	s_or_b64 exec, exec, s[62:63]
	v_mov_b32_e32 v3, 0
	s_orn2_b64 s[60:61], s[60:61], exec
.LBB12_63:                              ;   in Loop: Header=BB12_65 Depth=3
	s_or_b64 exec, exec, s[58:59]
	s_andn2_b64 vcc, s[54:55], exec
	s_and_b64 s[54:55], s[60:61], exec
	s_or_b64 s[54:55], vcc, s[54:55]
	v_mov_b32_e32 v0, v3
.LBB12_64:                              ;   in Loop: Header=BB12_65 Depth=3
	s_or_b64 exec, exec, s[56:57]
	s_waitcnt vmcnt(0) lgkmcnt(0)
	v_add_co_u32_e32 v8, vcc, 8, v60
	v_addc_co_u32_e32 v9, vcc, 0, v61, vcc
	v_cmp_ge_u64_e32 vcc, v[8:9], v[6:7]
	s_xor_b64 s[56:57], s[54:55], -1
	s_or_b64 vcc, s[56:57], vcc
	s_and_b64 vcc, exec, vcc
	s_or_b64 s[52:53], vcc, s[52:53]
	s_andn2_b64 exec, exec, s[52:53]
	s_cbranch_execz .LBB12_69
.LBB12_65:                              ;   Parent Loop BB12_47 Depth=1
                                        ;     Parent Loop BB12_57 Depth=2
                                        ; =>    This Inner Loop Header: Depth=3
	s_sleep 1
	flat_load_dwordx2 v[60:61], v[46:47] glc
	v_and_b32_e32 v3, 64, v29
	v_cmp_eq_u32_e32 vcc, 0, v3
	s_andn2_b64 s[54:55], s[54:55], exec
	s_and_saveexec_b64 s[56:57], vcc
	s_cbranch_execz .LBB12_64
; %bb.66:                               ;   in Loop: Header=BB12_65 Depth=3
	v_add_u32_e32 v3, 1, v0
	v_cmp_lt_i32_e32 vcc, s90, v0
	s_mov_b64 s[60:61], -1
	s_and_saveexec_b64 s[58:59], vcc
	s_cbranch_execz .LBB12_63
; %bb.67:                               ;   in Loop: Header=BB12_65 Depth=3
	s_trap 2
	ds_read_b64 v[8:9], v0
	s_waitcnt vmcnt(0) lgkmcnt(0)
	flat_load_dword v0, v[8:9] glc
	s_waitcnt vmcnt(0) lgkmcnt(0)
	buffer_invl2
	buffer_wbinvl1_vol
	v_cmp_ne_u32_e32 vcc, 0, v0
	s_and_saveexec_b64 s[62:63], vcc
	s_cbranch_execz .LBB12_62
; %bb.68:                               ;   in Loop: Header=BB12_65 Depth=3
	v_or_b32_e32 v29, 64, v29
	s_xor_b64 s[60:61], exec, -1
	ds_write_b32 v0, v0
	s_trap 2
	s_branch .LBB12_62
.LBB12_69:                              ;   in Loop: Header=BB12_57 Depth=2
	s_or_b64 exec, exec, s[52:53]
	v_and_b32_e32 v0, 8, v29
.LBB12_70:                              ;   in Loop: Header=BB12_57 Depth=2
	s_or_b64 exec, exec, s[36:37]
	v_cmp_eq_u32_e32 vcc, 0, v0
	s_orn2_b64 s[36:37], vcc, exec
	;;#ASMSTART
	s_wakeup
	;;#ASMEND
.LBB12_71:                              ;   in Loop: Header=BB12_57 Depth=2
	s_or_b64 exec, exec, s[26:27]
	v_sub_u32_e32 v0, v58, v4
	s_xor_b64 s[26:27], s[36:37], -1
	v_min_i32_e32 v2, v2, v0
	s_and_saveexec_b64 s[36:37], s[26:27]
	s_cbranch_execz .LBB12_81
; %bb.72:                               ;   in Loop: Header=BB12_57 Depth=2
	v_and_b32_e32 v0, 0x100, v29
	v_cmp_ne_u32_e32 vcc, 0, v0
	v_and_b32_e32 v0, 7, v44
	s_mov_b64 s[26:27], -1
                                        ; implicit-def: $vgpr6_vgpr7
	s_and_saveexec_b64 s[52:53], vcc
	s_cbranch_execz .LBB12_76
; %bb.73:                               ;   in Loop: Header=BB12_57 Depth=2
	v_accvgpr_read_b32 v6, a12
	v_accvgpr_read_b32 v7, a13
	v_mad_u64_u32 v[8:9], s[26:27], v0, 24, v[6:7]
	flat_load_dword v5, v[8:9]
	v_ashrrev_i32_e32 v3, 31, v2
	v_lshlrev_b64 v[6:7], 1, v[2:3]
	flat_store_dwordx2 v[8:9], v[6:7] offset:8
                                        ; implicit-def: $vgpr6_vgpr7
	s_waitcnt vmcnt(0) lgkmcnt(0)
	v_cmp_ne_u32_e32 vcc, 1, v5
	v_cmp_eq_u32_e64 s[26:27], 1, v5
	s_and_saveexec_b64 s[54:55], s[26:27]
	s_cbranch_execz .LBB12_75
; %bb.74:                               ;   in Loop: Header=BB12_57 Depth=2
	flat_load_dword v6, v[8:9] offset:4 glc
	s_waitcnt vmcnt(0) lgkmcnt(0)
	v_ashrrev_i32_e32 v7, 31, v6
	v_lshrrev_b64 v[6:7], 1, v[6:7]
.LBB12_75:                              ;   in Loop: Header=BB12_57 Depth=2
	s_or_b64 exec, exec, s[54:55]
	s_orn2_b64 s[26:27], vcc, exec
.LBB12_76:                              ;   in Loop: Header=BB12_57 Depth=2
	s_or_b64 exec, exec, s[52:53]
	s_and_saveexec_b64 vcc, s[26:27]
; %bb.77:                               ;   in Loop: Header=BB12_57 Depth=2
	v_accvgpr_read_b32 v6, a16
	v_mad_i64_i32 v[6:7], s[26:27], v0, v6, 0
; %bb.78:                               ;   in Loop: Header=BB12_57 Depth=2
	s_or_b64 exec, exec, vcc
	v_lshlrev_b64 v[6:7], 1, v[6:7]
	v_accvgpr_read_b32 v8, a18
	v_accvgpr_read_b32 v9, a19
	v_add_co_u32_e32 v6, vcc, v8, v6
	v_addc_co_u32_e32 v7, vcc, v9, v7, vcc
	ds_write_b64 v0, v[6:7] offset:784
	v_and_b32_e32 v0, 0x2000, v29
	v_cmp_ne_u32_e32 vcc, 0, v0
	s_and_saveexec_b64 s[26:27], vcc
	s_cbranch_execz .LBB12_80
; %bb.79:                               ;   in Loop: Header=BB12_57 Depth=2
	ds_read_b64 v[6:7], v0 offset:584
	s_waitcnt lgkmcnt(0)
	v_add_co_u32_e32 v6, vcc, 1, v6
	v_addc_co_u32_e32 v7, vcc, 0, v7, vcc
	ds_write_b64 v0, v[6:7] offset:584
.LBB12_80:                              ;   in Loop: Header=BB12_57 Depth=2
	s_or_b64 exec, exec, s[26:27]
	v_add_co_u32_e32 v44, vcc, 2, v44
	v_addc_co_u32_e32 v45, vcc, 0, v45, vcc
.LBB12_81:                              ;   in Loop: Header=BB12_57 Depth=2
	s_or_b64 exec, exec, s[36:37]
	s_and_saveexec_b64 s[26:27], s[10:11]
	s_cbranch_execz .LBB12_100
; %bb.82:                               ;   in Loop: Header=BB12_57 Depth=2
	s_and_saveexec_b64 vcc, s[44:45]
	s_xor_b64 s[36:37], exec, vcc
	s_cbranch_execz .LBB12_97
; %bb.83:                               ;   in Loop: Header=BB12_57 Depth=2
	s_and_saveexec_b64 s[52:53], s[16:17]
	s_cbranch_execz .LBB12_96
; %bb.84:                               ;   in Loop: Header=BB12_57 Depth=2
	s_mov_b64 s[56:57], exec
	v_mbcnt_lo_u32_b32 v0, s56, 0
	v_mbcnt_hi_u32_b32 v0, s57, v0
	v_cmp_eq_u32_e32 vcc, 0, v0
	s_waitcnt vmcnt(0) lgkmcnt(0)
	buffer_wbinvl1_vol
	s_and_saveexec_b64 s[54:55], vcc
	s_cbranch_execz .LBB12_86
; %bb.85:                               ;   in Loop: Header=BB12_57 Depth=2
	s_bcnt1_i32_b64 vcc_lo, s[56:57]
	v_mov_b32_e32 v6, vcc_lo
	v_mov_b32_e32 v7, v42
	ds_add_u64 v0, v[6:7]
	s_trap 2
.LBB12_86:                              ;   in Loop: Header=BB12_57 Depth=2
	s_or_b64 exec, exec, s[54:55]
	s_trap 2
	ds_read_b64 v[6:7], v0
	v_accvgpr_read_b32 v8, a14
	v_accvgpr_read_b32 v0, a22
	;; [unrolled: 1-line block ×3, first 2 shown]
	v_add_co_u32_e32 v8, vcc, v8, v0
	v_addc_co_u32_e32 v9, vcc, 0, v9, vcc
	v_accvgpr_write_b32 a15, v9
	v_accvgpr_write_b32 a14, v8
	s_waitcnt lgkmcnt(0)
	v_cmp_lt_u64_e32 vcc, v[6:7], v[8:9]
	s_and_saveexec_b64 s[54:55], vcc
	s_cbranch_execz .LBB12_95
; %bb.87:                               ;   in Loop: Header=BB12_57 Depth=2
	s_mov_b32 s67, 0
	s_mov_b64 s[56:57], 0
                                        ; implicit-def: $sgpr58_sgpr59
                                        ; implicit-def: $sgpr60_sgpr61
	s_branch .LBB12_89
.LBB12_88:                              ;   in Loop: Header=BB12_89 Depth=3
	s_or_b64 exec, exec, s[64:65]
	s_and_b64 vcc, exec, vcc
	s_or_b64 s[56:57], vcc, s[56:57]
	s_andn2_b64 vcc, s[58:59], exec
	s_and_b64 s[58:59], s[60:61], exec
	s_or_b64 s[58:59], vcc, s[58:59]
	s_andn2_b64 exec, exec, s[56:57]
	s_cbranch_execz .LBB12_93
.LBB12_89:                              ;   Parent Loop BB12_47 Depth=1
                                        ;     Parent Loop BB12_57 Depth=2
                                        ; =>    This Inner Loop Header: Depth=3
	s_add_i32 s67, s67, 1
	s_cmpk_lg_i32 s67, 0x2710
	s_cselect_b64 s[62:63], -1, 0
	s_and_b64 vcc, exec, s[62:63]
                                        ; implicit-def: $sgpr64_sgpr65
	s_cbranch_vccnz .LBB12_91
; %bb.90:                               ;   in Loop: Header=BB12_89 Depth=3
	s_trap 2
	ds_read_b64 v[6:7], v0
	s_andn2_b64 s[62:63], s[62:63], exec
	s_mov_b32 s67, 0
	s_mov_b64 s[64:65], -1
	s_waitcnt lgkmcnt(0)
	flat_load_dword v0, v[6:7] glc
	s_waitcnt vmcnt(0) lgkmcnt(0)
	buffer_invl2
	buffer_wbinvl1_vol
	v_cmp_eq_u32_e32 vcc, 0, v0
	s_and_b64 vcc, vcc, exec
	s_or_b64 s[62:63], s[62:63], vcc
.LBB12_91:                              ;   in Loop: Header=BB12_89 Depth=3
	s_andn2_b64 s[60:61], s[60:61], exec
	s_and_b64 s[64:65], s[64:65], exec
	s_mov_b64 vcc, -1
	s_or_b64 s[60:61], s[60:61], s[64:65]
	s_and_saveexec_b64 s[64:65], s[62:63]
	s_cbranch_execz .LBB12_88
; %bb.92:                               ;   in Loop: Header=BB12_89 Depth=3
	s_sleep 1
	s_trap 2
	ds_read_b64 v[6:7], v0
	v_accvgpr_read_b32 v8, a14
	v_accvgpr_read_b32 v9, a15
	s_andn2_b64 s[60:61], s[60:61], exec
	s_waitcnt lgkmcnt(0)
	v_cmp_ge_u64_e32 vcc, v[6:7], v[8:9]
	s_orn2_b64 vcc, vcc, exec
	s_branch .LBB12_88
.LBB12_93:                              ;   in Loop: Header=BB12_57 Depth=2
	s_or_b64 exec, exec, s[56:57]
	s_and_saveexec_b64 vcc, s[58:59]
	s_xor_b64 vcc, exec, vcc
	s_cbranch_execz .LBB12_95
; %bb.94:                               ;   in Loop: Header=BB12_57 Depth=2
	v_mov_b32_e32 v0, 1
	ds_write_b32 v0, v0
	s_trap 2
.LBB12_95:                              ;   in Loop: Header=BB12_57 Depth=2
	s_or_b64 exec, exec, s[54:55]
	;;#ASMSTART
	s_wakeup
	;;#ASMEND
.LBB12_96:                              ;   in Loop: Header=BB12_57 Depth=2
	s_or_b64 exec, exec, s[52:53]
.LBB12_97:                              ;   in Loop: Header=BB12_57 Depth=2
	s_andn2_saveexec_b64 vcc, s[36:37]
	s_cbranch_execz .LBB12_99
; %bb.98:                               ;   in Loop: Header=BB12_57 Depth=2
	s_waitcnt vmcnt(0) lgkmcnt(0)
	buffer_wbinvl1_vol
	s_barrier
.LBB12_99:                              ;   in Loop: Header=BB12_57 Depth=2
	s_or_b64 exec, exec, vcc
.LBB12_100:                             ;   in Loop: Header=BB12_57 Depth=2
	s_or_b64 exec, exec, s[26:27]
	s_trap 2
	ds_read_b32 v0, v0
	v_and_b32_e32 v3, 0x4000, v29
	v_cmp_ne_u32_e32 vcc, 0, v3
	s_xor_b64 s[26:27], s[6:7], -1
	s_and_b64 vcc, s[26:27], vcc
	s_and_saveexec_b64 s[26:27], vcc
	s_cbranch_execz .LBB12_119
; %bb.101:                              ;   in Loop: Header=BB12_57 Depth=2
	s_and_saveexec_b64 vcc, s[44:45]
	s_xor_b64 s[36:37], exec, vcc
	s_cbranch_execz .LBB12_116
; %bb.102:                              ;   in Loop: Header=BB12_57 Depth=2
	s_and_saveexec_b64 s[52:53], s[16:17]
	s_cbranch_execz .LBB12_115
; %bb.103:                              ;   in Loop: Header=BB12_57 Depth=2
	s_mov_b64 s[56:57], exec
	v_mbcnt_lo_u32_b32 v3, s56, 0
	v_mbcnt_hi_u32_b32 v3, s57, v3
	v_cmp_eq_u32_e32 vcc, 0, v3
	s_waitcnt vmcnt(0) lgkmcnt(0)
	buffer_wbinvl1_vol
	s_and_saveexec_b64 s[54:55], vcc
	s_cbranch_execz .LBB12_105
; %bb.104:                              ;   in Loop: Header=BB12_57 Depth=2
	s_bcnt1_i32_b64 vcc_lo, s[56:57]
	v_mov_b32_e32 v6, vcc_lo
	v_mov_b32_e32 v7, v42
	ds_add_u64 v0, v[6:7]
	s_trap 2
.LBB12_105:                             ;   in Loop: Header=BB12_57 Depth=2
	s_or_b64 exec, exec, s[54:55]
	s_trap 2
	ds_read_b64 v[6:7], v0
	v_accvgpr_read_b32 v8, a14
	v_accvgpr_read_b32 v10, a22
	;; [unrolled: 1-line block ×3, first 2 shown]
	v_add_co_u32_e32 v8, vcc, v8, v10
	v_addc_co_u32_e32 v9, vcc, 0, v9, vcc
	v_accvgpr_write_b32 a15, v9
	v_accvgpr_write_b32 a14, v8
	s_waitcnt lgkmcnt(0)
	v_cmp_lt_u64_e32 vcc, v[6:7], v[8:9]
	s_and_saveexec_b64 s[54:55], vcc
	s_cbranch_execz .LBB12_114
; %bb.106:                              ;   in Loop: Header=BB12_57 Depth=2
	s_mov_b32 s67, 0
	s_mov_b64 s[56:57], 0
                                        ; implicit-def: $sgpr58_sgpr59
                                        ; implicit-def: $sgpr60_sgpr61
	s_branch .LBB12_108
.LBB12_107:                             ;   in Loop: Header=BB12_108 Depth=3
	s_or_b64 exec, exec, s[64:65]
	s_and_b64 vcc, exec, vcc
	s_or_b64 s[56:57], vcc, s[56:57]
	s_andn2_b64 vcc, s[58:59], exec
	s_and_b64 s[58:59], s[60:61], exec
	s_or_b64 s[58:59], vcc, s[58:59]
	s_andn2_b64 exec, exec, s[56:57]
	s_cbranch_execz .LBB12_112
.LBB12_108:                             ;   Parent Loop BB12_47 Depth=1
                                        ;     Parent Loop BB12_57 Depth=2
                                        ; =>    This Inner Loop Header: Depth=3
	s_add_i32 s67, s67, 1
	s_cmpk_lg_i32 s67, 0x2710
	s_cselect_b64 s[62:63], -1, 0
	s_and_b64 vcc, exec, s[62:63]
                                        ; implicit-def: $sgpr64_sgpr65
	s_cbranch_vccnz .LBB12_110
; %bb.109:                              ;   in Loop: Header=BB12_108 Depth=3
	s_trap 2
	ds_read_b64 v[6:7], v0
	s_andn2_b64 s[62:63], s[62:63], exec
	s_mov_b32 s67, 0
	s_mov_b64 s[64:65], -1
	s_waitcnt lgkmcnt(0)
	flat_load_dword v3, v[6:7] glc
	s_waitcnt vmcnt(0) lgkmcnt(0)
	buffer_invl2
	buffer_wbinvl1_vol
	v_cmp_eq_u32_e32 vcc, 0, v3
	s_and_b64 vcc, vcc, exec
	s_or_b64 s[62:63], s[62:63], vcc
.LBB12_110:                             ;   in Loop: Header=BB12_108 Depth=3
	s_andn2_b64 s[60:61], s[60:61], exec
	s_and_b64 s[64:65], s[64:65], exec
	s_mov_b64 vcc, -1
	s_or_b64 s[60:61], s[60:61], s[64:65]
	s_and_saveexec_b64 s[64:65], s[62:63]
	s_cbranch_execz .LBB12_107
; %bb.111:                              ;   in Loop: Header=BB12_108 Depth=3
	s_sleep 1
	s_trap 2
	ds_read_b64 v[6:7], v0
	v_accvgpr_read_b32 v8, a14
	v_accvgpr_read_b32 v9, a15
	s_andn2_b64 s[60:61], s[60:61], exec
	s_waitcnt lgkmcnt(0)
	v_cmp_ge_u64_e32 vcc, v[6:7], v[8:9]
	s_orn2_b64 vcc, vcc, exec
	s_branch .LBB12_107
.LBB12_112:                             ;   in Loop: Header=BB12_57 Depth=2
	s_or_b64 exec, exec, s[56:57]
	s_and_saveexec_b64 vcc, s[58:59]
	s_xor_b64 vcc, exec, vcc
	s_cbranch_execz .LBB12_114
; %bb.113:                              ;   in Loop: Header=BB12_57 Depth=2
	v_mov_b32_e32 v3, 1
	ds_write_b32 v0, v3
	s_trap 2
.LBB12_114:                             ;   in Loop: Header=BB12_57 Depth=2
	s_or_b64 exec, exec, s[54:55]
	;;#ASMSTART
	s_wakeup
	;;#ASMEND
.LBB12_115:                             ;   in Loop: Header=BB12_57 Depth=2
	s_or_b64 exec, exec, s[52:53]
.LBB12_116:                             ;   in Loop: Header=BB12_57 Depth=2
	s_andn2_saveexec_b64 vcc, s[36:37]
	s_cbranch_execz .LBB12_118
; %bb.117:                              ;   in Loop: Header=BB12_57 Depth=2
	s_waitcnt vmcnt(0) lgkmcnt(0)
	buffer_wbinvl1_vol
	s_barrier
.LBB12_118:                             ;   in Loop: Header=BB12_57 Depth=2
	s_or_b64 exec, exec, vcc
.LBB12_119:                             ;   in Loop: Header=BB12_57 Depth=2
	s_or_b64 exec, exec, s[26:27]
	s_trap 2
	s_waitcnt lgkmcnt(0)
	ds_read_b64 v[6:7], v0
	v_mov_b32_e32 v5, 0
	s_waitcnt lgkmcnt(0)
	v_readfirstlane_b32 s26, v6
	v_readfirstlane_b32 s27, v7
	s_cmp_eq_u64 s[26:27], 0
	s_cselect_b64 s[26:27], -1, 0
	s_or_b64 s[26:27], s[26:27], s[26:27]
	s_and_b64 vcc, exec, s[26:27]
	s_cbranch_vccnz .LBB12_178
; %bb.120:                              ;   in Loop: Header=BB12_57 Depth=2
	s_mov_b64 s[26:27], -1
	s_and_saveexec_b64 s[36:37], s[18:19]
	s_cbranch_execz .LBB12_122
; %bb.121:                              ;   in Loop: Header=BB12_57 Depth=2
	ds_read_b32 v3, v0 offset:720
	s_waitcnt lgkmcnt(0)
	v_and_b32_e32 v3, 15, v3
	v_cmp_eq_u32_e32 vcc, 0, v3
	s_orn2_b64 s[26:27], vcc, exec
.LBB12_122:                             ;   in Loop: Header=BB12_57 Depth=2
	s_or_b64 exec, exec, s[36:37]
	s_and_saveexec_b64 s[36:37], s[20:21]
	s_cbranch_execz .LBB12_124
; %bb.123:                              ;   in Loop: Header=BB12_57 Depth=2
	ds_read_b32 v3, v0 offset:784
	s_waitcnt lgkmcnt(0)
	v_and_b32_e32 v3, 15, v3
	v_cmp_eq_u32_e32 vcc, 0, v3
	s_and_b64 vcc, s[26:27], vcc
	s_andn2_b64 s[26:27], s[26:27], exec
	s_and_b64 vcc, vcc, exec
	s_or_b64 s[26:27], s[26:27], vcc
.LBB12_124:                             ;   in Loop: Header=BB12_57 Depth=2
	s_or_b64 exec, exec, s[36:37]
	s_xor_b64 s[26:27], s[26:27], -1
	v_cmp_eq_u32_e32 vcc, 0, v0
	v_cndmask_b32_e64 v0, 0, 1, s[26:27]
	;;#ASMSTART
	;;#ASMEND
	s_trap 2
	ds_read_b64 v[52:53], v0
	v_cndmask_b32_e32 v5, 0, v2, vcc
	v_lshlrev_b32_e32 v43, 1, v5
	s_mov_b64 s[26:27], -1
	v_cmp_ne_u32_e32 vcc, 0, v0
	s_cbranch_vccz .LBB12_133
; %bb.125:                              ;   in Loop: Header=BB12_57 Depth=2
	s_mov_b64 s[36:37], -1
	s_mov_b32 s52, 0
	s_cbranch_execnz .LBB12_134
.LBB12_126:                             ;   in Loop: Header=BB12_57 Depth=2
	v_ashrrev_i32_e32 v0, 31, v43
	v_lshrrev_b32_e32 v0, 20, v0
	v_add_u32_e32 v0, v43, v0
	v_accvgpr_read_b32 v6, a42
	v_ashrrev_i32_e32 v0, 12, v0
	v_accvgpr_read_b32 v3, a31
	s_waitcnt lgkmcnt(0)
	v_add_co_u32_e32 v6, vcc, v52, v6
	v_accvgpr_read_b32 v7, a43
	v_sub_u32_e32 v3, v0, v3
	v_addc_co_u32_e32 v7, vcc, v53, v7, vcc
	v_cmp_lt_i32_e32 vcc, 0, v3
	s_mov_b64 s[52:53], 0
                                        ; implicit-def: $vgpr8_vgpr9
                                        ; implicit-def: $vgpr12_vgpr13
                                        ; implicit-def: $vgpr16_vgpr17
                                        ; implicit-def: $vgpr20_vgpr21
	s_and_saveexec_b64 s[26:27], vcc
	s_cbranch_execz .LBB12_136
; %bb.127:                              ;   in Loop: Header=BB12_57 Depth=2
	s_trap 2
	ds_read_b64 v[8:9], v0
	v_accvgpr_read_b32 v10, a42
	v_accvgpr_read_b32 v11, a43
	s_mov_b64 s[56:57], 0
                                        ; implicit-def: $sgpr54_sgpr55
                                        ; implicit-def: $vgpr12_vgpr13
                                        ; implicit-def: $vgpr16_vgpr17
                                        ; implicit-def: $vgpr20_vgpr21
	s_waitcnt lgkmcnt(0)
	v_add_co_u32_e32 v54, vcc, v8, v10
	v_addc_co_u32_e32 v55, vcc, v9, v11, vcc
                                        ; implicit-def: $vgpr8_vgpr9
	s_branch .LBB12_129
.LBB12_128:                             ;   in Loop: Header=BB12_129 Depth=3
	s_or_b64 exec, exec, s[58:59]
	s_waitcnt vmcnt(0)
	global_store_dwordx4 v[6:7], v[24:27], off glc slc
	s_waitcnt vmcnt(3)
	global_store_dwordx4 v[6:7], v[32:35], off offset:1024 glc slc
	s_waitcnt vmcnt(3)
	global_store_dwordx4 v[6:7], v[36:39], off offset:2048 glc slc
	;; [unrolled: 2-line block ×3, first 2 shown]
	v_add_co_u32_e32 v6, vcc, v6, v56
	v_addc_co_u32_e32 v7, vcc, v7, v57, vcc
	v_add_co_u32_e32 v6, vcc, s78, v6
	v_addc_co_u32_e32 v7, vcc, 0, v7, vcc
	;; [unrolled: 2-line block ×3, first 2 shown]
	v_sub_u32_e32 v3, v3, v28
	v_cmp_gt_i32_e32 vcc, 1, v3
	s_or_b64 s[52:53], vcc, s[52:53]
	s_andn2_b64 vcc, s[54:55], exec
	s_and_b64 s[54:55], s[56:57], exec
	s_or_b64 s[54:55], vcc, s[54:55]
	s_andn2_b64 exec, exec, s[52:53]
	s_cbranch_execz .LBB12_135
.LBB12_129:                             ;   Parent Loop BB12_47 Depth=1
                                        ;     Parent Loop BB12_57 Depth=2
                                        ; =>    This Inner Loop Header: Depth=3
	global_load_dwordx4 v[24:27], v[54:55], off glc slc
	global_load_dwordx4 v[32:35], v[54:55], off offset:1024 glc slc
	global_load_dwordx4 v[36:39], v[54:55], off offset:2048 glc slc
	;; [unrolled: 1-line block ×3, first 2 shown]
	s_and_saveexec_b64 s[58:59], s[56:57]
	s_cbranch_execz .LBB12_131
; %bb.130:                              ;   in Loop: Header=BB12_129 Depth=3
	v_accvgpr_read_b32 v28, a33
	global_store_dwordx4 v[6:7], v[8:11], off glc slc
	global_store_dwordx4 v[6:7], v[12:15], off offset:1024 glc slc
	global_store_dwordx4 v[6:7], v[16:19], off offset:2048 glc slc
	;; [unrolled: 1-line block ×3, first 2 shown]
	v_add_co_u32_e32 v6, vcc, v6, v28
	v_accvgpr_read_b32 v28, a34
	v_addc_co_u32_e32 v7, vcc, v7, v28, vcc
.LBB12_131:                             ;   in Loop: Header=BB12_129 Depth=3
	s_or_b64 exec, exec, s[58:59]
	v_accvgpr_read_b32 v28, a33
	v_add_co_u32_e32 v54, vcc, v54, v28
	v_accvgpr_read_b32 v28, a34
	v_addc_co_u32_e32 v55, vcc, v55, v28, vcc
	v_accvgpr_read_b32 v28, a22
	v_sub_u32_e32 v3, v3, v28
	v_cmp_lt_i32_e64 s[56:57], 0, v3
	v_mov_b32_e32 v28, 0
	v_pk_mov_b32 v[56:57], 0, 0
	s_and_saveexec_b64 s[58:59], s[56:57]
	s_cbranch_execz .LBB12_128
; %bb.132:                              ;   in Loop: Header=BB12_129 Depth=3
	global_load_dwordx4 v[8:11], v[54:55], off glc slc
	global_load_dwordx4 v[12:15], v[54:55], off offset:1024 glc slc
	global_load_dwordx4 v[16:19], v[54:55], off offset:2048 glc slc
	;; [unrolled: 1-line block ×3, first 2 shown]
	v_add_co_u32_e32 v54, vcc, 0x1000, v54
	v_accvgpr_read_b32 v57, a27
	v_addc_co_u32_e32 v55, vcc, 0, v55, vcc
	v_accvgpr_read_b32 v28, a22
	v_accvgpr_read_b32 v56, a26
	s_branch .LBB12_128
.LBB12_133:                             ;   in Loop: Header=BB12_57 Depth=2
	s_mov_b64 s[36:37], 0
                                        ; implicit-def: $sgpr52
	s_andn2_b64 vcc, exec, s[26:27]
	s_cbranch_vccz .LBB12_126
.LBB12_134:                             ;   in Loop: Header=BB12_57 Depth=2
	v_mov_b32_e32 v12, s52
	v_accvgpr_read_b32 v13, a38
	v_accvgpr_read_b32 v6, a31
	;; [unrolled: 1-line block ×3, first 2 shown]
	s_and_saveexec_b64 s[26:27], s[36:37]
	s_cbranch_execnz .LBB12_155
	s_branch .LBB12_177
.LBB12_135:                             ;   in Loop: Header=BB12_57 Depth=2
	s_or_b64 exec, exec, s[52:53]
	s_and_b64 s[52:53], s[54:55], exec
.LBB12_136:                             ;   in Loop: Header=BB12_57 Depth=2
	s_or_b64 exec, exec, s[26:27]
	s_and_saveexec_b64 s[26:27], s[52:53]
	s_cbranch_execz .LBB12_138
; %bb.137:                              ;   in Loop: Header=BB12_57 Depth=2
	global_store_dwordx4 v[6:7], v[8:11], off glc slc
	global_store_dwordx4 v[6:7], v[12:15], off offset:1024 glc slc
	global_store_dwordx4 v[6:7], v[16:19], off offset:2048 glc slc
	;; [unrolled: 1-line block ×3, first 2 shown]
.LBB12_138:                             ;   in Loop: Header=BB12_57 Depth=2
	s_or_b64 exec, exec, s[26:27]
	v_lshlrev_b32_e32 v18, 12, v0
	v_cmp_ne_u32_e32 vcc, v43, v18
                                        ; implicit-def: $vgpr12
                                        ; implicit-def: $vgpr13
                                        ; implicit-def: $vgpr6
                                        ; implicit-def: $vgpr0
	s_and_saveexec_b64 s[52:53], vcc
	s_cbranch_execz .LBB12_154
; %bb.139:                              ;   in Loop: Header=BB12_57 Depth=2
	v_lshlrev_b32_e32 v0, 6, v3
	v_accvgpr_read_b32 v3, a38
	v_sub_u32_e32 v0, v3, v0
	v_ashrrev_i32_e32 v3, 31, v0
	v_lshrrev_b32_e32 v3, 26, v3
	v_add_u32_e32 v3, v0, v3
	v_ashrrev_i32_e32 v7, 6, v3
	v_and_b32_e32 v3, 0xffffffc0, v3
	v_sub_u32_e32 v19, v0, v3
	v_lshlrev_b32_e32 v0, 4, v19
	v_sub_u32_e32 v6, v43, v18
	v_lshl_add_u32 v3, v7, 10, v0
	v_add_u32_e32 v0, v3, v18
	v_sub_u32_e32 v23, v6, v3
	v_ashrrev_i32_e32 v3, 31, v6
	v_lshrrev_b32_e32 v3, 22, v3
	v_add_u32_e32 v3, v6, v3
	v_and_b32_e32 v20, 0xfffffc00, v3
	v_sub_u32_e32 v22, v6, v20
	v_ashrrev_i32_e32 v8, 10, v3
	v_cmp_lt_i32_e64 s[26:27], 15, v22
	v_addc_co_u32_e64 v3, vcc, 0, v8, s[26:27]
	v_sub_u32_e32 v21, v3, v7
	v_ashrrev_i32_e32 v3, 31, v0
	v_add_co_u32_e32 v6, vcc, v0, v52
	v_addc_co_u32_e32 v7, vcc, v3, v53, vcc
	v_cmp_lt_i32_e32 vcc, 15, v23
	s_mov_b64 s[56:57], 0
                                        ; implicit-def: $vgpr8_vgpr9
	s_and_saveexec_b64 s[54:55], vcc
	s_cbranch_execz .LBB12_149
; %bb.140:                              ;   in Loop: Header=BB12_57 Depth=2
	s_trap 2
	ds_read_b64 v[8:9], v0
	s_mov_b64 s[60:61], 0
                                        ; implicit-def: $sgpr58_sgpr59
	s_waitcnt lgkmcnt(0)
	v_add_co_u32_e32 v16, vcc, v8, v0
	v_addc_co_u32_e32 v17, vcc, v9, v3, vcc
                                        ; implicit-def: $vgpr8_vgpr9
	s_branch .LBB12_142
.LBB12_141:                             ;   in Loop: Header=BB12_142 Depth=3
	s_or_b64 exec, exec, s[62:63]
	v_cmp_gt_i32_e32 vcc, 16, v23
	s_or_b64 s[56:57], vcc, s[56:57]
	s_andn2_b64 vcc, s[58:59], exec
	s_and_b64 s[58:59], s[60:61], exec
	s_or_b64 s[58:59], vcc, s[58:59]
	s_andn2_b64 exec, exec, s[56:57]
	s_cbranch_execz .LBB12_148
.LBB12_142:                             ;   Parent Loop BB12_47 Depth=1
                                        ;     Parent Loop BB12_57 Depth=2
                                        ; =>    This Inner Loop Header: Depth=3
	global_load_dwordx4 v[12:15], v[16:17], off glc slc
	s_and_saveexec_b64 s[62:63], s[60:61]
	s_cbranch_execz .LBB12_144
; %bb.143:                              ;   in Loop: Header=BB12_142 Depth=3
	v_accvgpr_read_b32 v0, a39
	v_add_co_u32_e32 v24, vcc, v6, v0
	v_accvgpr_read_b32 v0, a40
	v_addc_co_u32_e32 v25, vcc, v7, v0, vcc
	global_store_dwordx4 v[6:7], v[8:11], off glc slc
	v_pk_mov_b32 v[6:7], v[24:25], v[24:25] op_sel:[0,1]
.LBB12_144:                             ;   in Loop: Header=BB12_142 Depth=3
	s_or_b64 exec, exec, s[62:63]
	v_accvgpr_read_b32 v0, a39
	v_add_co_u32_e32 v16, vcc, v16, v0
	v_accvgpr_read_b32 v0, a40
	v_addc_co_u32_e32 v17, vcc, v17, v0, vcc
	v_accvgpr_read_b32 v0, a17
	v_sub_u32_e32 v23, v23, v0
	v_cmp_lt_i32_e64 s[60:61], 15, v23
	s_and_saveexec_b64 s[62:63], s[60:61]
	s_cbranch_execz .LBB12_146
; %bb.145:                              ;   in Loop: Header=BB12_142 Depth=3
	global_load_dwordx4 v[8:11], v[16:17], off glc slc
	v_add_co_u32_e32 v16, vcc, 0x400, v16
	v_addc_co_u32_e32 v17, vcc, 0, v17, vcc
.LBB12_146:                             ;   in Loop: Header=BB12_142 Depth=3
	s_or_b64 exec, exec, s[62:63]
	v_accvgpr_read_b32 v0, a22
	s_waitcnt vmcnt(0)
	global_store_dwordx4 v[6:7], v[12:15], off glc slc
	v_add_co_u32_e32 v6, vcc, 0x400, v6
	v_sub_u32_e32 v21, v21, v0
	v_addc_co_u32_e32 v7, vcc, 0, v7, vcc
	s_and_saveexec_b64 s[62:63], s[60:61]
	s_cbranch_execz .LBB12_141
; %bb.147:                              ;   in Loop: Header=BB12_142 Depth=3
	v_accvgpr_read_b32 v0, a32
	v_add_co_u32_e32 v6, vcc, v6, v0
	v_accvgpr_read_b32 v3, a35
	v_addc_co_u32_e32 v7, vcc, v7, v3, vcc
	v_add_co_u32_e32 v16, vcc, v16, v0
	v_accvgpr_read_b32 v0, a17
	v_sub_u32_e32 v23, v23, v0
	v_accvgpr_read_b32 v0, a22
	v_addc_co_u32_e32 v17, vcc, v17, v3, vcc
	v_sub_u32_e32 v21, v21, v0
	s_branch .LBB12_141
.LBB12_148:                             ;   in Loop: Header=BB12_57 Depth=2
	s_or_b64 exec, exec, s[56:57]
	s_and_b64 s[56:57], s[58:59], exec
.LBB12_149:                             ;   in Loop: Header=BB12_57 Depth=2
	s_or_b64 exec, exec, s[54:55]
	s_and_saveexec_b64 vcc, s[56:57]
	s_cbranch_execz .LBB12_151
; %bb.150:                              ;   in Loop: Header=BB12_57 Depth=2
	global_store_dwordx4 v[6:7], v[8:11], off glc slc
.LBB12_151:                             ;   in Loop: Header=BB12_57 Depth=2
	s_or_b64 exec, exec, vcc
	v_and_b32_e32 v3, 14, v43
	v_cndmask_b32_e64 v43, v22, v3, s[26:27]
	v_cmp_ne_u32_e32 vcc, 0, v43
	s_mov_b64 s[54:55], s[36:37]
                                        ; implicit-def: $vgpr12
                                        ; implicit-def: $vgpr13
                                        ; implicit-def: $vgpr6
                                        ; implicit-def: $vgpr0
	s_and_saveexec_b64 s[56:57], vcc
	s_cbranch_execz .LBB12_153
; %bb.152:                              ;   in Loop: Header=BB12_57 Depth=2
	v_sub_u32_e32 v0, v22, v3
	v_cndmask_b32_e64 v0, 0, v0, s[26:27]
	v_add3_u32 v12, v20, v18, v0
	v_cmp_lt_i32_e32 vcc, 0, v21
	v_accvgpr_read_b32 v0, a22
	v_cndmask_b32_e32 v0, 0, v0, vcc
	v_sub_u32_e32 v0, v0, v21
	v_lshl_add_u32 v0, v0, 6, v19
	v_ashrrev_i32_e32 v3, 31, v0
	v_lshrrev_b32_e32 v3, 26, v3
	v_add_u32_e32 v3, v0, v3
	v_ashrrev_i32_e32 v6, 6, v3
	v_and_b32_e32 v3, 0xffffffc0, v3
	v_sub_u32_e32 v13, v0, v3
	v_lshlrev_b32_e32 v0, 11, v6
	s_or_b64 s[54:55], s[36:37], exec
.LBB12_153:                             ;   in Loop: Header=BB12_57 Depth=2
	s_or_b64 exec, exec, s[56:57]
	s_andn2_b64 s[26:27], s[36:37], exec
	s_and_b64 vcc, s[54:55], exec
	s_or_b64 s[36:37], s[26:27], vcc
.LBB12_154:                             ;   in Loop: Header=BB12_57 Depth=2
	s_or_b64 exec, exec, s[52:53]
	s_and_saveexec_b64 s[26:27], s[36:37]
	s_cbranch_execz .LBB12_177
.LBB12_155:                             ;   in Loop: Header=BB12_57 Depth=2
	v_lshlrev_b32_e32 v3, 1, v13
	v_add3_u32 v0, v12, v3, v0
	v_ashrrev_i32_e32 v3, 31, v43
	v_lshrrev_b32_e32 v3, 21, v3
	v_add_u32_e32 v3, v43, v3
	v_ashrrev_i32_e32 v14, 11, v3
	v_sub_u32_e32 v10, v14, v6
	v_ashrrev_i32_e32 v3, 31, v0
	s_waitcnt lgkmcnt(0)
	v_add_co_u32_e32 v6, vcc, v52, v0
	v_addc_co_u32_e32 v7, vcc, v53, v3, vcc
	v_cmp_lt_i32_e32 vcc, 0, v10
	s_mov_b64 s[52:53], 0
                                        ; implicit-def: $vgpr15
                                        ; implicit-def: $vgpr16
                                        ; implicit-def: $vgpr17
                                        ; implicit-def: $vgpr18
                                        ; implicit-def: $vgpr19
                                        ; implicit-def: $vgpr20
                                        ; implicit-def: $vgpr21
                                        ; implicit-def: $vgpr22
                                        ; implicit-def: $vgpr23
                                        ; implicit-def: $vgpr24
                                        ; implicit-def: $vgpr25
                                        ; implicit-def: $vgpr26
                                        ; implicit-def: $vgpr27
                                        ; implicit-def: $vgpr32
                                        ; implicit-def: $vgpr33
                                        ; implicit-def: $vgpr34
	s_and_saveexec_b64 s[36:37], vcc
	s_cbranch_execz .LBB12_163
; %bb.156:                              ;   in Loop: Header=BB12_57 Depth=2
	s_trap 2
	ds_read_b64 v[8:9], v0
	s_mov_b64 s[56:57], 0
                                        ; implicit-def: $sgpr54_sgpr55
                                        ; implicit-def: $vgpr15
                                        ; implicit-def: $vgpr16
                                        ; implicit-def: $vgpr17
                                        ; implicit-def: $vgpr18
                                        ; implicit-def: $vgpr19
                                        ; implicit-def: $vgpr20
                                        ; implicit-def: $vgpr21
                                        ; implicit-def: $vgpr22
                                        ; implicit-def: $vgpr23
                                        ; implicit-def: $vgpr24
                                        ; implicit-def: $vgpr25
                                        ; implicit-def: $vgpr26
                                        ; implicit-def: $vgpr27
                                        ; implicit-def: $vgpr32
                                        ; implicit-def: $vgpr33
                                        ; implicit-def: $vgpr34
	s_waitcnt lgkmcnt(0)
	v_add_co_u32_e32 v8, vcc, v8, v0
	v_addc_co_u32_e32 v9, vcc, v9, v3, vcc
	s_branch .LBB12_158
.LBB12_157:                             ;   in Loop: Header=BB12_158 Depth=3
	s_or_b64 exec, exec, s[58:59]
	s_waitcnt vmcnt(0) lgkmcnt(0)
	flat_store_short v[6:7], v0 glc slc
	flat_store_short v[6:7], v3 offset:128 glc slc
	flat_store_short v[6:7], v28 offset:256 glc slc
	flat_store_short v[6:7], v35 offset:384 glc slc
	flat_store_short v[6:7], v36 offset:512 glc slc
	flat_store_short v[6:7], v37 offset:640 glc slc
	flat_store_short v[6:7], v38 offset:768 glc slc
	flat_store_short v[6:7], v39 offset:896 glc slc
	flat_store_short v[6:7], v48 offset:1024 glc slc
	flat_store_short v[6:7], v49 offset:1152 glc slc
	flat_store_short v[6:7], v50 offset:1280 glc slc
	flat_store_short v[6:7], v51 offset:1408 glc slc
	flat_store_short v[6:7], v54 offset:1536 glc slc
	flat_store_short v[6:7], v55 offset:1664 glc slc
	flat_store_short v[6:7], v41 offset:1792 glc slc
	flat_store_short v[6:7], v56 offset:1920 glc slc
	v_add_co_u32_e32 v0, vcc, v6, v10
	v_addc_co_u32_e32 v3, vcc, v7, v11, vcc
	v_add_co_u32_e32 v6, vcc, s80, v0
	v_addc_co_u32_e32 v7, vcc, 0, v3, vcc
	;; [unrolled: 2-line block ×3, first 2 shown]
	v_sub_u32_e32 v10, v57, v40
	v_cmp_gt_i32_e32 vcc, 1, v10
	s_or_b64 s[52:53], vcc, s[52:53]
	s_andn2_b64 vcc, s[54:55], exec
	s_and_b64 s[54:55], s[56:57], exec
	s_or_b64 s[54:55], vcc, s[54:55]
	s_andn2_b64 exec, exec, s[52:53]
	s_cbranch_execz .LBB12_162
.LBB12_158:                             ;   Parent Loop BB12_47 Depth=1
                                        ;     Parent Loop BB12_57 Depth=2
                                        ; =>    This Inner Loop Header: Depth=3
	flat_load_ushort v0, v[8:9] glc slc
	flat_load_ushort v3, v[8:9] offset:128 glc slc
	flat_load_ushort v28, v[8:9] offset:256 glc slc
	;; [unrolled: 1-line block ×15, first 2 shown]
	s_and_saveexec_b64 s[58:59], s[56:57]
	s_cbranch_execz .LBB12_160
; %bb.159:                              ;   in Loop: Header=BB12_158 Depth=3
	v_accvgpr_read_b32 v11, a36
	flat_store_short v[6:7], v15 glc slc
	flat_store_short v[6:7], v16 offset:128 glc slc
	flat_store_short v[6:7], v17 offset:256 glc slc
	flat_store_short v[6:7], v18 offset:384 glc slc
	flat_store_short v[6:7], v19 offset:512 glc slc
	flat_store_short v[6:7], v20 offset:640 glc slc
	flat_store_short v[6:7], v21 offset:768 glc slc
	flat_store_short v[6:7], v22 offset:896 glc slc
	flat_store_short v[6:7], v23 offset:1024 glc slc
	flat_store_short v[6:7], v24 offset:1152 glc slc
	flat_store_short v[6:7], v25 offset:1280 glc slc
	flat_store_short v[6:7], v26 offset:1408 glc slc
	flat_store_short v[6:7], v27 offset:1536 glc slc
	flat_store_short v[6:7], v32 offset:1664 glc slc
	flat_store_short v[6:7], v33 offset:1792 glc slc
	flat_store_short v[6:7], v34 offset:1920 glc slc
	v_add_co_u32_e32 v6, vcc, v6, v11
	v_accvgpr_read_b32 v11, a37
	v_addc_co_u32_e32 v7, vcc, v7, v11, vcc
.LBB12_160:                             ;   in Loop: Header=BB12_158 Depth=3
	s_or_b64 exec, exec, s[58:59]
	v_accvgpr_read_b32 v11, a36
	v_accvgpr_read_b32 v40, a22
	v_add_co_u32_e32 v8, vcc, v8, v11
	v_accvgpr_read_b32 v11, a37
	v_sub_u32_e32 v57, v10, v40
	v_addc_co_u32_e32 v9, vcc, v9, v11, vcc
	v_cmp_lt_i32_e64 s[56:57], 0, v57
	v_mov_b32_e32 v40, 0
	v_pk_mov_b32 v[10:11], 0, 0
	s_and_saveexec_b64 s[58:59], s[56:57]
	s_cbranch_execz .LBB12_157
; %bb.161:                              ;   in Loop: Header=BB12_158 Depth=3
	flat_load_ushort v15, v[8:9] glc slc
	flat_load_ushort v16, v[8:9] offset:128 glc slc
	flat_load_ushort v17, v[8:9] offset:256 glc slc
	;; [unrolled: 1-line block ×15, first 2 shown]
	v_add_co_u32_e32 v8, vcc, 0x800, v8
	v_accvgpr_read_b32 v10, a28
	v_addc_co_u32_e32 v9, vcc, 0, v9, vcc
	v_accvgpr_read_b32 v40, a22
	v_accvgpr_read_b32 v11, a29
	s_branch .LBB12_157
.LBB12_162:                             ;   in Loop: Header=BB12_57 Depth=2
	s_or_b64 exec, exec, s[52:53]
	s_and_b64 s[52:53], s[54:55], exec
.LBB12_163:                             ;   in Loop: Header=BB12_57 Depth=2
	s_or_b64 exec, exec, s[36:37]
	s_and_saveexec_b64 vcc, s[52:53]
	s_cbranch_execz .LBB12_165
; %bb.164:                              ;   in Loop: Header=BB12_57 Depth=2
	flat_store_short v[6:7], v15 glc slc
	flat_store_short v[6:7], v16 offset:128 glc slc
	flat_store_short v[6:7], v17 offset:256 glc slc
	;; [unrolled: 1-line block ×15, first 2 shown]
.LBB12_165:                             ;   in Loop: Header=BB12_57 Depth=2
	s_or_b64 exec, exec, vcc
	v_lshlrev_b32_e32 v0, 11, v14
	v_cmp_ne_u32_e32 vcc, v43, v0
	s_and_saveexec_b64 s[36:37], vcc
	s_cbranch_execz .LBB12_176
; %bb.166:                              ;   in Loop: Header=BB12_57 Depth=2
	v_lshlrev_b32_e32 v3, 6, v10
	v_sub_u32_e32 v3, v13, v3
	v_ashrrev_i32_e32 v6, 31, v3
	v_lshrrev_b32_e32 v6, 26, v6
	v_add_u32_e32 v6, v3, v6
	v_and_b32_e32 v7, 0x7fffffc0, v6
	v_sub_u32_e32 v3, v3, v7
	v_lshlrev_b32_e32 v6, 1, v6
	v_and_b32_e32 v6, 0xffffff80, v6
	v_lshlrev_b32_e32 v3, 1, v3
	v_add3_u32 v3, v6, v3, v0
	v_add_u32_e32 v0, v3, v12
	v_sub_u32_e32 v10, v43, v3
	v_ashrrev_i32_e32 v3, 31, v0
	v_add_co_u32_e32 v6, vcc, v52, v0
	v_addc_co_u32_e32 v7, vcc, v53, v3, vcc
	v_cmp_lt_i32_e32 vcc, 1, v10
	s_mov_b64 s[54:55], 0
                                        ; implicit-def: $vgpr12
	s_and_saveexec_b64 s[52:53], vcc
	s_cbranch_execz .LBB12_174
; %bb.167:                              ;   in Loop: Header=BB12_57 Depth=2
	s_trap 2
	ds_read_b64 v[8:9], v0
	s_mov_b64 s[58:59], 0
                                        ; implicit-def: $sgpr56_sgpr57
                                        ; implicit-def: $vgpr12
	s_waitcnt lgkmcnt(0)
	v_add_co_u32_e32 v8, vcc, v8, v0
	v_addc_co_u32_e32 v9, vcc, v9, v3, vcc
	s_branch .LBB12_169
.LBB12_168:                             ;   in Loop: Header=BB12_169 Depth=3
	s_or_b64 exec, exec, s[60:61]
	s_waitcnt vmcnt(0) lgkmcnt(0)
	flat_store_short v[6:7], v0 glc slc
	v_add_co_u32_e32 v0, vcc, v6, v10
	v_addc_co_u32_e32 v7, vcc, v7, v11, vcc
	v_add_co_u32_e32 v8, vcc, v8, v10
	v_addc_co_u32_e32 v9, vcc, v9, v11, vcc
	;; [unrolled: 2-line block ×3, first 2 shown]
	v_sub_u32_e32 v10, v3, v13
	v_cmp_gt_i32_e32 vcc, 2, v10
	s_or_b64 s[54:55], vcc, s[54:55]
	s_andn2_b64 vcc, s[56:57], exec
	s_and_b64 s[56:57], s[58:59], exec
	s_or_b64 s[56:57], vcc, s[56:57]
	s_andn2_b64 exec, exec, s[54:55]
	s_cbranch_execz .LBB12_173
.LBB12_169:                             ;   Parent Loop BB12_47 Depth=1
                                        ;     Parent Loop BB12_57 Depth=2
                                        ; =>    This Inner Loop Header: Depth=3
	flat_load_ushort v0, v[8:9] glc slc
	s_and_saveexec_b64 s[60:61], s[58:59]
	s_cbranch_execz .LBB12_171
; %bb.170:                              ;   in Loop: Header=BB12_169 Depth=3
	v_accvgpr_read_b32 v3, a52
	v_add_co_u32_e32 v14, vcc, v6, v3
	v_accvgpr_read_b32 v3, a53
	v_addc_co_u32_e32 v15, vcc, v7, v3, vcc
	flat_store_short v[6:7], v12 glc slc
	v_pk_mov_b32 v[6:7], v[14:15], v[14:15] op_sel:[0,1]
.LBB12_171:                             ;   in Loop: Header=BB12_169 Depth=3
	s_or_b64 exec, exec, s[60:61]
	v_accvgpr_read_b32 v3, a52
	v_add_co_u32_e32 v8, vcc, v8, v3
	v_accvgpr_read_b32 v3, a53
	v_addc_co_u32_e32 v9, vcc, v9, v3, vcc
	v_accvgpr_read_b32 v3, a49
	v_sub_u32_e32 v3, v10, v3
	v_cmp_lt_i32_e64 s[58:59], 1, v3
	v_mov_b32_e32 v13, 0
	v_pk_mov_b32 v[10:11], 0, 0
	s_and_saveexec_b64 s[60:61], s[58:59]
	s_cbranch_execz .LBB12_168
; %bb.172:                              ;   in Loop: Header=BB12_169 Depth=3
	flat_load_ushort v12, v[8:9] glc slc
	v_add_co_u32_e32 v8, vcc, 0x80, v8
	v_accvgpr_read_b32 v10, a50
	v_addc_co_u32_e32 v9, vcc, 0, v9, vcc
	v_accvgpr_read_b32 v13, a49
	v_accvgpr_read_b32 v11, a51
	s_branch .LBB12_168
.LBB12_173:                             ;   in Loop: Header=BB12_57 Depth=2
	s_or_b64 exec, exec, s[54:55]
	s_and_b64 s[54:55], s[56:57], exec
.LBB12_174:                             ;   in Loop: Header=BB12_57 Depth=2
	s_or_b64 exec, exec, s[52:53]
	s_and_b64 exec, exec, s[54:55]
	s_cbranch_execz .LBB12_176
; %bb.175:                              ;   in Loop: Header=BB12_57 Depth=2
	flat_store_short v[6:7], v12 glc slc
.LBB12_176:                             ;   in Loop: Header=BB12_57 Depth=2
	s_or_b64 exec, exec, s[36:37]
.LBB12_177:                             ;   in Loop: Header=BB12_57 Depth=2
	s_or_b64 exec, exec, s[26:27]
.LBB12_178:                             ;   in Loop: Header=BB12_57 Depth=2
	s_and_saveexec_b64 s[26:27], s[10:11]
	s_cbranch_execz .LBB12_197
; %bb.179:                              ;   in Loop: Header=BB12_57 Depth=2
	s_and_saveexec_b64 vcc, s[44:45]
	s_xor_b64 s[36:37], exec, vcc
	s_cbranch_execz .LBB12_194
; %bb.180:                              ;   in Loop: Header=BB12_57 Depth=2
	s_and_saveexec_b64 s[52:53], s[16:17]
	s_cbranch_execz .LBB12_193
; %bb.181:                              ;   in Loop: Header=BB12_57 Depth=2
	s_mov_b64 s[56:57], exec
	v_mbcnt_lo_u32_b32 v0, s56, 0
	v_mbcnt_hi_u32_b32 v0, s57, v0
	v_cmp_eq_u32_e32 vcc, 0, v0
	s_waitcnt vmcnt(0) lgkmcnt(0)
	buffer_wbinvl1_vol
	s_and_saveexec_b64 s[54:55], vcc
	s_cbranch_execz .LBB12_183
; %bb.182:                              ;   in Loop: Header=BB12_57 Depth=2
	s_bcnt1_i32_b64 vcc_lo, s[56:57]
	v_mov_b32_e32 v6, vcc_lo
	v_mov_b32_e32 v7, v42
	ds_add_u64 v0, v[6:7]
	s_trap 2
.LBB12_183:                             ;   in Loop: Header=BB12_57 Depth=2
	s_or_b64 exec, exec, s[54:55]
	s_trap 2
	ds_read_b64 v[6:7], v0
	v_accvgpr_read_b32 v8, a14
	v_accvgpr_read_b32 v0, a22
	v_accvgpr_read_b32 v9, a15
	v_add_co_u32_e32 v8, vcc, v8, v0
	v_addc_co_u32_e32 v9, vcc, 0, v9, vcc
	v_accvgpr_write_b32 a15, v9
	v_accvgpr_write_b32 a14, v8
	s_waitcnt lgkmcnt(0)
	v_cmp_lt_u64_e32 vcc, v[6:7], v[8:9]
	s_and_saveexec_b64 s[54:55], vcc
	s_cbranch_execz .LBB12_192
; %bb.184:                              ;   in Loop: Header=BB12_57 Depth=2
	s_mov_b32 s67, 0
	s_mov_b64 s[56:57], 0
                                        ; implicit-def: $sgpr58_sgpr59
                                        ; implicit-def: $sgpr60_sgpr61
	s_branch .LBB12_186
.LBB12_185:                             ;   in Loop: Header=BB12_186 Depth=3
	s_or_b64 exec, exec, s[64:65]
	s_and_b64 vcc, exec, vcc
	s_or_b64 s[56:57], vcc, s[56:57]
	s_andn2_b64 vcc, s[58:59], exec
	s_and_b64 s[58:59], s[60:61], exec
	s_or_b64 s[58:59], vcc, s[58:59]
	s_andn2_b64 exec, exec, s[56:57]
	s_cbranch_execz .LBB12_190
.LBB12_186:                             ;   Parent Loop BB12_47 Depth=1
                                        ;     Parent Loop BB12_57 Depth=2
                                        ; =>    This Inner Loop Header: Depth=3
	s_add_i32 s67, s67, 1
	s_cmpk_lg_i32 s67, 0x2710
	s_cselect_b64 s[62:63], -1, 0
	s_and_b64 vcc, exec, s[62:63]
                                        ; implicit-def: $sgpr64_sgpr65
	s_cbranch_vccnz .LBB12_188
; %bb.187:                              ;   in Loop: Header=BB12_186 Depth=3
	s_trap 2
	ds_read_b64 v[6:7], v0
	s_andn2_b64 s[62:63], s[62:63], exec
	s_mov_b32 s67, 0
	s_mov_b64 s[64:65], -1
	s_waitcnt lgkmcnt(0)
	flat_load_dword v0, v[6:7] glc
	s_waitcnt vmcnt(0) lgkmcnt(0)
	buffer_invl2
	buffer_wbinvl1_vol
	v_cmp_eq_u32_e32 vcc, 0, v0
	s_and_b64 vcc, vcc, exec
	s_or_b64 s[62:63], s[62:63], vcc
.LBB12_188:                             ;   in Loop: Header=BB12_186 Depth=3
	s_andn2_b64 s[60:61], s[60:61], exec
	s_and_b64 s[64:65], s[64:65], exec
	s_mov_b64 vcc, -1
	s_or_b64 s[60:61], s[60:61], s[64:65]
	s_and_saveexec_b64 s[64:65], s[62:63]
	s_cbranch_execz .LBB12_185
; %bb.189:                              ;   in Loop: Header=BB12_186 Depth=3
	s_sleep 1
	s_trap 2
	ds_read_b64 v[6:7], v0
	v_accvgpr_read_b32 v8, a14
	v_accvgpr_read_b32 v9, a15
	s_andn2_b64 s[60:61], s[60:61], exec
	s_waitcnt lgkmcnt(0)
	v_cmp_ge_u64_e32 vcc, v[6:7], v[8:9]
	s_orn2_b64 vcc, vcc, exec
	s_branch .LBB12_185
.LBB12_190:                             ;   in Loop: Header=BB12_57 Depth=2
	s_or_b64 exec, exec, s[56:57]
	s_and_saveexec_b64 vcc, s[58:59]
	s_xor_b64 vcc, exec, vcc
	s_cbranch_execz .LBB12_192
; %bb.191:                              ;   in Loop: Header=BB12_57 Depth=2
	v_mov_b32_e32 v0, 1
	ds_write_b32 v0, v0
	s_trap 2
.LBB12_192:                             ;   in Loop: Header=BB12_57 Depth=2
	s_or_b64 exec, exec, s[54:55]
	;;#ASMSTART
	s_wakeup
	;;#ASMEND
.LBB12_193:                             ;   in Loop: Header=BB12_57 Depth=2
	s_or_b64 exec, exec, s[52:53]
.LBB12_194:                             ;   in Loop: Header=BB12_57 Depth=2
	s_andn2_saveexec_b64 vcc, s[36:37]
	s_cbranch_execz .LBB12_196
; %bb.195:                              ;   in Loop: Header=BB12_57 Depth=2
	s_waitcnt vmcnt(0) lgkmcnt(0)
	buffer_wbinvl1_vol
	s_barrier
.LBB12_196:                             ;   in Loop: Header=BB12_57 Depth=2
	s_or_b64 exec, exec, vcc
.LBB12_197:                             ;   in Loop: Header=BB12_57 Depth=2
	s_or_b64 exec, exec, s[26:27]
	v_and_b32_e32 v0, 16, v29
	s_and_saveexec_b64 s[26:27], s[24:25]
	s_xor_b64 s[36:37], exec, s[26:27]
	s_cbranch_execz .LBB12_202
; %bb.198:                              ;   in Loop: Header=BB12_57 Depth=2
	v_and_b32_e32 v3, 16, v29
	v_cmp_lt_i32_e32 vcc, 0, v5
	v_cmp_ne_u32_e64 s[26:27], 0, v3
	v_and_b32_e32 v0, 16, v29
	s_and_b64 vcc, s[26:27], vcc
	s_and_saveexec_b64 s[26:27], vcc
	s_cbranch_execz .LBB12_200
; %bb.199:                              ;   in Loop: Header=BB12_57 Depth=2
	v_mov_b32_e32 v0, 1
	s_waitcnt vmcnt(0) lgkmcnt(0)
	buffer_wbinvl1_vol
.LBB12_200:                             ;   in Loop: Header=BB12_57 Depth=2
	s_or_b64 exec, exec, s[26:27]
	s_andn2_saveexec_b64 s[26:27], s[36:37]
	s_cbranch_execnz .LBB12_203
.LBB12_201:                             ;   in Loop: Header=BB12_57 Depth=2
	s_or_b64 exec, exec, s[26:27]
	v_cmp_ne_u32_e32 vcc, 0, v0
	s_and_saveexec_b64 s[26:27], vcc
	s_cbranch_execz .LBB12_56
	s_branch .LBB12_221
.LBB12_202:                             ;   in Loop: Header=BB12_57 Depth=2
	s_andn2_saveexec_b64 s[26:27], s[36:37]
	s_cbranch_execz .LBB12_201
.LBB12_203:                             ;   in Loop: Header=BB12_57 Depth=2
	s_and_saveexec_b64 vcc, s[44:45]
	s_xor_b64 s[36:37], exec, vcc
	s_cbranch_execz .LBB12_218
; %bb.204:                              ;   in Loop: Header=BB12_57 Depth=2
	s_and_saveexec_b64 s[52:53], s[16:17]
	s_cbranch_execz .LBB12_217
; %bb.205:                              ;   in Loop: Header=BB12_57 Depth=2
	s_mov_b64 s[56:57], exec
	v_mbcnt_lo_u32_b32 v3, s56, 0
	v_mbcnt_hi_u32_b32 v3, s57, v3
	v_cmp_eq_u32_e32 vcc, 0, v3
	;;#ASMSTART
	s_waitcnt lgkmcnt(0) vmcnt(0)
	;;#ASMEND
	s_and_saveexec_b64 s[54:55], vcc
	s_cbranch_execz .LBB12_207
; %bb.206:                              ;   in Loop: Header=BB12_57 Depth=2
	s_bcnt1_i32_b64 vcc_lo, s[56:57]
	v_mov_b32_e32 v6, vcc_lo
	v_mov_b32_e32 v7, v42
	ds_add_u64 v0, v[6:7]
	s_trap 2
.LBB12_207:                             ;   in Loop: Header=BB12_57 Depth=2
	s_or_b64 exec, exec, s[54:55]
	s_trap 2
	ds_read_b64 v[6:7], v0
	v_accvgpr_read_b32 v8, a14
	v_accvgpr_read_b32 v10, a22
	;; [unrolled: 1-line block ×3, first 2 shown]
	v_add_co_u32_e32 v8, vcc, v8, v10
	v_addc_co_u32_e32 v9, vcc, 0, v9, vcc
	v_accvgpr_write_b32 a15, v9
	v_accvgpr_write_b32 a14, v8
	s_waitcnt lgkmcnt(0)
	v_cmp_lt_u64_e32 vcc, v[6:7], v[8:9]
	s_and_saveexec_b64 s[54:55], vcc
	s_cbranch_execz .LBB12_216
; %bb.208:                              ;   in Loop: Header=BB12_57 Depth=2
	s_mov_b32 s67, 0
	s_mov_b64 s[56:57], 0
                                        ; implicit-def: $sgpr58_sgpr59
                                        ; implicit-def: $sgpr60_sgpr61
	s_branch .LBB12_210
.LBB12_209:                             ;   in Loop: Header=BB12_210 Depth=3
	s_or_b64 exec, exec, s[64:65]
	s_and_b64 vcc, exec, vcc
	s_or_b64 s[56:57], vcc, s[56:57]
	s_andn2_b64 vcc, s[58:59], exec
	s_and_b64 s[58:59], s[60:61], exec
	s_or_b64 s[58:59], vcc, s[58:59]
	s_andn2_b64 exec, exec, s[56:57]
	s_cbranch_execz .LBB12_214
.LBB12_210:                             ;   Parent Loop BB12_47 Depth=1
                                        ;     Parent Loop BB12_57 Depth=2
                                        ; =>    This Inner Loop Header: Depth=3
	s_add_i32 s67, s67, 1
	s_cmpk_lg_i32 s67, 0x2710
	s_cselect_b64 s[62:63], -1, 0
	s_and_b64 vcc, exec, s[62:63]
                                        ; implicit-def: $sgpr64_sgpr65
	s_cbranch_vccnz .LBB12_212
; %bb.211:                              ;   in Loop: Header=BB12_210 Depth=3
	s_trap 2
	ds_read_b64 v[6:7], v0
	s_andn2_b64 s[62:63], s[62:63], exec
	s_mov_b32 s67, 0
	s_mov_b64 s[64:65], -1
	s_waitcnt vmcnt(0) lgkmcnt(0)
	flat_load_dword v3, v[6:7] glc
	s_waitcnt vmcnt(0) lgkmcnt(0)
	buffer_invl2
	buffer_wbinvl1_vol
	v_cmp_eq_u32_e32 vcc, 0, v3
	s_and_b64 vcc, vcc, exec
	s_or_b64 s[62:63], s[62:63], vcc
.LBB12_212:                             ;   in Loop: Header=BB12_210 Depth=3
	s_andn2_b64 s[60:61], s[60:61], exec
	s_and_b64 s[64:65], s[64:65], exec
	s_mov_b64 vcc, -1
	s_or_b64 s[60:61], s[60:61], s[64:65]
	s_and_saveexec_b64 s[64:65], s[62:63]
	s_cbranch_execz .LBB12_209
; %bb.213:                              ;   in Loop: Header=BB12_210 Depth=3
	s_sleep 1
	s_trap 2
	ds_read_b64 v[6:7], v0
	v_accvgpr_read_b32 v8, a14
	v_accvgpr_read_b32 v9, a15
	s_andn2_b64 s[60:61], s[60:61], exec
	s_waitcnt lgkmcnt(0)
	v_cmp_ge_u64_e32 vcc, v[6:7], v[8:9]
	s_orn2_b64 vcc, vcc, exec
	s_branch .LBB12_209
.LBB12_214:                             ;   in Loop: Header=BB12_57 Depth=2
	s_or_b64 exec, exec, s[56:57]
	s_and_saveexec_b64 vcc, s[58:59]
	s_xor_b64 vcc, exec, vcc
	s_cbranch_execz .LBB12_216
; %bb.215:                              ;   in Loop: Header=BB12_57 Depth=2
	v_mov_b32_e32 v3, 1
	ds_write_b32 v0, v3
	s_trap 2
.LBB12_216:                             ;   in Loop: Header=BB12_57 Depth=2
	s_or_b64 exec, exec, s[54:55]
	;;#ASMSTART
	s_wakeup
	;;#ASMEND
.LBB12_217:                             ;   in Loop: Header=BB12_57 Depth=2
	s_or_b64 exec, exec, s[52:53]
.LBB12_218:                             ;   in Loop: Header=BB12_57 Depth=2
	s_andn2_saveexec_b64 vcc, s[36:37]
	s_cbranch_execz .LBB12_220
; %bb.219:                              ;   in Loop: Header=BB12_57 Depth=2
	;;#ASMSTART
	s_waitcnt lgkmcnt(0) vmcnt(0)
	;;#ASMEND
	s_barrier
.LBB12_220:                             ;   in Loop: Header=BB12_57 Depth=2
	s_or_b64 exec, exec, vcc
	s_or_b64 exec, exec, s[26:27]
	v_cmp_ne_u32_e32 vcc, 0, v0
	s_and_saveexec_b64 s[26:27], vcc
	s_cbranch_execz .LBB12_56
.LBB12_221:                             ;   in Loop: Header=BB12_57 Depth=2
	s_and_saveexec_b64 vcc, s[14:15]
	s_cbranch_execz .LBB12_55
; %bb.222:                              ;   in Loop: Header=BB12_57 Depth=2
	v_accvgpr_read_b32 v6, a20
	v_accvgpr_read_b32 v7, a21
	v_mov_b32_e32 v0, 1
	flat_store_dword v[6:7], v0
	s_branch .LBB12_55
.LBB12_223:                             ;   in Loop: Header=BB12_47 Depth=1
	s_or_b64 exec, exec, s[30:31]
.LBB12_224:                             ;   in Loop: Header=BB12_47 Depth=1
	s_or_b64 exec, exec, s[28:29]
	v_cmp_gt_i32_e32 vcc, 2, v0
	s_and_saveexec_b64 s[28:29], vcc
	s_cbranch_execz .LBB12_296
; %bb.225:                              ;   in Loop: Header=BB12_47 Depth=1
	v_cmp_eq_u32_e64 s[26:27], 0, v0
	s_mov_b64 s[30:31], 0
	s_branch .LBB12_228
.LBB12_226:                             ;   in Loop: Header=BB12_228 Depth=2
	s_or_b64 exec, exec, vcc
	v_add_co_u32_e32 v44, vcc, 2, v44
	v_addc_co_u32_e32 v45, vcc, 0, v45, vcc
	flat_store_dwordx2 v[46:47], v[44:45]
.LBB12_227:                             ;   in Loop: Header=BB12_228 Depth=2
	s_or_b64 exec, exec, s[26:27]
	v_add_u32_e32 v4, v2, v4
	s_mov_b64 s[26:27], 0
	s_andn2_b64 exec, exec, s[30:31]
	s_cbranch_execz .LBB12_295
.LBB12_228:                             ;   Parent Loop BB12_47 Depth=1
                                        ; =>  This Loop Header: Depth=2
                                        ;       Child Loop BB12_234 Depth 3
                                        ;       Child Loop BB12_258 Depth 3
	;; [unrolled: 1-line block ×3, first 2 shown]
	v_and_b32_e32 v0, 8, v29
	s_mov_b64 s[36:37], -1
	v_cmp_ne_u32_e32 vcc, 0, v0
	s_and_saveexec_b64 s[34:35], vcc
	s_cbranch_execz .LBB12_240
; %bb.229:                              ;   in Loop: Header=BB12_228 Depth=2
	v_add_co_u32_e32 v8, vcc, 8, v60
	v_addc_co_u32_e32 v9, vcc, 0, v61, vcc
	v_add_co_u32_e32 v6, vcc, 2, v44
	v_addc_co_u32_e32 v7, vcc, 0, v45, vcc
	v_cmp_lt_u64_e32 vcc, v[8:9], v[6:7]
	v_mov_b32_e32 v0, 1
	s_and_saveexec_b64 s[36:37], vcc
	s_cbranch_execz .LBB12_239
; %bb.230:                              ;   in Loop: Header=BB12_228 Depth=2
	s_mov_b64 s[52:53], 0
	v_mov_b32_e32 v0, 0
                                        ; implicit-def: $sgpr54_sgpr55
	s_branch .LBB12_234
.LBB12_231:                             ;   in Loop: Header=BB12_234 Depth=3
	s_or_b64 exec, exec, s[62:63]
	v_mov_b32_e32 v3, 0
	s_orn2_b64 s[60:61], s[60:61], exec
.LBB12_232:                             ;   in Loop: Header=BB12_234 Depth=3
	s_or_b64 exec, exec, s[58:59]
	s_andn2_b64 vcc, s[54:55], exec
	s_and_b64 s[54:55], s[60:61], exec
	s_or_b64 s[54:55], vcc, s[54:55]
	v_mov_b32_e32 v0, v3
.LBB12_233:                             ;   in Loop: Header=BB12_234 Depth=3
	s_or_b64 exec, exec, s[56:57]
	s_waitcnt vmcnt(0) lgkmcnt(0)
	v_add_co_u32_e32 v8, vcc, 8, v60
	v_addc_co_u32_e32 v9, vcc, 0, v61, vcc
	v_cmp_ge_u64_e32 vcc, v[8:9], v[6:7]
	s_xor_b64 s[56:57], s[54:55], -1
	s_or_b64 vcc, s[56:57], vcc
	s_and_b64 vcc, exec, vcc
	s_or_b64 s[52:53], vcc, s[52:53]
	s_andn2_b64 exec, exec, s[52:53]
	s_cbranch_execz .LBB12_238
.LBB12_234:                             ;   Parent Loop BB12_47 Depth=1
                                        ;     Parent Loop BB12_228 Depth=2
                                        ; =>    This Inner Loop Header: Depth=3
	s_sleep 1
	flat_load_dwordx2 v[60:61], v[46:47] glc
	v_and_b32_e32 v3, 64, v29
	v_cmp_eq_u32_e32 vcc, 0, v3
	s_andn2_b64 s[54:55], s[54:55], exec
	s_and_saveexec_b64 s[56:57], vcc
	s_cbranch_execz .LBB12_233
; %bb.235:                              ;   in Loop: Header=BB12_234 Depth=3
	v_add_u32_e32 v3, 1, v0
	v_cmp_lt_i32_e32 vcc, s90, v0
	s_mov_b64 s[60:61], -1
	s_and_saveexec_b64 s[58:59], vcc
	s_cbranch_execz .LBB12_232
; %bb.236:                              ;   in Loop: Header=BB12_234 Depth=3
	s_trap 2
	ds_read_b64 v[8:9], v0
	s_waitcnt vmcnt(0) lgkmcnt(0)
	flat_load_dword v0, v[8:9] glc
	s_waitcnt vmcnt(0) lgkmcnt(0)
	buffer_invl2
	buffer_wbinvl1_vol
	v_cmp_ne_u32_e32 vcc, 0, v0
	s_and_saveexec_b64 s[62:63], vcc
	s_cbranch_execz .LBB12_231
; %bb.237:                              ;   in Loop: Header=BB12_234 Depth=3
	v_or_b32_e32 v29, 64, v29
	s_xor_b64 s[60:61], exec, -1
	ds_write_b32 v0, v0
	s_trap 2
	s_branch .LBB12_231
.LBB12_238:                             ;   in Loop: Header=BB12_228 Depth=2
	s_or_b64 exec, exec, s[52:53]
	v_and_b32_e32 v0, 8, v29
.LBB12_239:                             ;   in Loop: Header=BB12_228 Depth=2
	s_or_b64 exec, exec, s[36:37]
	v_cmp_eq_u32_e32 vcc, 0, v0
	s_orn2_b64 s[36:37], vcc, exec
	;;#ASMSTART
	s_wakeup
	;;#ASMEND
.LBB12_240:                             ;   in Loop: Header=BB12_228 Depth=2
	s_or_b64 exec, exec, s[34:35]
	s_xor_b64 s[26:27], s[26:27], -1
	s_and_b64 s[26:27], exec, s[26:27]
	s_or_b64 s[30:31], s[26:27], s[30:31]
	v_sub_u32_e32 v0, v58, v4
	s_xor_b64 s[26:27], s[36:37], -1
	v_min_i32_e32 v2, v2, v0
	s_and_saveexec_b64 s[34:35], s[26:27]
	s_cbranch_execz .LBB12_250
; %bb.241:                              ;   in Loop: Header=BB12_228 Depth=2
	v_and_b32_e32 v0, 0x100, v29
	v_cmp_ne_u32_e32 vcc, 0, v0
	v_and_b32_e32 v0, 7, v44
	s_mov_b64 s[26:27], -1
                                        ; implicit-def: $vgpr6_vgpr7
	s_and_saveexec_b64 s[36:37], vcc
	s_cbranch_execz .LBB12_245
; %bb.242:                              ;   in Loop: Header=BB12_228 Depth=2
	v_accvgpr_read_b32 v6, a12
	v_accvgpr_read_b32 v7, a13
	v_mad_u64_u32 v[8:9], s[26:27], v0, 24, v[6:7]
	flat_load_dword v5, v[8:9]
	v_ashrrev_i32_e32 v3, 31, v2
	v_lshlrev_b64 v[6:7], 1, v[2:3]
	flat_store_dwordx2 v[8:9], v[6:7] offset:8
                                        ; implicit-def: $vgpr6_vgpr7
	s_waitcnt vmcnt(0) lgkmcnt(0)
	v_cmp_ne_u32_e32 vcc, 1, v5
	v_cmp_eq_u32_e64 s[26:27], 1, v5
	s_and_saveexec_b64 s[52:53], s[26:27]
	s_cbranch_execz .LBB12_244
; %bb.243:                              ;   in Loop: Header=BB12_228 Depth=2
	flat_load_dword v6, v[8:9] offset:4 glc
	s_waitcnt vmcnt(0) lgkmcnt(0)
	v_ashrrev_i32_e32 v7, 31, v6
	v_lshrrev_b64 v[6:7], 1, v[6:7]
.LBB12_244:                             ;   in Loop: Header=BB12_228 Depth=2
	s_or_b64 exec, exec, s[52:53]
	s_orn2_b64 s[26:27], vcc, exec
.LBB12_245:                             ;   in Loop: Header=BB12_228 Depth=2
	s_or_b64 exec, exec, s[36:37]
	s_and_saveexec_b64 vcc, s[26:27]
; %bb.246:                              ;   in Loop: Header=BB12_228 Depth=2
	v_accvgpr_read_b32 v6, a16
	v_mad_i64_i32 v[6:7], s[26:27], v0, v6, 0
; %bb.247:                              ;   in Loop: Header=BB12_228 Depth=2
	s_or_b64 exec, exec, vcc
	v_lshlrev_b64 v[6:7], 1, v[6:7]
	v_accvgpr_read_b32 v8, a18
	v_accvgpr_read_b32 v9, a19
	v_add_co_u32_e32 v6, vcc, v8, v6
	v_addc_co_u32_e32 v7, vcc, v9, v7, vcc
	ds_write_b64 v0, v[6:7] offset:784
	v_and_b32_e32 v0, 0x2000, v29
	v_cmp_ne_u32_e32 vcc, 0, v0
	s_and_saveexec_b64 s[26:27], vcc
	s_cbranch_execz .LBB12_249
; %bb.248:                              ;   in Loop: Header=BB12_228 Depth=2
	ds_read_b64 v[6:7], v0 offset:584
	s_waitcnt lgkmcnt(0)
	v_add_co_u32_e32 v6, vcc, 1, v6
	v_addc_co_u32_e32 v7, vcc, 0, v7, vcc
	ds_write_b64 v0, v[6:7] offset:584
.LBB12_249:                             ;   in Loop: Header=BB12_228 Depth=2
	s_or_b64 exec, exec, s[26:27]
	v_add_co_u32_e32 v44, vcc, 2, v44
	v_addc_co_u32_e32 v45, vcc, 0, v45, vcc
.LBB12_250:                             ;   in Loop: Header=BB12_228 Depth=2
	s_or_b64 exec, exec, s[34:35]
	s_and_saveexec_b64 s[26:27], s[10:11]
	s_cbranch_execz .LBB12_269
; %bb.251:                              ;   in Loop: Header=BB12_228 Depth=2
	s_and_saveexec_b64 vcc, s[44:45]
	s_xor_b64 s[34:35], exec, vcc
	s_cbranch_execz .LBB12_266
; %bb.252:                              ;   in Loop: Header=BB12_228 Depth=2
	s_and_saveexec_b64 s[36:37], s[16:17]
	s_cbranch_execz .LBB12_265
; %bb.253:                              ;   in Loop: Header=BB12_228 Depth=2
	s_mov_b64 s[54:55], exec
	v_mbcnt_lo_u32_b32 v0, s54, 0
	v_mbcnt_hi_u32_b32 v0, s55, v0
	v_cmp_eq_u32_e32 vcc, 0, v0
	s_waitcnt vmcnt(0) lgkmcnt(0)
	buffer_wbinvl1_vol
	s_and_saveexec_b64 s[52:53], vcc
	s_cbranch_execz .LBB12_255
; %bb.254:                              ;   in Loop: Header=BB12_228 Depth=2
	s_bcnt1_i32_b64 vcc_lo, s[54:55]
	v_mov_b32_e32 v6, vcc_lo
	v_mov_b32_e32 v7, v42
	ds_add_u64 v0, v[6:7]
	s_trap 2
.LBB12_255:                             ;   in Loop: Header=BB12_228 Depth=2
	s_or_b64 exec, exec, s[52:53]
	s_trap 2
	ds_read_b64 v[6:7], v0
	v_accvgpr_read_b32 v8, a14
	v_accvgpr_read_b32 v0, a22
	v_accvgpr_read_b32 v9, a15
	v_add_co_u32_e32 v8, vcc, v8, v0
	v_addc_co_u32_e32 v9, vcc, 0, v9, vcc
	v_accvgpr_write_b32 a15, v9
	v_accvgpr_write_b32 a14, v8
	s_waitcnt lgkmcnt(0)
	v_cmp_lt_u64_e32 vcc, v[6:7], v[8:9]
	s_and_saveexec_b64 s[52:53], vcc
	s_cbranch_execz .LBB12_264
; %bb.256:                              ;   in Loop: Header=BB12_228 Depth=2
	s_mov_b32 s64, 0
	s_mov_b64 s[54:55], 0
                                        ; implicit-def: $sgpr56_sgpr57
                                        ; implicit-def: $sgpr58_sgpr59
	s_branch .LBB12_258
.LBB12_257:                             ;   in Loop: Header=BB12_258 Depth=3
	s_or_b64 exec, exec, s[62:63]
	s_and_b64 vcc, exec, vcc
	s_or_b64 s[54:55], vcc, s[54:55]
	s_andn2_b64 vcc, s[56:57], exec
	s_and_b64 s[56:57], s[58:59], exec
	s_or_b64 s[56:57], vcc, s[56:57]
	s_andn2_b64 exec, exec, s[54:55]
	s_cbranch_execz .LBB12_262
.LBB12_258:                             ;   Parent Loop BB12_47 Depth=1
                                        ;     Parent Loop BB12_228 Depth=2
                                        ; =>    This Inner Loop Header: Depth=3
	s_add_i32 s64, s64, 1
	s_cmpk_lg_i32 s64, 0x2710
	s_cselect_b64 s[60:61], -1, 0
	s_and_b64 vcc, exec, s[60:61]
                                        ; implicit-def: $sgpr62_sgpr63
	s_cbranch_vccnz .LBB12_260
; %bb.259:                              ;   in Loop: Header=BB12_258 Depth=3
	s_trap 2
	ds_read_b64 v[6:7], v0
	s_andn2_b64 s[60:61], s[60:61], exec
	s_mov_b32 s64, 0
	s_mov_b64 s[62:63], -1
	s_waitcnt lgkmcnt(0)
	flat_load_dword v0, v[6:7] glc
	s_waitcnt vmcnt(0) lgkmcnt(0)
	buffer_invl2
	buffer_wbinvl1_vol
	v_cmp_eq_u32_e32 vcc, 0, v0
	s_and_b64 vcc, vcc, exec
	s_or_b64 s[60:61], s[60:61], vcc
.LBB12_260:                             ;   in Loop: Header=BB12_258 Depth=3
	s_andn2_b64 s[58:59], s[58:59], exec
	s_and_b64 s[62:63], s[62:63], exec
	s_mov_b64 vcc, -1
	s_or_b64 s[58:59], s[58:59], s[62:63]
	s_and_saveexec_b64 s[62:63], s[60:61]
	s_cbranch_execz .LBB12_257
; %bb.261:                              ;   in Loop: Header=BB12_258 Depth=3
	s_sleep 1
	s_trap 2
	ds_read_b64 v[6:7], v0
	v_accvgpr_read_b32 v8, a14
	v_accvgpr_read_b32 v9, a15
	s_andn2_b64 s[58:59], s[58:59], exec
	s_waitcnt lgkmcnt(0)
	v_cmp_ge_u64_e32 vcc, v[6:7], v[8:9]
	s_orn2_b64 vcc, vcc, exec
	s_branch .LBB12_257
.LBB12_262:                             ;   in Loop: Header=BB12_228 Depth=2
	s_or_b64 exec, exec, s[54:55]
	s_and_saveexec_b64 vcc, s[56:57]
	s_xor_b64 vcc, exec, vcc
	s_cbranch_execz .LBB12_264
; %bb.263:                              ;   in Loop: Header=BB12_228 Depth=2
	v_mov_b32_e32 v0, 1
	ds_write_b32 v0, v0
	s_trap 2
.LBB12_264:                             ;   in Loop: Header=BB12_228 Depth=2
	s_or_b64 exec, exec, s[52:53]
	;;#ASMSTART
	s_wakeup
	;;#ASMEND
.LBB12_265:                             ;   in Loop: Header=BB12_228 Depth=2
	s_or_b64 exec, exec, s[36:37]
.LBB12_266:                             ;   in Loop: Header=BB12_228 Depth=2
	s_andn2_saveexec_b64 vcc, s[34:35]
	s_cbranch_execz .LBB12_268
; %bb.267:                              ;   in Loop: Header=BB12_228 Depth=2
	s_waitcnt vmcnt(0) lgkmcnt(0)
	buffer_wbinvl1_vol
	s_barrier
.LBB12_268:                             ;   in Loop: Header=BB12_228 Depth=2
	s_or_b64 exec, exec, vcc
.LBB12_269:                             ;   in Loop: Header=BB12_228 Depth=2
	s_or_b64 exec, exec, s[26:27]
	v_and_b32_e32 v0, 16, v29
	s_and_saveexec_b64 s[26:27], s[24:25]
	s_xor_b64 s[26:27], exec, s[26:27]
	s_cbranch_execz .LBB12_274
; %bb.270:                              ;   in Loop: Header=BB12_228 Depth=2
	s_trap 2
	ds_read_b32 v3, v0
	v_cmp_lt_i32_e32 vcc, 0, v2
	v_and_b32_e32 v5, 16, v29
	v_and_b32_e32 v0, 16, v29
	s_waitcnt lgkmcnt(0)
	v_readfirstlane_b32 s34, v3
	s_cmp_eq_u32 s34, 0
	s_cselect_b64 s[34:35], -1, 0
	s_and_b64 s[34:35], vcc, s[34:35]
	v_cmp_ne_u32_e32 vcc, 0, v5
	s_and_b64 s[34:35], vcc, s[34:35]
	s_and_saveexec_b64 vcc, s[34:35]
	s_cbranch_execz .LBB12_272
; %bb.271:                              ;   in Loop: Header=BB12_228 Depth=2
	v_mov_b32_e32 v0, 1
	s_waitcnt vmcnt(0)
	buffer_wbinvl1_vol
.LBB12_272:                             ;   in Loop: Header=BB12_228 Depth=2
	s_or_b64 exec, exec, vcc
	s_andn2_saveexec_b64 s[26:27], s[26:27]
	s_cbranch_execnz .LBB12_275
.LBB12_273:                             ;   in Loop: Header=BB12_228 Depth=2
	s_or_b64 exec, exec, s[26:27]
	v_cmp_ne_u32_e32 vcc, 0, v0
	s_and_saveexec_b64 s[26:27], vcc
	s_cbranch_execz .LBB12_227
	s_branch .LBB12_293
.LBB12_274:                             ;   in Loop: Header=BB12_228 Depth=2
	s_andn2_saveexec_b64 s[26:27], s[26:27]
	s_cbranch_execz .LBB12_273
.LBB12_275:                             ;   in Loop: Header=BB12_228 Depth=2
	s_and_saveexec_b64 vcc, s[44:45]
	s_xor_b64 s[34:35], exec, vcc
	s_cbranch_execz .LBB12_290
; %bb.276:                              ;   in Loop: Header=BB12_228 Depth=2
	s_and_saveexec_b64 s[36:37], s[16:17]
	s_cbranch_execz .LBB12_289
; %bb.277:                              ;   in Loop: Header=BB12_228 Depth=2
	s_mov_b64 s[54:55], exec
	v_mbcnt_lo_u32_b32 v3, s54, 0
	v_mbcnt_hi_u32_b32 v3, s55, v3
	v_cmp_eq_u32_e32 vcc, 0, v3
	;;#ASMSTART
	s_waitcnt lgkmcnt(0) vmcnt(0)
	;;#ASMEND
	s_and_saveexec_b64 s[52:53], vcc
	s_cbranch_execz .LBB12_279
; %bb.278:                              ;   in Loop: Header=BB12_228 Depth=2
	s_bcnt1_i32_b64 vcc_lo, s[54:55]
	v_mov_b32_e32 v6, vcc_lo
	v_mov_b32_e32 v7, v42
	ds_add_u64 v0, v[6:7]
	s_trap 2
.LBB12_279:                             ;   in Loop: Header=BB12_228 Depth=2
	s_or_b64 exec, exec, s[52:53]
	s_trap 2
	ds_read_b64 v[6:7], v0
	v_accvgpr_read_b32 v8, a14
	v_accvgpr_read_b32 v10, a22
	v_accvgpr_read_b32 v9, a15
	v_add_co_u32_e32 v8, vcc, v8, v10
	v_addc_co_u32_e32 v9, vcc, 0, v9, vcc
	v_accvgpr_write_b32 a15, v9
	v_accvgpr_write_b32 a14, v8
	s_waitcnt lgkmcnt(0)
	v_cmp_lt_u64_e32 vcc, v[6:7], v[8:9]
	s_and_saveexec_b64 s[52:53], vcc
	s_cbranch_execz .LBB12_288
; %bb.280:                              ;   in Loop: Header=BB12_228 Depth=2
	s_mov_b32 s64, 0
	s_mov_b64 s[54:55], 0
                                        ; implicit-def: $sgpr56_sgpr57
                                        ; implicit-def: $sgpr58_sgpr59
	s_branch .LBB12_282
.LBB12_281:                             ;   in Loop: Header=BB12_282 Depth=3
	s_or_b64 exec, exec, s[62:63]
	s_and_b64 vcc, exec, vcc
	s_or_b64 s[54:55], vcc, s[54:55]
	s_andn2_b64 vcc, s[56:57], exec
	s_and_b64 s[56:57], s[58:59], exec
	s_or_b64 s[56:57], vcc, s[56:57]
	s_andn2_b64 exec, exec, s[54:55]
	s_cbranch_execz .LBB12_286
.LBB12_282:                             ;   Parent Loop BB12_47 Depth=1
                                        ;     Parent Loop BB12_228 Depth=2
                                        ; =>    This Inner Loop Header: Depth=3
	s_add_i32 s64, s64, 1
	s_cmpk_lg_i32 s64, 0x2710
	s_cselect_b64 s[60:61], -1, 0
	s_and_b64 vcc, exec, s[60:61]
                                        ; implicit-def: $sgpr62_sgpr63
	s_cbranch_vccnz .LBB12_284
; %bb.283:                              ;   in Loop: Header=BB12_282 Depth=3
	s_trap 2
	ds_read_b64 v[6:7], v0
	s_andn2_b64 s[60:61], s[60:61], exec
	s_mov_b32 s64, 0
	s_mov_b64 s[62:63], -1
	s_waitcnt vmcnt(0) lgkmcnt(0)
	flat_load_dword v3, v[6:7] glc
	s_waitcnt vmcnt(0) lgkmcnt(0)
	buffer_invl2
	buffer_wbinvl1_vol
	v_cmp_eq_u32_e32 vcc, 0, v3
	s_and_b64 vcc, vcc, exec
	s_or_b64 s[60:61], s[60:61], vcc
.LBB12_284:                             ;   in Loop: Header=BB12_282 Depth=3
	s_andn2_b64 s[58:59], s[58:59], exec
	s_and_b64 s[62:63], s[62:63], exec
	s_mov_b64 vcc, -1
	s_or_b64 s[58:59], s[58:59], s[62:63]
	s_and_saveexec_b64 s[62:63], s[60:61]
	s_cbranch_execz .LBB12_281
; %bb.285:                              ;   in Loop: Header=BB12_282 Depth=3
	s_sleep 1
	s_trap 2
	ds_read_b64 v[6:7], v0
	v_accvgpr_read_b32 v8, a14
	v_accvgpr_read_b32 v9, a15
	s_andn2_b64 s[58:59], s[58:59], exec
	s_waitcnt lgkmcnt(0)
	v_cmp_ge_u64_e32 vcc, v[6:7], v[8:9]
	s_orn2_b64 vcc, vcc, exec
	s_branch .LBB12_281
.LBB12_286:                             ;   in Loop: Header=BB12_228 Depth=2
	s_or_b64 exec, exec, s[54:55]
	s_and_saveexec_b64 vcc, s[56:57]
	s_xor_b64 vcc, exec, vcc
	s_cbranch_execz .LBB12_288
; %bb.287:                              ;   in Loop: Header=BB12_228 Depth=2
	v_mov_b32_e32 v3, 1
	ds_write_b32 v0, v3
	s_trap 2
.LBB12_288:                             ;   in Loop: Header=BB12_228 Depth=2
	s_or_b64 exec, exec, s[52:53]
	;;#ASMSTART
	s_wakeup
	;;#ASMEND
.LBB12_289:                             ;   in Loop: Header=BB12_228 Depth=2
	s_or_b64 exec, exec, s[36:37]
.LBB12_290:                             ;   in Loop: Header=BB12_228 Depth=2
	s_andn2_saveexec_b64 vcc, s[34:35]
	s_cbranch_execz .LBB12_292
; %bb.291:                              ;   in Loop: Header=BB12_228 Depth=2
	;;#ASMSTART
	s_waitcnt lgkmcnt(0) vmcnt(0)
	;;#ASMEND
	s_barrier
.LBB12_292:                             ;   in Loop: Header=BB12_228 Depth=2
	s_or_b64 exec, exec, vcc
	s_or_b64 exec, exec, s[26:27]
	v_cmp_ne_u32_e32 vcc, 0, v0
	s_and_saveexec_b64 s[26:27], vcc
	s_cbranch_execz .LBB12_227
.LBB12_293:                             ;   in Loop: Header=BB12_228 Depth=2
	s_and_saveexec_b64 vcc, s[14:15]
	s_cbranch_execz .LBB12_226
; %bb.294:                              ;   in Loop: Header=BB12_228 Depth=2
	v_accvgpr_read_b32 v6, a20
	v_accvgpr_read_b32 v7, a21
	v_mov_b32_e32 v0, 1
	flat_store_dword v[6:7], v0
	s_branch .LBB12_226
.LBB12_295:                             ;   in Loop: Header=BB12_47 Depth=1
	s_or_b64 exec, exec, s[30:31]
.LBB12_296:                             ;   in Loop: Header=BB12_47 Depth=1
	s_or_b64 exec, exec, s[28:29]
	v_cndmask_b32_e64 v0, 0, 1, s[46:47]
	v_cmp_ne_u32_e64 s[26:27], 1, v0
	s_andn2_b64 vcc, exec, s[46:47]
	s_cbranch_vccnz .LBB12_952
; %bb.297:                              ;   in Loop: Header=BB12_47 Depth=1
	s_mov_b32 s95, 2
	s_branch .LBB12_300
.LBB12_298:                             ;   in Loop: Header=BB12_300 Depth=2
	s_or_b64 exec, exec, s[34:35]
.LBB12_299:                             ;   in Loop: Header=BB12_300 Depth=2
	s_or_b64 exec, exec, s[30:31]
	s_add_i32 s95, s95, 1
	s_cmp_eq_u32 s95, s76
	s_cbranch_scc1 .LBB12_952
.LBB12_300:                             ;   Parent Loop BB12_47 Depth=1
                                        ; =>  This Loop Header: Depth=2
                                        ;       Child Loop BB12_303 Depth 3
                                        ;         Child Loop BB12_311 Depth 4
                                        ;         Child Loop BB12_339 Depth 4
	;; [unrolled: 1-line block ×5, first 2 shown]
                                        ;           Child Loop BB12_585 Depth 5
                                        ;           Child Loop BB12_622 Depth 5
                                        ;         Child Loop BB12_699 Depth 4
                                        ;         Child Loop BB12_806 Depth 4
                                        ;           Child Loop BB12_807 Depth 5
                                        ;           Child Loop BB12_816 Depth 5
                                        ;         Child Loop BB12_838 Depth 4
                                        ;         Child Loop BB12_861 Depth 4
                                        ;       Child Loop BB12_880 Depth 3
                                        ;         Child Loop BB12_886 Depth 4
                                        ;         Child Loop BB12_926 Depth 4
	;; [unrolled: 1-line block ×3, first 2 shown]
	s_sub_i32 s28, s83, s95
	s_cmp_le_i32 s76, s28
	s_cselect_b32 s29, s76, 0
	s_sub_i32 s28, s28, s29
	v_accvgpr_read_b32 v6, a56
	s_ashr_i32 s29, s28, 31
	v_accvgpr_read_b32 v7, a57
	v_mul_lo_u32 v0, v6, s29
	v_mul_lo_u32 v4, v7, s28
	v_mad_u64_u32 v[2:3], s[28:29], v6, s28, 0
	v_add3_u32 v3, v3, v0, v4
	v_accvgpr_read_b32 v4, a58
	v_accvgpr_read_b32 v5, a59
	v_sub_co_u32_e32 v4, vcc, v4, v2
	v_subb_co_u32_e32 v5, vcc, v5, v3, vcc
	v_cmp_lt_i64_e32 vcc, v[6:7], v[4:5]
	v_cndmask_b32_e32 v0, v4, v6, vcc
	v_max_i32_e32 v24, 0, v0
	v_add_u32_e32 v4, 31, v24
	v_lshrrev_b32_e32 v4, 1, v4
	v_and_b32_e32 v4, 0x3ffffff0, v4
	v_cmp_lt_i32_e32 vcc, 0, v0
	s_waitcnt lgkmcnt(0)
	v_max_i32_e32 v52, s86, v4
	s_and_b64 s[28:29], s[50:51], vcc
	v_mov_b32_e32 v0, 0
	v_mov_b32_e32 v54, 0
	s_and_saveexec_b64 s[52:53], s[28:29]
	s_cbranch_execz .LBB12_877
; %bb.301:                              ;   in Loop: Header=BB12_300 Depth=2
	v_lshlrev_b64 v[2:3], 1, v[2:3]
	v_accvgpr_write_b32 a11, v3
	s_mov_b32 s96, 1
	s_mov_b64 s[56:57], -1
	s_mov_b64 s[54:55], 0
	v_mov_b32_e32 v54, 0
	v_accvgpr_write_b32 a10, v2
	v_accvgpr_write_b32 a8, v24
	s_branch .LBB12_303
.LBB12_302:                             ;   in Loop: Header=BB12_303 Depth=3
	s_or_b64 exec, exec, s[28:29]
	v_add_u32_e32 v54, v52, v54
	v_cmp_ge_i32_e32 vcc, v54, v24
	s_xor_b64 s[28:29], s[56:57], -1
	s_or_b64 s[28:29], s[28:29], vcc
	s_and_b64 s[28:29], exec, s[28:29]
	s_or_b64 s[54:55], s[28:29], s[54:55]
	s_mov_b64 s[56:57], 0
	v_mov_b32_e32 v0, s96
	s_mov_b32 s96, 2
	s_andn2_b64 exec, exec, s[54:55]
	s_cbranch_execz .LBB12_876
.LBB12_303:                             ;   Parent Loop BB12_47 Depth=1
                                        ;     Parent Loop BB12_300 Depth=2
                                        ; =>    This Loop Header: Depth=3
                                        ;         Child Loop BB12_311 Depth 4
                                        ;         Child Loop BB12_339 Depth 4
	;; [unrolled: 1-line block ×5, first 2 shown]
                                        ;           Child Loop BB12_585 Depth 5
                                        ;           Child Loop BB12_622 Depth 5
                                        ;         Child Loop BB12_699 Depth 4
                                        ;         Child Loop BB12_806 Depth 4
                                        ;           Child Loop BB12_807 Depth 5
                                        ;           Child Loop BB12_816 Depth 5
                                        ;         Child Loop BB12_838 Depth 4
                                        ;         Child Loop BB12_861 Depth 4
	s_and_saveexec_b64 s[28:29], s[4:5]
	s_cbranch_execz .LBB12_305
; %bb.304:                              ;   in Loop: Header=BB12_303 Depth=3
	s_trap 2
	ds_read_b64 v[2:3], v0
	v_accvgpr_read_b32 v4, a60
	v_accvgpr_read_b32 v5, a61
	v_lshlrev_b64 v[4:5], 1, v[4:5]
	v_ashrrev_i32_e32 v55, 31, v54
	s_waitcnt lgkmcnt(0)
	v_add_co_u32_e32 v0, vcc, v2, v4
	v_addc_co_u32_e32 v2, vcc, v3, v5, vcc
	v_accvgpr_read_b32 v4, a10
	v_accvgpr_read_b32 v5, a11
	v_add_co_u32_e32 v0, vcc, v0, v4
	v_addc_co_u32_e32 v4, vcc, v2, v5, vcc
	v_lshlrev_b64 v[2:3], 1, v[54:55]
	v_add_co_u32_e32 v2, vcc, v0, v2
	v_addc_co_u32_e32 v3, vcc, v4, v3, vcc
	v_mov_b32_e32 v43, v42
	ds_write_b64 v0, v[2:3]
	ds_write_b64 v0, v[42:43]
.LBB12_305:                             ;   in Loop: Header=BB12_303 Depth=3
	s_or_b64 exec, exec, s[28:29]
	v_and_b32_e32 v0, 12, v29
	v_cmp_ne_u32_e32 vcc, 0, v0
	s_mov_b64 s[30:31], -1
	s_and_saveexec_b64 s[28:29], vcc
	s_cbranch_execz .LBB12_317
; %bb.306:                              ;   in Loop: Header=BB12_303 Depth=3
	v_and_b32_e32 v0, 8, v29
	v_add_co_u32_e32 v4, vcc, v60, v0
	v_addc_co_u32_e32 v5, vcc, 0, v61, vcc
	v_add_co_u32_e32 v2, vcc, 2, v44
	v_addc_co_u32_e32 v3, vcc, 0, v45, vcc
	v_cmp_lt_u64_e32 vcc, v[4:5], v[2:3]
	v_mov_b32_e32 v4, 1
	s_and_saveexec_b64 s[30:31], vcc
	s_cbranch_execz .LBB12_316
; %bb.307:                              ;   in Loop: Header=BB12_303 Depth=3
	s_mov_b64 s[34:35], 0
	v_mov_b32_e32 v4, 0
                                        ; implicit-def: $sgpr36_sgpr37
	s_branch .LBB12_311
.LBB12_308:                             ;   in Loop: Header=BB12_311 Depth=4
	s_or_b64 exec, exec, s[64:65]
	v_mov_b32_e32 v5, 0
	s_orn2_b64 s[62:63], s[62:63], exec
.LBB12_309:                             ;   in Loop: Header=BB12_311 Depth=4
	s_or_b64 exec, exec, s[60:61]
	s_andn2_b64 vcc, s[36:37], exec
	s_and_b64 s[36:37], s[62:63], exec
	s_or_b64 s[36:37], vcc, s[36:37]
	v_mov_b32_e32 v4, v5
.LBB12_310:                             ;   in Loop: Header=BB12_311 Depth=4
	s_or_b64 exec, exec, s[58:59]
	s_waitcnt vmcnt(0) lgkmcnt(0)
	v_add_co_u32_e32 v6, vcc, v60, v0
	v_addc_co_u32_e32 v7, vcc, 0, v61, vcc
	v_cmp_ge_u64_e32 vcc, v[6:7], v[2:3]
	s_xor_b64 s[58:59], s[36:37], -1
	s_or_b64 vcc, s[58:59], vcc
	s_and_b64 vcc, exec, vcc
	s_or_b64 s[34:35], vcc, s[34:35]
	s_andn2_b64 exec, exec, s[34:35]
	s_cbranch_execz .LBB12_315
.LBB12_311:                             ;   Parent Loop BB12_47 Depth=1
                                        ;     Parent Loop BB12_300 Depth=2
                                        ;       Parent Loop BB12_303 Depth=3
                                        ; =>      This Inner Loop Header: Depth=4
	s_sleep 1
	flat_load_dwordx2 v[60:61], v[46:47] glc
	v_and_b32_e32 v5, 64, v29
	v_cmp_eq_u32_e32 vcc, 0, v5
	s_andn2_b64 s[36:37], s[36:37], exec
	s_and_saveexec_b64 s[58:59], vcc
	s_cbranch_execz .LBB12_310
; %bb.312:                              ;   in Loop: Header=BB12_311 Depth=4
	v_add_u32_e32 v5, 1, v4
	v_cmp_lt_i32_e32 vcc, s90, v4
	s_mov_b64 s[62:63], -1
	s_and_saveexec_b64 s[60:61], vcc
	s_cbranch_execz .LBB12_309
; %bb.313:                              ;   in Loop: Header=BB12_311 Depth=4
	s_trap 2
	ds_read_b64 v[4:5], v0
	s_waitcnt vmcnt(0) lgkmcnt(0)
	flat_load_dword v4, v[4:5] glc
	s_waitcnt vmcnt(0) lgkmcnt(0)
	buffer_invl2
	buffer_wbinvl1_vol
	v_cmp_ne_u32_e32 vcc, 0, v4
	s_and_saveexec_b64 s[64:65], vcc
	s_cbranch_execz .LBB12_308
; %bb.314:                              ;   in Loop: Header=BB12_311 Depth=4
	v_or_b32_e32 v29, 64, v29
	s_xor_b64 s[62:63], exec, -1
	ds_write_b32 v0, v4
	s_trap 2
	s_branch .LBB12_308
.LBB12_315:                             ;   in Loop: Header=BB12_303 Depth=3
	s_or_b64 exec, exec, s[34:35]
	v_and_b32_e32 v4, 12, v29
.LBB12_316:                             ;   in Loop: Header=BB12_303 Depth=3
	s_or_b64 exec, exec, s[30:31]
	v_cmp_eq_u32_e32 vcc, 0, v4
	s_orn2_b64 s[30:31], vcc, exec
	;;#ASMSTART
	s_wakeup
	;;#ASMEND
.LBB12_317:                             ;   in Loop: Header=BB12_303 Depth=3
	s_or_b64 exec, exec, s[28:29]
	v_sub_u32_e32 v0, v24, v54
	s_xor_b64 s[28:29], s[30:31], -1
	v_min_i32_e32 v52, v52, v0
	s_and_saveexec_b64 s[30:31], s[28:29]
	s_cbranch_execz .LBB12_331
; %bb.318:                              ;   in Loop: Header=BB12_303 Depth=3
	v_and_b32_e32 v0, 0x108, v29
	v_cmp_ne_u32_e32 vcc, s91, v0
	v_and_b32_e32 v0, 7, v44
	s_and_saveexec_b64 s[28:29], vcc
	s_xor_b64 s[28:29], exec, s[28:29]
                                        ; implicit-def: $vgpr2_vgpr3
; %bb.319:                              ;   in Loop: Header=BB12_303 Depth=3
	v_mov_b32_e32 v3, v42
; %bb.320:                              ;   in Loop: Header=BB12_303 Depth=3
	s_andn2_saveexec_b64 s[28:29], s[28:29]
	s_cbranch_execz .LBB12_322
; %bb.321:                              ;   in Loop: Header=BB12_303 Depth=3
	v_accvgpr_read_b32 v4, a12
	v_accvgpr_read_b32 v5, a13
	v_ashrrev_i32_e32 v53, 31, v52
	v_mov_b32_e32 v3, v42
	v_mad_u64_u32 v[4:5], vcc, v0, 24, v[4:5]
	v_lshlrev_b64 v[6:7], 1, v[52:53]
	flat_store_dwordx2 v[4:5], v[6:7] offset:8
.LBB12_322:                             ;   in Loop: Header=BB12_303 Depth=3
	s_or_b64 exec, exec, s[28:29]
	v_and_b32_e32 v2, 0x100, v29
	v_cmp_ne_u32_e32 vcc, 0, v2
	s_mov_b64 s[28:29], -1
                                        ; implicit-def: $vgpr4_vgpr5
	s_and_saveexec_b64 s[34:35], vcc
	s_cbranch_execz .LBB12_326
; %bb.323:                              ;   in Loop: Header=BB12_303 Depth=3
	v_accvgpr_read_b32 v4, a12
	v_accvgpr_read_b32 v5, a13
	v_mad_u64_u32 v[6:7], s[28:29], v0, 24, v[4:5]
	v_mov_b32_e32 v2, v7
	v_mad_u64_u32 v[4:5], s[28:29], v3, 24, v[2:3]
	v_mov_b32_e32 v7, v4
	flat_load_dword v2, v[6:7]
                                        ; implicit-def: $vgpr4_vgpr5
	s_waitcnt vmcnt(0) lgkmcnt(0)
	v_cmp_ne_u32_e32 vcc, 1, v2
	v_cmp_eq_u32_e64 s[28:29], 1, v2
	s_and_saveexec_b64 s[36:37], s[28:29]
	s_cbranch_execz .LBB12_325
; %bb.324:                              ;   in Loop: Header=BB12_303 Depth=3
	flat_load_dword v4, v[6:7] offset:4 glc
	s_waitcnt vmcnt(0) lgkmcnt(0)
	v_ashrrev_i32_e32 v5, 31, v4
	v_lshrrev_b64 v[4:5], 1, v[4:5]
.LBB12_325:                             ;   in Loop: Header=BB12_303 Depth=3
	s_or_b64 exec, exec, s[36:37]
	s_orn2_b64 s[28:29], vcc, exec
.LBB12_326:                             ;   in Loop: Header=BB12_303 Depth=3
	s_or_b64 exec, exec, s[34:35]
	s_and_saveexec_b64 vcc, s[28:29]
; %bb.327:                              ;   in Loop: Header=BB12_303 Depth=3
	v_accvgpr_read_b32 v4, a16
	v_mul_lo_u32 v2, v3, v4
	v_accvgpr_read_b32 v3, a3
	v_mul_lo_u32 v3, v0, v3
	v_mad_u64_u32 v[4:5], s[28:29], v0, v4, 0
	v_add3_u32 v5, v5, v3, v2
; %bb.328:                              ;   in Loop: Header=BB12_303 Depth=3
	s_or_b64 exec, exec, vcc
	v_lshlrev_b64 v[2:3], 1, v[4:5]
	v_accvgpr_read_b32 v4, a18
	v_accvgpr_read_b32 v5, a19
	v_add_co_u32_e32 v2, vcc, v4, v2
	v_addc_co_u32_e32 v3, vcc, v5, v3, vcc
	s_trap 2
	ds_write_b64 v0, v[2:3]
	v_and_b32_e32 v0, 0x2000, v29
	v_cmp_ne_u32_e32 vcc, 0, v0
	s_and_saveexec_b64 s[28:29], vcc
	s_cbranch_execz .LBB12_330
; %bb.329:                              ;   in Loop: Header=BB12_303 Depth=3
	ds_read_b64 v[2:3], v0 offset:584
	s_waitcnt lgkmcnt(0)
	v_add_co_u32_e32 v2, vcc, 1, v2
	v_addc_co_u32_e32 v3, vcc, 0, v3, vcc
	ds_write_b64 v0, v[2:3] offset:584
.LBB12_330:                             ;   in Loop: Header=BB12_303 Depth=3
	s_or_b64 exec, exec, s[28:29]
	v_add_co_u32_e32 v44, vcc, 2, v44
	v_addc_co_u32_e32 v45, vcc, 0, v45, vcc
.LBB12_331:                             ;   in Loop: Header=BB12_303 Depth=3
	s_or_b64 exec, exec, s[30:31]
	s_and_saveexec_b64 s[28:29], s[10:11]
	s_cbranch_execz .LBB12_350
; %bb.332:                              ;   in Loop: Header=BB12_303 Depth=3
	s_and_saveexec_b64 vcc, s[44:45]
	s_xor_b64 s[30:31], exec, vcc
	s_cbranch_execz .LBB12_347
; %bb.333:                              ;   in Loop: Header=BB12_303 Depth=3
	s_and_saveexec_b64 s[34:35], s[16:17]
	s_cbranch_execz .LBB12_346
; %bb.334:                              ;   in Loop: Header=BB12_303 Depth=3
	s_mov_b64 s[58:59], exec
	v_mbcnt_lo_u32_b32 v0, s58, 0
	v_mbcnt_hi_u32_b32 v0, s59, v0
	v_cmp_eq_u32_e32 vcc, 0, v0
	s_waitcnt vmcnt(0) lgkmcnt(0)
	buffer_wbinvl1_vol
	s_and_saveexec_b64 s[36:37], vcc
	s_cbranch_execz .LBB12_336
; %bb.335:                              ;   in Loop: Header=BB12_303 Depth=3
	s_bcnt1_i32_b64 vcc_lo, s[58:59]
	v_mov_b32_e32 v2, vcc_lo
	v_mov_b32_e32 v3, v42
	ds_add_u64 v0, v[2:3]
	s_trap 2
.LBB12_336:                             ;   in Loop: Header=BB12_303 Depth=3
	s_or_b64 exec, exec, s[36:37]
	s_trap 2
	ds_read_b64 v[2:3], v0
	v_accvgpr_read_b32 v4, a14
	v_accvgpr_read_b32 v0, a22
	v_accvgpr_read_b32 v5, a15
	v_add_co_u32_e32 v4, vcc, v4, v0
	v_addc_co_u32_e32 v5, vcc, 0, v5, vcc
	v_accvgpr_write_b32 a15, v5
	v_accvgpr_write_b32 a14, v4
	s_waitcnt lgkmcnt(0)
	v_cmp_lt_u64_e32 vcc, v[2:3], v[4:5]
	s_and_saveexec_b64 s[36:37], vcc
	s_cbranch_execz .LBB12_345
; %bb.337:                              ;   in Loop: Header=BB12_303 Depth=3
	s_mov_b32 s68, 0
	s_mov_b64 s[58:59], 0
                                        ; implicit-def: $sgpr60_sgpr61
                                        ; implicit-def: $sgpr62_sgpr63
	s_branch .LBB12_339
.LBB12_338:                             ;   in Loop: Header=BB12_339 Depth=4
	s_or_b64 exec, exec, s[66:67]
	s_and_b64 vcc, exec, vcc
	s_or_b64 s[58:59], vcc, s[58:59]
	s_andn2_b64 vcc, s[60:61], exec
	s_and_b64 s[60:61], s[62:63], exec
	s_or_b64 s[60:61], vcc, s[60:61]
	s_andn2_b64 exec, exec, s[58:59]
	s_cbranch_execz .LBB12_343
.LBB12_339:                             ;   Parent Loop BB12_47 Depth=1
                                        ;     Parent Loop BB12_300 Depth=2
                                        ;       Parent Loop BB12_303 Depth=3
                                        ; =>      This Inner Loop Header: Depth=4
	s_add_i32 s68, s68, 1
	s_cmpk_lg_i32 s68, 0x2710
	s_cselect_b64 s[64:65], -1, 0
	s_and_b64 vcc, exec, s[64:65]
                                        ; implicit-def: $sgpr66_sgpr67
	s_cbranch_vccnz .LBB12_341
; %bb.340:                              ;   in Loop: Header=BB12_339 Depth=4
	s_trap 2
	ds_read_b64 v[2:3], v0
	s_andn2_b64 s[64:65], s[64:65], exec
	s_mov_b32 s68, 0
	s_mov_b64 s[66:67], -1
	s_waitcnt lgkmcnt(0)
	flat_load_dword v0, v[2:3] glc
	s_waitcnt vmcnt(0) lgkmcnt(0)
	buffer_invl2
	buffer_wbinvl1_vol
	v_cmp_eq_u32_e32 vcc, 0, v0
	s_and_b64 vcc, vcc, exec
	s_or_b64 s[64:65], s[64:65], vcc
.LBB12_341:                             ;   in Loop: Header=BB12_339 Depth=4
	s_andn2_b64 s[62:63], s[62:63], exec
	s_and_b64 s[66:67], s[66:67], exec
	s_mov_b64 vcc, -1
	s_or_b64 s[62:63], s[62:63], s[66:67]
	s_and_saveexec_b64 s[66:67], s[64:65]
	s_cbranch_execz .LBB12_338
; %bb.342:                              ;   in Loop: Header=BB12_339 Depth=4
	s_sleep 1
	s_trap 2
	ds_read_b64 v[2:3], v0
	v_accvgpr_read_b32 v4, a14
	v_accvgpr_read_b32 v5, a15
	s_andn2_b64 s[62:63], s[62:63], exec
	s_waitcnt lgkmcnt(0)
	v_cmp_ge_u64_e32 vcc, v[2:3], v[4:5]
	s_orn2_b64 vcc, vcc, exec
	s_branch .LBB12_338
.LBB12_343:                             ;   in Loop: Header=BB12_303 Depth=3
	s_or_b64 exec, exec, s[58:59]
	s_and_saveexec_b64 vcc, s[60:61]
	s_xor_b64 vcc, exec, vcc
	s_cbranch_execz .LBB12_345
; %bb.344:                              ;   in Loop: Header=BB12_303 Depth=3
	v_mov_b32_e32 v0, 1
	ds_write_b32 v0, v0
	s_trap 2
.LBB12_345:                             ;   in Loop: Header=BB12_303 Depth=3
	s_or_b64 exec, exec, s[36:37]
	;;#ASMSTART
	s_wakeup
	;;#ASMEND
.LBB12_346:                             ;   in Loop: Header=BB12_303 Depth=3
	s_or_b64 exec, exec, s[34:35]
.LBB12_347:                             ;   in Loop: Header=BB12_303 Depth=3
	s_andn2_saveexec_b64 vcc, s[30:31]
	s_cbranch_execz .LBB12_349
; %bb.348:                              ;   in Loop: Header=BB12_303 Depth=3
	s_waitcnt vmcnt(0) lgkmcnt(0)
	buffer_wbinvl1_vol
	s_barrier
.LBB12_349:                             ;   in Loop: Header=BB12_303 Depth=3
	s_or_b64 exec, exec, vcc
.LBB12_350:                             ;   in Loop: Header=BB12_303 Depth=3
	s_or_b64 exec, exec, s[28:29]
	s_trap 2
	ds_read_b32 v0, v0
	v_and_b32_e32 v2, 0x4000, v29
	v_cmp_ne_u32_e32 vcc, 0, v2
	s_xor_b64 s[28:29], s[6:7], -1
	s_and_b64 vcc, s[28:29], vcc
	s_and_saveexec_b64 s[28:29], vcc
	s_cbranch_execz .LBB12_369
; %bb.351:                              ;   in Loop: Header=BB12_303 Depth=3
	s_and_saveexec_b64 vcc, s[44:45]
	s_xor_b64 s[30:31], exec, vcc
	s_cbranch_execz .LBB12_366
; %bb.352:                              ;   in Loop: Header=BB12_303 Depth=3
	s_and_saveexec_b64 s[34:35], s[16:17]
	s_cbranch_execz .LBB12_365
; %bb.353:                              ;   in Loop: Header=BB12_303 Depth=3
	s_mov_b64 s[58:59], exec
	v_mbcnt_lo_u32_b32 v2, s58, 0
	v_mbcnt_hi_u32_b32 v2, s59, v2
	v_cmp_eq_u32_e32 vcc, 0, v2
	s_waitcnt vmcnt(0) lgkmcnt(0)
	buffer_wbinvl1_vol
	s_and_saveexec_b64 s[36:37], vcc
	s_cbranch_execz .LBB12_355
; %bb.354:                              ;   in Loop: Header=BB12_303 Depth=3
	s_bcnt1_i32_b64 vcc_lo, s[58:59]
	v_mov_b32_e32 v2, vcc_lo
	v_mov_b32_e32 v3, v42
	ds_add_u64 v0, v[2:3]
	s_trap 2
.LBB12_355:                             ;   in Loop: Header=BB12_303 Depth=3
	s_or_b64 exec, exec, s[36:37]
	s_trap 2
	ds_read_b64 v[2:3], v0
	v_accvgpr_read_b32 v4, a14
	v_accvgpr_read_b32 v6, a22
	v_accvgpr_read_b32 v5, a15
	v_add_co_u32_e32 v4, vcc, v4, v6
	v_addc_co_u32_e32 v5, vcc, 0, v5, vcc
	v_accvgpr_write_b32 a15, v5
	v_accvgpr_write_b32 a14, v4
	s_waitcnt lgkmcnt(0)
	v_cmp_lt_u64_e32 vcc, v[2:3], v[4:5]
	s_and_saveexec_b64 s[36:37], vcc
	s_cbranch_execz .LBB12_364
; %bb.356:                              ;   in Loop: Header=BB12_303 Depth=3
	s_mov_b32 s68, 0
	s_mov_b64 s[58:59], 0
                                        ; implicit-def: $sgpr60_sgpr61
                                        ; implicit-def: $sgpr62_sgpr63
	s_branch .LBB12_358
.LBB12_357:                             ;   in Loop: Header=BB12_358 Depth=4
	s_or_b64 exec, exec, s[66:67]
	s_and_b64 vcc, exec, vcc
	s_or_b64 s[58:59], vcc, s[58:59]
	s_andn2_b64 vcc, s[60:61], exec
	s_and_b64 s[60:61], s[62:63], exec
	s_or_b64 s[60:61], vcc, s[60:61]
	s_andn2_b64 exec, exec, s[58:59]
	s_cbranch_execz .LBB12_362
.LBB12_358:                             ;   Parent Loop BB12_47 Depth=1
                                        ;     Parent Loop BB12_300 Depth=2
                                        ;       Parent Loop BB12_303 Depth=3
                                        ; =>      This Inner Loop Header: Depth=4
	s_add_i32 s68, s68, 1
	s_cmpk_lg_i32 s68, 0x2710
	s_cselect_b64 s[64:65], -1, 0
	s_and_b64 vcc, exec, s[64:65]
                                        ; implicit-def: $sgpr66_sgpr67
	s_cbranch_vccnz .LBB12_360
; %bb.359:                              ;   in Loop: Header=BB12_358 Depth=4
	s_trap 2
	ds_read_b64 v[2:3], v0
	s_andn2_b64 s[64:65], s[64:65], exec
	s_mov_b32 s68, 0
	s_mov_b64 s[66:67], -1
	s_waitcnt lgkmcnt(0)
	flat_load_dword v2, v[2:3] glc
	s_waitcnt vmcnt(0) lgkmcnt(0)
	buffer_invl2
	buffer_wbinvl1_vol
	v_cmp_eq_u32_e32 vcc, 0, v2
	s_and_b64 vcc, vcc, exec
	s_or_b64 s[64:65], s[64:65], vcc
.LBB12_360:                             ;   in Loop: Header=BB12_358 Depth=4
	s_andn2_b64 s[62:63], s[62:63], exec
	s_and_b64 s[66:67], s[66:67], exec
	s_mov_b64 vcc, -1
	s_or_b64 s[62:63], s[62:63], s[66:67]
	s_and_saveexec_b64 s[66:67], s[64:65]
	s_cbranch_execz .LBB12_357
; %bb.361:                              ;   in Loop: Header=BB12_358 Depth=4
	s_sleep 1
	s_trap 2
	ds_read_b64 v[2:3], v0
	v_accvgpr_read_b32 v4, a14
	v_accvgpr_read_b32 v5, a15
	s_andn2_b64 s[62:63], s[62:63], exec
	s_waitcnt lgkmcnt(0)
	v_cmp_ge_u64_e32 vcc, v[2:3], v[4:5]
	s_orn2_b64 vcc, vcc, exec
	s_branch .LBB12_357
.LBB12_362:                             ;   in Loop: Header=BB12_303 Depth=3
	s_or_b64 exec, exec, s[58:59]
	s_and_saveexec_b64 vcc, s[60:61]
	s_xor_b64 vcc, exec, vcc
	s_cbranch_execz .LBB12_364
; %bb.363:                              ;   in Loop: Header=BB12_303 Depth=3
	v_mov_b32_e32 v2, 1
	ds_write_b32 v0, v2
	s_trap 2
.LBB12_364:                             ;   in Loop: Header=BB12_303 Depth=3
	s_or_b64 exec, exec, s[36:37]
	;;#ASMSTART
	s_wakeup
	;;#ASMEND
.LBB12_365:                             ;   in Loop: Header=BB12_303 Depth=3
	s_or_b64 exec, exec, s[34:35]
.LBB12_366:                             ;   in Loop: Header=BB12_303 Depth=3
	s_andn2_saveexec_b64 vcc, s[30:31]
	s_cbranch_execz .LBB12_368
; %bb.367:                              ;   in Loop: Header=BB12_303 Depth=3
	s_waitcnt vmcnt(0) lgkmcnt(0)
	buffer_wbinvl1_vol
	s_barrier
.LBB12_368:                             ;   in Loop: Header=BB12_303 Depth=3
	s_or_b64 exec, exec, vcc
.LBB12_369:                             ;   in Loop: Header=BB12_303 Depth=3
	s_or_b64 exec, exec, s[28:29]
	s_trap 2
	s_waitcnt lgkmcnt(0)
	ds_read_b64 v[2:3], v0
	v_mov_b32_e32 v53, 0
	s_waitcnt lgkmcnt(0)
	v_readfirstlane_b32 s28, v2
	v_readfirstlane_b32 s29, v3
	s_cmp_eq_u64 s[28:29], 0
	s_cselect_b64 s[28:29], -1, 0
	s_or_b64 s[28:29], s[28:29], s[28:29]
	s_and_b64 vcc, exec, s[28:29]
	s_cbranch_vccnz .LBB12_830
; %bb.370:                              ;   in Loop: Header=BB12_303 Depth=3
	s_trap 2
	ds_read_b64 v[2:3], v0
	s_mov_b64 s[30:31], -1
	s_and_saveexec_b64 s[28:29], s[22:23]
	s_cbranch_execz .LBB12_372
; %bb.371:                              ;   in Loop: Header=BB12_303 Depth=3
	s_waitcnt lgkmcnt(0)
	ds_read_b32 v3, v0 offset:720
	s_waitcnt lgkmcnt(0)
	v_and_b32_e32 v3, 15, v3
	v_cmp_eq_u32_e32 vcc, 0, v3
	s_orn2_b64 s[30:31], vcc, exec
.LBB12_372:                             ;   in Loop: Header=BB12_303 Depth=3
	s_or_b64 exec, exec, s[28:29]
	s_and_saveexec_b64 s[28:29], s[20:21]
	s_cbranch_execz .LBB12_374
; %bb.373:                              ;   in Loop: Header=BB12_303 Depth=3
	s_waitcnt lgkmcnt(0)
	ds_read_b32 v3, v0 offset:784
	s_waitcnt lgkmcnt(0)
	v_and_b32_e32 v3, 15, v3
	v_cmp_eq_u32_e32 vcc, 0, v3
	s_and_b64 vcc, s[30:31], vcc
	s_andn2_b64 s[30:31], s[30:31], exec
	s_and_b64 vcc, vcc, exec
	s_or_b64 s[30:31], s[30:31], vcc
.LBB12_374:                             ;   in Loop: Header=BB12_303 Depth=3
	s_or_b64 exec, exec, s[28:29]
	v_cmp_eq_u32_e32 vcc, 0, v0
	v_cndmask_b32_e32 v53, 0, v52, vcc
	s_xor_b64 vcc, s[30:31], -1
	v_cndmask_b32_e64 v0, 0, 1, vcc
	v_lshlrev_b32_e32 v55, 1, v53
	s_mov_b64 s[28:29], -1
	;;#ASMSTART
	;;#ASMEND
	v_cmp_ne_u32_e32 vcc, 0, v0
	s_waitcnt lgkmcnt(0)
	v_and_b32_e32 v25, 1, v2
	s_cbranch_vccz .LBB12_511
; %bb.375:                              ;   in Loop: Header=BB12_303 Depth=3
	v_and_b32_e32 v10, 1, v2
	s_mov_b64 s[58:59], -1
	s_mov_b32 s30, 0
	s_cbranch_execnz .LBB12_512
.LBB12_376:                             ;   in Loop: Header=BB12_303 Depth=3
	v_ashrrev_i32_e32 v0, 31, v55
	v_lshrrev_b32_e32 v0, 21, v0
	s_trap 2
	ds_read_b64 v[26:27], v0
	v_add_u32_e32 v0, v55, v0
	v_ashrrev_i32_e32 v28, 11, v0
	v_accvgpr_read_b32 v0, a31
	v_sub_u32_e32 v57, v28, v0
	v_accvgpr_read_b32 v0, a44
	s_waitcnt lgkmcnt(0)
	v_add_co_u32_e32 v4, vcc, v26, v0
	v_accvgpr_read_b32 v3, a45
	v_addc_co_u32_e32 v5, vcc, v27, v3, vcc
	v_cmp_lt_i32_e32 vcc, 0, v57
	s_mov_b64 s[28:29], 0
                                        ; implicit-def: $vgpr20_vgpr21
                                        ; implicit-def: $vgpr12_vgpr13
                                        ; implicit-def: $vgpr16_vgpr17
                                        ; implicit-def: $vgpr8_vgpr9
	s_and_saveexec_b64 s[30:31], vcc
	s_cbranch_execz .LBB12_514
; %bb.377:                              ;   in Loop: Header=BB12_303 Depth=3
	s_trap 2
	ds_read_b128 v[6:9], v0
	v_accvgpr_read_b32 v0, a44
	v_accvgpr_read_b32 v3, a45
	v_accvgpr_write_b32 a4, v26
	v_accvgpr_write_b32 a1, v28
	s_waitcnt lgkmcnt(0)
	v_add_co_u32_e32 v30, vcc, v6, v0
	v_addc_co_u32_e32 v31, vcc, v7, v3, vcc
	v_add_co_u32_e32 v6, vcc, v8, v0
	v_accvgpr_write_b32 a5, v27
	v_addc_co_u32_e32 v7, vcc, v9, v3, vcc
	v_accvgpr_write_b32 a0, v25
	v_cmp_eq_u16_e64 s[28:29], 0, v25
	s_mov_b64 s[60:61], 0
	s_mov_b64 s[34:35], 0
                                        ; implicit-def: $sgpr36_sgpr37
                                        ; implicit-def: $vgpr20_vgpr21
                                        ; implicit-def: $vgpr12_vgpr13
                                        ; implicit-def: $vgpr16_vgpr17
                                        ; implicit-def: $vgpr8_vgpr9
	s_branch .LBB12_379
.LBB12_378:                             ;   in Loop: Header=BB12_379 Depth=4
	s_or_b64 exec, exec, s[62:63]
	v_lshrrev_b32_e32 v0, 16, v0
	v_and_or_b32 v34, v38, s94, v0
	v_lshrrev_b32_e32 v0, 16, v49
	v_lshrrev_b32_e32 v32, 16, v48
	v_and_or_b32 v35, v39, s94, v0
	v_lshrrev_b32_e32 v0, 16, v2
	v_and_or_b32 v33, v37, s94, v32
	;; [unrolled: 2-line block ×4, first 2 shown]
	v_and_or_b32 v36, v24, s94, v0
	v_lshrrev_b32_e32 v0, 16, v25
	v_and_or_b32 v38, v26, s94, v0
	v_lshrrev_b32_e32 v0, 16, v28
	v_accvgpr_read_b32 v24, a28
	v_and_or_b32 v39, v27, s94, v0
	v_accvgpr_read_b32 v25, a29
	v_add_co_u32_e32 v0, vcc, v30, v24
	v_addc_co_u32_e32 v2, vcc, v31, v25, vcc
	v_add_co_u32_e32 v3, vcc, v6, v24
	v_accvgpr_read_b32 v26, a36
	v_mov_b32_e32 v27, 0x800
	v_addc_co_u32_e32 v24, vcc, v7, v25, vcc
	v_accvgpr_read_b32 v25, a37
	v_cndmask_b32_e64 v26, v27, v26, s[60:61]
	v_cndmask_b32_e64 v30, v30, v0, s[60:61]
	v_accvgpr_read_b32 v0, a22
	global_store_dwordx4 v[4:5], v[32:35], off glc slc
	global_store_dwordx4 v[4:5], v[36:39], off offset:1024 glc slc
	v_cndmask_b32_e64 v25, 0, v25, s[60:61]
	v_add_co_u32_e32 v4, vcc, v4, v26
	v_cndmask_b32_e64 v0, 0, v0, s[60:61]
	v_addc_co_u32_e32 v5, vcc, v5, v25, vcc
	v_sub_u32_e32 v57, v57, v0
	v_cmp_gt_i32_e32 vcc, 1, v57
	s_or_b64 s[34:35], vcc, s[34:35]
	s_andn2_b64 vcc, s[36:37], exec
	s_and_b64 s[36:37], s[60:61], exec
	v_cndmask_b32_e64 v31, v31, v2, s[60:61]
	v_cndmask_b32_e64 v7, v7, v24, s[60:61]
	;; [unrolled: 1-line block ×3, first 2 shown]
	s_or_b64 s[36:37], vcc, s[36:37]
	s_andn2_b64 exec, exec, s[34:35]
	s_cbranch_execz .LBB12_513
.LBB12_379:                             ;   Parent Loop BB12_47 Depth=1
                                        ;     Parent Loop BB12_300 Depth=2
                                        ;       Parent Loop BB12_303 Depth=3
                                        ; =>      This Inner Loop Header: Depth=4
	global_load_dwordx4 v[36:39], v[30:31], off glc slc
	global_load_dwordx4 v[24:27], v[30:31], off offset:1024 glc slc
	global_load_dwordx4 v[48:51], v[6:7], off glc slc
	global_load_dwordx4 v[32:35], v[6:7], off offset:1024 glc slc
	s_and_saveexec_b64 s[62:63], s[60:61]
	s_cbranch_execz .LBB12_445
; %bb.380:                              ;   in Loop: Header=BB12_379 Depth=4
	v_lshlrev_b32_e32 v0, 16, v20
	v_lshlrev_b32_e32 v2, 16, v16
	v_max_f32_e32 v2, v2, v2
	v_max_f32_e32 v0, v0, v0
	v_min_f32_e32 v3, v0, v2
	v_max_f32_e32 v0, v0, v2
	v_cndmask_b32_e64 v0, v0, v3, s[28:29]
	v_and_b32_e32 v2, 0x7f800000, v0
	v_cmp_ne_u32_e32 vcc, s92, v2
                                        ; implicit-def: $vgpr58
	s_and_saveexec_b64 s[60:61], vcc
	s_xor_b64 vcc, exec, s[60:61]
; %bb.381:                              ;   in Loop: Header=BB12_379 Depth=4
	v_bfe_u32 v2, v0, 16, 1
	v_add3_u32 v58, v0, v2, s93
                                        ; implicit-def: $vgpr0
; %bb.382:                              ;   in Loop: Header=BB12_379 Depth=4
	s_andn2_saveexec_b64 s[60:61], vcc
; %bb.383:                              ;   in Loop: Header=BB12_379 Depth=4
	v_or_b32_e32 v2, 0x10000, v0
	v_cmp_eq_u32_sdwa vcc, v0, v42 src0_sel:WORD_0 src1_sel:DWORD
	v_cndmask_b32_e32 v58, v2, v0, vcc
; %bb.384:                              ;   in Loop: Header=BB12_379 Depth=4
	s_or_b64 exec, exec, s[60:61]
	v_and_b32_e32 v0, 0xffff0000, v20
	v_and_b32_e32 v2, 0xffff0000, v16
	v_max_f32_e32 v2, v2, v2
	v_max_f32_e32 v0, v0, v0
	v_min_f32_e32 v3, v0, v2
	v_max_f32_e32 v0, v0, v2
	v_cndmask_b32_e64 v0, v0, v3, s[28:29]
	v_and_b32_e32 v2, 0x7f800000, v0
	v_cmp_ne_u32_e32 vcc, s92, v2
                                        ; implicit-def: $vgpr20
	s_and_saveexec_b64 s[60:61], vcc
	s_xor_b64 vcc, exec, s[60:61]
; %bb.385:                              ;   in Loop: Header=BB12_379 Depth=4
	v_bfe_u32 v2, v0, 16, 1
	v_add3_u32 v20, v0, v2, s93
                                        ; implicit-def: $vgpr0
; %bb.386:                              ;   in Loop: Header=BB12_379 Depth=4
	s_andn2_saveexec_b64 s[60:61], vcc
; %bb.387:                              ;   in Loop: Header=BB12_379 Depth=4
	v_or_b32_e32 v2, 0x10000, v0
	v_cmp_eq_u32_sdwa vcc, v0, v42 src0_sel:WORD_0 src1_sel:DWORD
	v_cndmask_b32_e32 v20, v2, v0, vcc
; %bb.388:                              ;   in Loop: Header=BB12_379 Depth=4
	s_or_b64 exec, exec, s[60:61]
	v_lshlrev_b32_e32 v0, 16, v21
	v_lshlrev_b32_e32 v2, 16, v17
	v_max_f32_e32 v2, v2, v2
	v_max_f32_e32 v0, v0, v0
	v_min_f32_e32 v3, v0, v2
	v_max_f32_e32 v0, v0, v2
	v_cndmask_b32_e64 v0, v0, v3, s[28:29]
	v_and_b32_e32 v2, 0x7f800000, v0
	v_cmp_ne_u32_e32 vcc, s92, v2
                                        ; implicit-def: $vgpr59
	s_and_saveexec_b64 s[60:61], vcc
	s_xor_b64 vcc, exec, s[60:61]
; %bb.389:                              ;   in Loop: Header=BB12_379 Depth=4
	v_bfe_u32 v2, v0, 16, 1
	v_add3_u32 v59, v0, v2, s93
                                        ; implicit-def: $vgpr0
; %bb.390:                              ;   in Loop: Header=BB12_379 Depth=4
	s_andn2_saveexec_b64 s[60:61], vcc
; %bb.391:                              ;   in Loop: Header=BB12_379 Depth=4
	v_or_b32_e32 v2, 0x10000, v0
	v_cmp_eq_u32_sdwa vcc, v0, v42 src0_sel:WORD_0 src1_sel:DWORD
	v_cndmask_b32_e32 v59, v2, v0, vcc
; %bb.392:                              ;   in Loop: Header=BB12_379 Depth=4
	s_or_b64 exec, exec, s[60:61]
	v_and_b32_e32 v0, 0xffff0000, v21
	v_and_b32_e32 v2, 0xffff0000, v17
	v_max_f32_e32 v2, v2, v2
	v_max_f32_e32 v0, v0, v0
	v_min_f32_e32 v3, v0, v2
	v_max_f32_e32 v0, v0, v2
	v_cndmask_b32_e64 v0, v0, v3, s[28:29]
	v_and_b32_e32 v2, 0x7f800000, v0
	v_cmp_ne_u32_e32 vcc, s92, v2
                                        ; implicit-def: $vgpr21
	s_and_saveexec_b64 s[60:61], vcc
	s_xor_b64 vcc, exec, s[60:61]
; %bb.393:                              ;   in Loop: Header=BB12_379 Depth=4
	v_bfe_u32 v2, v0, 16, 1
	v_add3_u32 v21, v0, v2, s93
                                        ; implicit-def: $vgpr0
; %bb.394:                              ;   in Loop: Header=BB12_379 Depth=4
	s_andn2_saveexec_b64 s[60:61], vcc
; %bb.395:                              ;   in Loop: Header=BB12_379 Depth=4
	v_or_b32_e32 v2, 0x10000, v0
	v_cmp_eq_u32_sdwa vcc, v0, v42 src0_sel:WORD_0 src1_sel:DWORD
	v_cndmask_b32_e32 v21, v2, v0, vcc
; %bb.396:                              ;   in Loop: Header=BB12_379 Depth=4
	s_or_b64 exec, exec, s[60:61]
	v_lshlrev_b32_e32 v0, 16, v22
	v_lshlrev_b32_e32 v2, 16, v18
	v_max_f32_e32 v2, v2, v2
	v_max_f32_e32 v0, v0, v0
	v_min_f32_e32 v3, v0, v2
	v_max_f32_e32 v0, v0, v2
	v_cndmask_b32_e64 v2, v0, v3, s[28:29]
	v_and_b32_e32 v0, 0x7f800000, v2
	v_cmp_ne_u32_e32 vcc, s92, v0
                                        ; implicit-def: $vgpr0
	s_and_saveexec_b64 s[60:61], vcc
	s_xor_b64 vcc, exec, s[60:61]
; %bb.397:                              ;   in Loop: Header=BB12_379 Depth=4
	v_bfe_u32 v0, v2, 16, 1
	v_add3_u32 v0, v2, v0, s93
                                        ; implicit-def: $vgpr2
; %bb.398:                              ;   in Loop: Header=BB12_379 Depth=4
	s_andn2_saveexec_b64 s[60:61], vcc
; %bb.399:                              ;   in Loop: Header=BB12_379 Depth=4
	v_or_b32_e32 v0, 0x10000, v2
	v_cmp_eq_u32_sdwa vcc, v2, v42 src0_sel:WORD_0 src1_sel:DWORD
	v_cndmask_b32_e32 v0, v0, v2, vcc
; %bb.400:                              ;   in Loop: Header=BB12_379 Depth=4
	s_or_b64 exec, exec, s[60:61]
	v_and_b32_e32 v2, 0xffff0000, v22
	v_and_b32_e32 v3, 0xffff0000, v18
	v_max_f32_e32 v3, v3, v3
	v_max_f32_e32 v2, v2, v2
	v_min_f32_e32 v22, v2, v3
	v_max_f32_e32 v2, v2, v3
	v_cndmask_b32_e64 v2, v2, v22, s[28:29]
	v_and_b32_e32 v3, 0x7f800000, v2
	v_cmp_ne_u32_e32 vcc, s92, v3
                                        ; implicit-def: $vgpr22
	s_and_saveexec_b64 s[60:61], vcc
	s_xor_b64 vcc, exec, s[60:61]
; %bb.401:                              ;   in Loop: Header=BB12_379 Depth=4
	v_bfe_u32 v3, v2, 16, 1
	v_add3_u32 v22, v2, v3, s93
                                        ; implicit-def: $vgpr2
; %bb.402:                              ;   in Loop: Header=BB12_379 Depth=4
	s_andn2_saveexec_b64 s[60:61], vcc
; %bb.403:                              ;   in Loop: Header=BB12_379 Depth=4
	v_or_b32_e32 v3, 0x10000, v2
	v_cmp_eq_u32_sdwa vcc, v2, v42 src0_sel:WORD_0 src1_sel:DWORD
	v_cndmask_b32_e32 v22, v3, v2, vcc
; %bb.404:                              ;   in Loop: Header=BB12_379 Depth=4
	s_or_b64 exec, exec, s[60:61]
	v_lshlrev_b32_e32 v2, 16, v23
	v_lshlrev_b32_e32 v3, 16, v19
	v_max_f32_e32 v3, v3, v3
	v_max_f32_e32 v2, v2, v2
	v_min_f32_e32 v28, v2, v3
	v_max_f32_e32 v2, v2, v3
	v_cndmask_b32_e64 v2, v2, v28, s[28:29]
	v_and_b32_e32 v3, 0x7f800000, v2
	v_cmp_ne_u32_e32 vcc, s92, v3
                                        ; implicit-def: $vgpr56
	s_and_saveexec_b64 s[60:61], vcc
	s_xor_b64 vcc, exec, s[60:61]
; %bb.405:                              ;   in Loop: Header=BB12_379 Depth=4
	v_bfe_u32 v3, v2, 16, 1
	v_add3_u32 v56, v2, v3, s93
                                        ; implicit-def: $vgpr2
; %bb.406:                              ;   in Loop: Header=BB12_379 Depth=4
	s_andn2_saveexec_b64 s[60:61], vcc
; %bb.407:                              ;   in Loop: Header=BB12_379 Depth=4
	v_or_b32_e32 v3, 0x10000, v2
	v_cmp_eq_u32_sdwa vcc, v2, v42 src0_sel:WORD_0 src1_sel:DWORD
	v_cndmask_b32_e32 v56, v3, v2, vcc
; %bb.408:                              ;   in Loop: Header=BB12_379 Depth=4
	s_or_b64 exec, exec, s[60:61]
	v_and_b32_e32 v2, 0xffff0000, v23
	v_and_b32_e32 v3, 0xffff0000, v19
	v_max_f32_e32 v3, v3, v3
	v_max_f32_e32 v2, v2, v2
	v_min_f32_e32 v23, v2, v3
	v_max_f32_e32 v2, v2, v3
	v_cndmask_b32_e64 v2, v2, v23, s[28:29]
	v_and_b32_e32 v3, 0x7f800000, v2
	v_cmp_ne_u32_e32 vcc, s92, v3
                                        ; implicit-def: $vgpr23
	s_and_saveexec_b64 s[60:61], vcc
	s_xor_b64 vcc, exec, s[60:61]
; %bb.409:                              ;   in Loop: Header=BB12_379 Depth=4
	v_bfe_u32 v3, v2, 16, 1
	v_add3_u32 v23, v2, v3, s93
                                        ; implicit-def: $vgpr2
; %bb.410:                              ;   in Loop: Header=BB12_379 Depth=4
	s_andn2_saveexec_b64 s[60:61], vcc
; %bb.411:                              ;   in Loop: Header=BB12_379 Depth=4
	v_or_b32_e32 v3, 0x10000, v2
	v_cmp_eq_u32_sdwa vcc, v2, v42 src0_sel:WORD_0 src1_sel:DWORD
	v_cndmask_b32_e32 v23, v3, v2, vcc
; %bb.412:                              ;   in Loop: Header=BB12_379 Depth=4
	s_or_b64 exec, exec, s[60:61]
	v_lshlrev_b32_e32 v2, 16, v12
	v_lshlrev_b32_e32 v3, 16, v8
	v_max_f32_e32 v3, v3, v3
	v_max_f32_e32 v2, v2, v2
	v_min_f32_e32 v28, v2, v3
	v_max_f32_e32 v2, v2, v3
	v_cndmask_b32_e64 v2, v2, v28, s[28:29]
	v_and_b32_e32 v3, 0x7f800000, v2
	v_cmp_ne_u32_e32 vcc, s92, v3
                                        ; implicit-def: $vgpr43
	s_and_saveexec_b64 s[60:61], vcc
	s_xor_b64 vcc, exec, s[60:61]
; %bb.413:                              ;   in Loop: Header=BB12_379 Depth=4
	v_bfe_u32 v3, v2, 16, 1
	v_add3_u32 v43, v2, v3, s93
                                        ; implicit-def: $vgpr2
; %bb.414:                              ;   in Loop: Header=BB12_379 Depth=4
	s_andn2_saveexec_b64 s[60:61], vcc
; %bb.415:                              ;   in Loop: Header=BB12_379 Depth=4
	v_or_b32_e32 v3, 0x10000, v2
	v_cmp_eq_u32_sdwa vcc, v2, v42 src0_sel:WORD_0 src1_sel:DWORD
	v_cndmask_b32_e32 v43, v3, v2, vcc
; %bb.416:                              ;   in Loop: Header=BB12_379 Depth=4
	s_or_b64 exec, exec, s[60:61]
	v_and_b32_e32 v2, 0xffff0000, v12
	v_and_b32_e32 v3, 0xffff0000, v8
	v_max_f32_e32 v3, v3, v3
	v_max_f32_e32 v2, v2, v2
	v_min_f32_e32 v12, v2, v3
	v_max_f32_e32 v2, v2, v3
	v_cndmask_b32_e64 v2, v2, v12, s[28:29]
	v_and_b32_e32 v3, 0x7f800000, v2
	v_cmp_ne_u32_e32 vcc, s92, v3
                                        ; implicit-def: $vgpr12
	s_and_saveexec_b64 s[60:61], vcc
	s_xor_b64 vcc, exec, s[60:61]
; %bb.417:                              ;   in Loop: Header=BB12_379 Depth=4
	v_bfe_u32 v3, v2, 16, 1
	v_add3_u32 v12, v2, v3, s93
                                        ; implicit-def: $vgpr2
; %bb.418:                              ;   in Loop: Header=BB12_379 Depth=4
	s_andn2_saveexec_b64 s[60:61], vcc
; %bb.419:                              ;   in Loop: Header=BB12_379 Depth=4
	v_or_b32_e32 v3, 0x10000, v2
	v_cmp_eq_u32_sdwa vcc, v2, v42 src0_sel:WORD_0 src1_sel:DWORD
	v_cndmask_b32_e32 v12, v3, v2, vcc
; %bb.420:                              ;   in Loop: Header=BB12_379 Depth=4
	s_or_b64 exec, exec, s[60:61]
	v_lshlrev_b32_e32 v2, 16, v13
	v_lshlrev_b32_e32 v3, 16, v9
	v_max_f32_e32 v3, v3, v3
	v_max_f32_e32 v2, v2, v2
	v_min_f32_e32 v28, v2, v3
	v_max_f32_e32 v2, v2, v3
	v_cndmask_b32_e64 v3, v2, v28, s[28:29]
	v_and_b32_e32 v2, 0x7f800000, v3
	v_cmp_ne_u32_e32 vcc, s92, v2
                                        ; implicit-def: $vgpr2
	s_and_saveexec_b64 s[60:61], vcc
	s_xor_b64 vcc, exec, s[60:61]
; %bb.421:                              ;   in Loop: Header=BB12_379 Depth=4
	v_bfe_u32 v2, v3, 16, 1
	v_add3_u32 v2, v3, v2, s93
                                        ; implicit-def: $vgpr3
; %bb.422:                              ;   in Loop: Header=BB12_379 Depth=4
	s_andn2_saveexec_b64 s[60:61], vcc
; %bb.423:                              ;   in Loop: Header=BB12_379 Depth=4
	v_or_b32_e32 v2, 0x10000, v3
	v_cmp_eq_u32_sdwa vcc, v3, v42 src0_sel:WORD_0 src1_sel:DWORD
	v_cndmask_b32_e32 v2, v2, v3, vcc
; %bb.424:                              ;   in Loop: Header=BB12_379 Depth=4
	s_or_b64 exec, exec, s[60:61]
	v_and_b32_e32 v3, 0xffff0000, v13
	v_and_b32_e32 v13, 0xffff0000, v9
	v_max_f32_e32 v13, v13, v13
	v_max_f32_e32 v3, v3, v3
	v_min_f32_e32 v28, v3, v13
	v_max_f32_e32 v3, v3, v13
	v_cndmask_b32_e64 v13, v3, v28, s[28:29]
	v_and_b32_e32 v3, 0x7f800000, v13
	v_cmp_ne_u32_e32 vcc, s92, v3
                                        ; implicit-def: $vgpr3
	s_and_saveexec_b64 s[60:61], vcc
	s_xor_b64 vcc, exec, s[60:61]
; %bb.425:                              ;   in Loop: Header=BB12_379 Depth=4
	v_bfe_u32 v3, v13, 16, 1
	v_add3_u32 v3, v13, v3, s93
                                        ; implicit-def: $vgpr13
; %bb.426:                              ;   in Loop: Header=BB12_379 Depth=4
	s_andn2_saveexec_b64 s[60:61], vcc
; %bb.427:                              ;   in Loop: Header=BB12_379 Depth=4
	v_or_b32_e32 v3, 0x10000, v13
	v_cmp_eq_u32_sdwa vcc, v13, v42 src0_sel:WORD_0 src1_sel:DWORD
	v_cndmask_b32_e32 v3, v3, v13, vcc
; %bb.428:                              ;   in Loop: Header=BB12_379 Depth=4
	s_or_b64 exec, exec, s[60:61]
	v_lshlrev_b32_e32 v13, 16, v14
	v_lshlrev_b32_e32 v28, 16, v10
	v_max_f32_e32 v28, v28, v28
	v_max_f32_e32 v13, v13, v13
	v_min_f32_e32 v40, v13, v28
	v_max_f32_e32 v13, v13, v28
	v_cndmask_b32_e64 v13, v13, v40, s[28:29]
	v_and_b32_e32 v28, 0x7f800000, v13
	v_cmp_ne_u32_e32 vcc, s92, v28
                                        ; implicit-def: $vgpr41
	s_and_saveexec_b64 s[60:61], vcc
	s_xor_b64 vcc, exec, s[60:61]
; %bb.429:                              ;   in Loop: Header=BB12_379 Depth=4
	v_bfe_u32 v28, v13, 16, 1
	v_add3_u32 v41, v13, v28, s93
                                        ; implicit-def: $vgpr13
; %bb.430:                              ;   in Loop: Header=BB12_379 Depth=4
	s_andn2_saveexec_b64 s[60:61], vcc
; %bb.431:                              ;   in Loop: Header=BB12_379 Depth=4
	v_or_b32_e32 v28, 0x10000, v13
	v_cmp_eq_u32_sdwa vcc, v13, v42 src0_sel:WORD_0 src1_sel:DWORD
	v_cndmask_b32_e32 v41, v28, v13, vcc
; %bb.432:                              ;   in Loop: Header=BB12_379 Depth=4
	s_or_b64 exec, exec, s[60:61]
	v_and_b32_e32 v13, 0xffff0000, v14
	v_and_b32_e32 v14, 0xffff0000, v10
	v_max_f32_e32 v14, v14, v14
	v_max_f32_e32 v13, v13, v13
	v_min_f32_e32 v28, v13, v14
	v_max_f32_e32 v13, v13, v14
	v_cndmask_b32_e64 v13, v13, v28, s[28:29]
	v_and_b32_e32 v14, 0x7f800000, v13
	v_cmp_ne_u32_e32 vcc, s92, v14
                                        ; implicit-def: $vgpr14
	s_and_saveexec_b64 s[60:61], vcc
	s_xor_b64 vcc, exec, s[60:61]
; %bb.433:                              ;   in Loop: Header=BB12_379 Depth=4
	v_bfe_u32 v14, v13, 16, 1
	v_add3_u32 v14, v13, v14, s93
                                        ; implicit-def: $vgpr13
; %bb.434:                              ;   in Loop: Header=BB12_379 Depth=4
	s_andn2_saveexec_b64 s[60:61], vcc
; %bb.435:                              ;   in Loop: Header=BB12_379 Depth=4
	v_or_b32_e32 v14, 0x10000, v13
	v_cmp_eq_u32_sdwa vcc, v13, v42 src0_sel:WORD_0 src1_sel:DWORD
	v_cndmask_b32_e32 v14, v14, v13, vcc
; %bb.436:                              ;   in Loop: Header=BB12_379 Depth=4
	s_or_b64 exec, exec, s[60:61]
	v_lshlrev_b32_e32 v13, 16, v15
	v_lshlrev_b32_e32 v28, 16, v11
	v_max_f32_e32 v28, v28, v28
	v_max_f32_e32 v13, v13, v13
	v_min_f32_e32 v40, v13, v28
	v_max_f32_e32 v13, v13, v28
	v_cndmask_b32_e64 v13, v13, v40, s[28:29]
	v_and_b32_e32 v28, 0x7f800000, v13
	v_cmp_ne_u32_e32 vcc, s92, v28
                                        ; implicit-def: $vgpr28
	s_and_saveexec_b64 s[60:61], vcc
	s_xor_b64 vcc, exec, s[60:61]
; %bb.437:                              ;   in Loop: Header=BB12_379 Depth=4
	v_bfe_u32 v28, v13, 16, 1
	v_add3_u32 v28, v13, v28, s93
                                        ; implicit-def: $vgpr13
; %bb.438:                              ;   in Loop: Header=BB12_379 Depth=4
	s_andn2_saveexec_b64 s[60:61], vcc
; %bb.439:                              ;   in Loop: Header=BB12_379 Depth=4
	v_or_b32_e32 v28, 0x10000, v13
	v_cmp_eq_u32_sdwa vcc, v13, v42 src0_sel:WORD_0 src1_sel:DWORD
	v_cndmask_b32_e32 v28, v28, v13, vcc
; %bb.440:                              ;   in Loop: Header=BB12_379 Depth=4
	s_or_b64 exec, exec, s[60:61]
	v_and_b32_e32 v13, 0xffff0000, v15
	v_and_b32_e32 v15, 0xffff0000, v11
	v_max_f32_e32 v15, v15, v15
	v_max_f32_e32 v13, v13, v13
	v_min_f32_e32 v40, v13, v15
	v_max_f32_e32 v13, v13, v15
	v_cndmask_b32_e64 v13, v13, v40, s[28:29]
	v_and_b32_e32 v15, 0x7f800000, v13
	v_cmp_ne_u32_e32 vcc, s92, v15
                                        ; implicit-def: $vgpr15
	s_and_saveexec_b64 s[60:61], vcc
	s_xor_b64 vcc, exec, s[60:61]
; %bb.441:                              ;   in Loop: Header=BB12_379 Depth=4
	v_bfe_u32 v15, v13, 16, 1
	v_add3_u32 v15, v13, v15, s93
                                        ; implicit-def: $vgpr13
; %bb.442:                              ;   in Loop: Header=BB12_379 Depth=4
	s_andn2_saveexec_b64 s[60:61], vcc
; %bb.443:                              ;   in Loop: Header=BB12_379 Depth=4
	v_or_b32_e32 v15, 0x10000, v13
	v_cmp_eq_u32_sdwa vcc, v13, v42 src0_sel:WORD_0 src1_sel:DWORD
	v_cndmask_b32_e32 v15, v15, v13, vcc
; %bb.444:                              ;   in Loop: Header=BB12_379 Depth=4
	s_or_b64 exec, exec, s[60:61]
	v_lshrrev_b32_e32 v0, 16, v0
	v_lshrrev_b32_e32 v13, 16, v59
	v_and_or_b32 v22, v22, s94, v0
	v_lshrrev_b32_e32 v0, 16, v56
	v_and_or_b32 v21, v21, s94, v13
	;; [unrolled: 2-line block ×4, first 2 shown]
	v_and_or_b32 v13, v3, s94, v0
	v_lshrrev_b32_e32 v0, 16, v43
	v_and_or_b32 v12, v12, s94, v0
	v_lshrrev_b32_e32 v0, 16, v41
	;; [unrolled: 2-line block ×3, first 2 shown]
	v_and_or_b32 v15, v15, s94, v0
	v_accvgpr_read_b32 v0, a36
	global_store_dwordx4 v[4:5], v[20:23], off glc slc
	global_store_dwordx4 v[4:5], v[12:15], off offset:1024 glc slc
	v_add_co_u32_e32 v4, vcc, v4, v0
	v_accvgpr_read_b32 v0, a37
	v_addc_co_u32_e32 v5, vcc, v5, v0, vcc
.LBB12_445:                             ;   in Loop: Header=BB12_379 Depth=4
	s_or_b64 exec, exec, s[62:63]
	v_accvgpr_read_b32 v0, a36
	v_add_co_u32_e32 v30, vcc, v30, v0
	v_accvgpr_read_b32 v2, a37
	v_addc_co_u32_e32 v31, vcc, v31, v2, vcc
	v_add_co_u32_e32 v6, vcc, v6, v0
	v_accvgpr_read_b32 v0, a22
	v_sub_u32_e32 v57, v57, v0
	v_addc_co_u32_e32 v7, vcc, v7, v2, vcc
	v_cmp_lt_i32_e64 s[60:61], 0, v57
	s_and_saveexec_b64 s[62:63], s[60:61]
	s_cbranch_execz .LBB12_447
; %bb.446:                              ;   in Loop: Header=BB12_379 Depth=4
	global_load_dwordx4 v[20:23], v[30:31], off glc slc
	global_load_dwordx4 v[12:15], v[30:31], off offset:1024 glc slc
	global_load_dwordx4 v[16:19], v[6:7], off glc slc
	global_load_dwordx4 v[8:11], v[6:7], off offset:1024 glc slc
	v_add_co_u32_e32 v30, vcc, s80, v30
	v_addc_co_u32_e32 v31, vcc, 0, v31, vcc
	v_add_co_u32_e32 v6, vcc, 0x800, v6
	v_addc_co_u32_e32 v7, vcc, 0, v7, vcc
.LBB12_447:                             ;   in Loop: Header=BB12_379 Depth=4
	s_or_b64 exec, exec, s[62:63]
	s_waitcnt vmcnt(0)
	v_lshlrev_b32_e32 v0, 16, v36
	v_lshlrev_b32_e32 v2, 16, v48
	v_max_f32_e32 v2, v2, v2
	v_max_f32_e32 v0, v0, v0
	v_min_f32_e32 v3, v0, v2
	v_max_f32_e32 v0, v0, v2
	v_cndmask_b32_e64 v0, v0, v3, s[28:29]
	v_and_b32_e32 v2, 0x7f800000, v0
	v_cmp_ne_u32_e32 vcc, s92, v2
                                        ; implicit-def: $vgpr58
	s_and_saveexec_b64 s[62:63], vcc
	s_xor_b64 vcc, exec, s[62:63]
; %bb.448:                              ;   in Loop: Header=BB12_379 Depth=4
	v_bfe_u32 v2, v0, 16, 1
	v_add3_u32 v58, v0, v2, s93
                                        ; implicit-def: $vgpr0
; %bb.449:                              ;   in Loop: Header=BB12_379 Depth=4
	s_andn2_saveexec_b64 s[62:63], vcc
; %bb.450:                              ;   in Loop: Header=BB12_379 Depth=4
	v_or_b32_e32 v2, 0x10000, v0
	v_cmp_eq_u32_sdwa vcc, v0, v42 src0_sel:WORD_0 src1_sel:DWORD
	v_cndmask_b32_e32 v58, v2, v0, vcc
; %bb.451:                              ;   in Loop: Header=BB12_379 Depth=4
	s_or_b64 exec, exec, s[62:63]
	v_and_b32_e32 v0, 0xffff0000, v36
	v_and_b32_e32 v2, 0xffff0000, v48
	v_max_f32_e32 v2, v2, v2
	v_max_f32_e32 v0, v0, v0
	v_min_f32_e32 v3, v0, v2
	v_max_f32_e32 v0, v0, v2
	v_cndmask_b32_e64 v0, v0, v3, s[28:29]
	v_and_b32_e32 v2, 0x7f800000, v0
	v_cmp_ne_u32_e32 vcc, s92, v2
                                        ; implicit-def: $vgpr36
	s_and_saveexec_b64 s[62:63], vcc
	s_xor_b64 vcc, exec, s[62:63]
; %bb.452:                              ;   in Loop: Header=BB12_379 Depth=4
	v_bfe_u32 v2, v0, 16, 1
	v_add3_u32 v36, v0, v2, s93
                                        ; implicit-def: $vgpr0
; %bb.453:                              ;   in Loop: Header=BB12_379 Depth=4
	s_andn2_saveexec_b64 s[62:63], vcc
; %bb.454:                              ;   in Loop: Header=BB12_379 Depth=4
	v_or_b32_e32 v2, 0x10000, v0
	v_cmp_eq_u32_sdwa vcc, v0, v42 src0_sel:WORD_0 src1_sel:DWORD
	v_cndmask_b32_e32 v36, v2, v0, vcc
; %bb.455:                              ;   in Loop: Header=BB12_379 Depth=4
	s_or_b64 exec, exec, s[62:63]
	v_lshlrev_b32_e32 v0, 16, v37
	v_lshlrev_b32_e32 v2, 16, v49
	v_max_f32_e32 v2, v2, v2
	v_max_f32_e32 v0, v0, v0
	v_min_f32_e32 v3, v0, v2
	v_max_f32_e32 v0, v0, v2
	v_cndmask_b32_e64 v0, v0, v3, s[28:29]
	v_and_b32_e32 v2, 0x7f800000, v0
	v_cmp_ne_u32_e32 vcc, s92, v2
                                        ; implicit-def: $vgpr48
	s_and_saveexec_b64 s[62:63], vcc
	s_xor_b64 vcc, exec, s[62:63]
; %bb.456:                              ;   in Loop: Header=BB12_379 Depth=4
	v_bfe_u32 v2, v0, 16, 1
	v_add3_u32 v48, v0, v2, s93
                                        ; implicit-def: $vgpr0
; %bb.457:                              ;   in Loop: Header=BB12_379 Depth=4
	s_andn2_saveexec_b64 s[62:63], vcc
; %bb.458:                              ;   in Loop: Header=BB12_379 Depth=4
	v_or_b32_e32 v2, 0x10000, v0
	v_cmp_eq_u32_sdwa vcc, v0, v42 src0_sel:WORD_0 src1_sel:DWORD
	v_cndmask_b32_e32 v48, v2, v0, vcc
; %bb.459:                              ;   in Loop: Header=BB12_379 Depth=4
	s_or_b64 exec, exec, s[62:63]
	v_and_b32_e32 v0, 0xffff0000, v37
	v_and_b32_e32 v2, 0xffff0000, v49
	v_max_f32_e32 v2, v2, v2
	v_max_f32_e32 v0, v0, v0
	v_min_f32_e32 v3, v0, v2
	v_max_f32_e32 v0, v0, v2
	v_cndmask_b32_e64 v0, v0, v3, s[28:29]
	v_and_b32_e32 v2, 0x7f800000, v0
	v_cmp_ne_u32_e32 vcc, s92, v2
                                        ; implicit-def: $vgpr37
	s_and_saveexec_b64 s[62:63], vcc
	s_xor_b64 vcc, exec, s[62:63]
; %bb.460:                              ;   in Loop: Header=BB12_379 Depth=4
	v_bfe_u32 v2, v0, 16, 1
	v_add3_u32 v37, v0, v2, s93
                                        ; implicit-def: $vgpr0
; %bb.461:                              ;   in Loop: Header=BB12_379 Depth=4
	s_andn2_saveexec_b64 s[62:63], vcc
; %bb.462:                              ;   in Loop: Header=BB12_379 Depth=4
	v_or_b32_e32 v2, 0x10000, v0
	v_cmp_eq_u32_sdwa vcc, v0, v42 src0_sel:WORD_0 src1_sel:DWORD
	v_cndmask_b32_e32 v37, v2, v0, vcc
; %bb.463:                              ;   in Loop: Header=BB12_379 Depth=4
	s_or_b64 exec, exec, s[62:63]
	v_lshlrev_b32_e32 v0, 16, v38
	v_lshlrev_b32_e32 v2, 16, v50
	v_max_f32_e32 v2, v2, v2
	v_max_f32_e32 v0, v0, v0
	v_min_f32_e32 v3, v0, v2
	v_max_f32_e32 v0, v0, v2
	v_cndmask_b32_e64 v2, v0, v3, s[28:29]
	v_and_b32_e32 v0, 0x7f800000, v2
	v_cmp_ne_u32_e32 vcc, s92, v0
                                        ; implicit-def: $vgpr0
	s_and_saveexec_b64 s[62:63], vcc
	s_xor_b64 vcc, exec, s[62:63]
; %bb.464:                              ;   in Loop: Header=BB12_379 Depth=4
	v_bfe_u32 v0, v2, 16, 1
	v_add3_u32 v0, v2, v0, s93
                                        ; implicit-def: $vgpr2
; %bb.465:                              ;   in Loop: Header=BB12_379 Depth=4
	s_andn2_saveexec_b64 s[62:63], vcc
; %bb.466:                              ;   in Loop: Header=BB12_379 Depth=4
	v_or_b32_e32 v0, 0x10000, v2
	v_cmp_eq_u32_sdwa vcc, v2, v42 src0_sel:WORD_0 src1_sel:DWORD
	v_cndmask_b32_e32 v0, v0, v2, vcc
; %bb.467:                              ;   in Loop: Header=BB12_379 Depth=4
	s_or_b64 exec, exec, s[62:63]
	v_and_b32_e32 v2, 0xffff0000, v38
	v_and_b32_e32 v3, 0xffff0000, v50
	v_max_f32_e32 v3, v3, v3
	v_max_f32_e32 v2, v2, v2
	v_min_f32_e32 v28, v2, v3
	v_max_f32_e32 v2, v2, v3
	v_cndmask_b32_e64 v2, v2, v28, s[28:29]
	v_and_b32_e32 v3, 0x7f800000, v2
	v_cmp_ne_u32_e32 vcc, s92, v3
                                        ; implicit-def: $vgpr38
	s_and_saveexec_b64 s[62:63], vcc
	s_xor_b64 vcc, exec, s[62:63]
; %bb.468:                              ;   in Loop: Header=BB12_379 Depth=4
	v_bfe_u32 v3, v2, 16, 1
	v_add3_u32 v38, v2, v3, s93
                                        ; implicit-def: $vgpr2
; %bb.469:                              ;   in Loop: Header=BB12_379 Depth=4
	s_andn2_saveexec_b64 s[62:63], vcc
; %bb.470:                              ;   in Loop: Header=BB12_379 Depth=4
	v_or_b32_e32 v3, 0x10000, v2
	v_cmp_eq_u32_sdwa vcc, v2, v42 src0_sel:WORD_0 src1_sel:DWORD
	v_cndmask_b32_e32 v38, v3, v2, vcc
; %bb.471:                              ;   in Loop: Header=BB12_379 Depth=4
	s_or_b64 exec, exec, s[62:63]
	v_lshlrev_b32_e32 v2, 16, v39
	v_lshlrev_b32_e32 v3, 16, v51
	v_max_f32_e32 v3, v3, v3
	v_max_f32_e32 v2, v2, v2
	v_min_f32_e32 v28, v2, v3
	v_max_f32_e32 v2, v2, v3
	v_cndmask_b32_e64 v2, v2, v28, s[28:29]
	v_and_b32_e32 v3, 0x7f800000, v2
	v_cmp_ne_u32_e32 vcc, s92, v3
                                        ; implicit-def: $vgpr49
	s_and_saveexec_b64 s[62:63], vcc
	s_xor_b64 vcc, exec, s[62:63]
; %bb.472:                              ;   in Loop: Header=BB12_379 Depth=4
	v_bfe_u32 v3, v2, 16, 1
	v_add3_u32 v49, v2, v3, s93
                                        ; implicit-def: $vgpr2
; %bb.473:                              ;   in Loop: Header=BB12_379 Depth=4
	s_andn2_saveexec_b64 s[62:63], vcc
; %bb.474:                              ;   in Loop: Header=BB12_379 Depth=4
	v_or_b32_e32 v3, 0x10000, v2
	v_cmp_eq_u32_sdwa vcc, v2, v42 src0_sel:WORD_0 src1_sel:DWORD
	v_cndmask_b32_e32 v49, v3, v2, vcc
; %bb.475:                              ;   in Loop: Header=BB12_379 Depth=4
	s_or_b64 exec, exec, s[62:63]
	v_and_b32_e32 v2, 0xffff0000, v39
	v_and_b32_e32 v3, 0xffff0000, v51
	v_max_f32_e32 v3, v3, v3
	v_max_f32_e32 v2, v2, v2
	v_min_f32_e32 v28, v2, v3
	v_max_f32_e32 v2, v2, v3
	v_cndmask_b32_e64 v2, v2, v28, s[28:29]
	v_and_b32_e32 v3, 0x7f800000, v2
	v_cmp_ne_u32_e32 vcc, s92, v3
                                        ; implicit-def: $vgpr39
	s_and_saveexec_b64 s[62:63], vcc
	s_xor_b64 vcc, exec, s[62:63]
; %bb.476:                              ;   in Loop: Header=BB12_379 Depth=4
	v_bfe_u32 v3, v2, 16, 1
	v_add3_u32 v39, v2, v3, s93
                                        ; implicit-def: $vgpr2
; %bb.477:                              ;   in Loop: Header=BB12_379 Depth=4
	s_andn2_saveexec_b64 s[62:63], vcc
; %bb.478:                              ;   in Loop: Header=BB12_379 Depth=4
	v_or_b32_e32 v3, 0x10000, v2
	v_cmp_eq_u32_sdwa vcc, v2, v42 src0_sel:WORD_0 src1_sel:DWORD
	v_cndmask_b32_e32 v39, v3, v2, vcc
; %bb.479:                              ;   in Loop: Header=BB12_379 Depth=4
	s_or_b64 exec, exec, s[62:63]
	v_lshlrev_b32_e32 v2, 16, v24
	v_lshlrev_b32_e32 v3, 16, v32
	v_max_f32_e32 v3, v3, v3
	v_max_f32_e32 v2, v2, v2
	v_min_f32_e32 v28, v2, v3
	v_max_f32_e32 v2, v2, v3
	v_cndmask_b32_e64 v2, v2, v28, s[28:29]
	v_and_b32_e32 v3, 0x7f800000, v2
	v_cmp_ne_u32_e32 vcc, s92, v3
                                        ; implicit-def: $vgpr50
	s_and_saveexec_b64 s[62:63], vcc
	s_xor_b64 vcc, exec, s[62:63]
; %bb.480:                              ;   in Loop: Header=BB12_379 Depth=4
	v_bfe_u32 v3, v2, 16, 1
	v_add3_u32 v50, v2, v3, s93
                                        ; implicit-def: $vgpr2
; %bb.481:                              ;   in Loop: Header=BB12_379 Depth=4
	s_andn2_saveexec_b64 s[62:63], vcc
; %bb.482:                              ;   in Loop: Header=BB12_379 Depth=4
	v_or_b32_e32 v3, 0x10000, v2
	v_cmp_eq_u32_sdwa vcc, v2, v42 src0_sel:WORD_0 src1_sel:DWORD
	v_cndmask_b32_e32 v50, v3, v2, vcc
; %bb.483:                              ;   in Loop: Header=BB12_379 Depth=4
	s_or_b64 exec, exec, s[62:63]
	v_and_b32_e32 v2, 0xffff0000, v24
	v_and_b32_e32 v3, 0xffff0000, v32
	v_max_f32_e32 v3, v3, v3
	v_max_f32_e32 v2, v2, v2
	v_min_f32_e32 v24, v2, v3
	v_max_f32_e32 v2, v2, v3
	v_cndmask_b32_e64 v2, v2, v24, s[28:29]
	v_and_b32_e32 v3, 0x7f800000, v2
	v_cmp_ne_u32_e32 vcc, s92, v3
                                        ; implicit-def: $vgpr24
	s_and_saveexec_b64 s[62:63], vcc
	s_xor_b64 vcc, exec, s[62:63]
; %bb.484:                              ;   in Loop: Header=BB12_379 Depth=4
	v_bfe_u32 v3, v2, 16, 1
	v_add3_u32 v24, v2, v3, s93
                                        ; implicit-def: $vgpr2
; %bb.485:                              ;   in Loop: Header=BB12_379 Depth=4
	s_andn2_saveexec_b64 s[62:63], vcc
; %bb.486:                              ;   in Loop: Header=BB12_379 Depth=4
	v_or_b32_e32 v3, 0x10000, v2
	v_cmp_eq_u32_sdwa vcc, v2, v42 src0_sel:WORD_0 src1_sel:DWORD
	v_cndmask_b32_e32 v24, v3, v2, vcc
; %bb.487:                              ;   in Loop: Header=BB12_379 Depth=4
	s_or_b64 exec, exec, s[62:63]
	v_lshlrev_b32_e32 v2, 16, v25
	v_lshlrev_b32_e32 v3, 16, v33
	v_max_f32_e32 v3, v3, v3
	v_max_f32_e32 v2, v2, v2
	v_min_f32_e32 v28, v2, v3
	v_max_f32_e32 v2, v2, v3
	v_cndmask_b32_e64 v3, v2, v28, s[28:29]
	v_and_b32_e32 v2, 0x7f800000, v3
	v_cmp_ne_u32_e32 vcc, s92, v2
                                        ; implicit-def: $vgpr2
	s_and_saveexec_b64 s[62:63], vcc
	s_xor_b64 vcc, exec, s[62:63]
; %bb.488:                              ;   in Loop: Header=BB12_379 Depth=4
	v_bfe_u32 v2, v3, 16, 1
	v_add3_u32 v2, v3, v2, s93
                                        ; implicit-def: $vgpr3
; %bb.489:                              ;   in Loop: Header=BB12_379 Depth=4
	s_andn2_saveexec_b64 s[62:63], vcc
; %bb.490:                              ;   in Loop: Header=BB12_379 Depth=4
	v_or_b32_e32 v2, 0x10000, v3
	v_cmp_eq_u32_sdwa vcc, v3, v42 src0_sel:WORD_0 src1_sel:DWORD
	v_cndmask_b32_e32 v2, v2, v3, vcc
; %bb.491:                              ;   in Loop: Header=BB12_379 Depth=4
	s_or_b64 exec, exec, s[62:63]
	v_and_b32_e32 v3, 0xffff0000, v25
	v_and_b32_e32 v25, 0xffff0000, v33
	v_max_f32_e32 v25, v25, v25
	v_max_f32_e32 v3, v3, v3
	v_min_f32_e32 v28, v3, v25
	v_max_f32_e32 v3, v3, v25
	v_cndmask_b32_e64 v25, v3, v28, s[28:29]
	v_and_b32_e32 v3, 0x7f800000, v25
	v_cmp_ne_u32_e32 vcc, s92, v3
                                        ; implicit-def: $vgpr3
	s_and_saveexec_b64 s[62:63], vcc
	s_xor_b64 vcc, exec, s[62:63]
; %bb.492:                              ;   in Loop: Header=BB12_379 Depth=4
	v_bfe_u32 v3, v25, 16, 1
	v_add3_u32 v3, v25, v3, s93
                                        ; implicit-def: $vgpr25
; %bb.493:                              ;   in Loop: Header=BB12_379 Depth=4
	s_andn2_saveexec_b64 s[62:63], vcc
; %bb.494:                              ;   in Loop: Header=BB12_379 Depth=4
	v_or_b32_e32 v3, 0x10000, v25
	v_cmp_eq_u32_sdwa vcc, v25, v42 src0_sel:WORD_0 src1_sel:DWORD
	v_cndmask_b32_e32 v3, v3, v25, vcc
; %bb.495:                              ;   in Loop: Header=BB12_379 Depth=4
	s_or_b64 exec, exec, s[62:63]
	v_lshlrev_b32_e32 v25, 16, v26
	v_lshlrev_b32_e32 v28, 16, v34
	v_max_f32_e32 v28, v28, v28
	v_max_f32_e32 v25, v25, v25
	v_min_f32_e32 v32, v25, v28
	v_max_f32_e32 v25, v25, v28
	v_cndmask_b32_e64 v28, v25, v32, s[28:29]
	v_and_b32_e32 v25, 0x7f800000, v28
	v_cmp_ne_u32_e32 vcc, s92, v25
                                        ; implicit-def: $vgpr25
	s_and_saveexec_b64 s[62:63], vcc
	s_xor_b64 vcc, exec, s[62:63]
; %bb.496:                              ;   in Loop: Header=BB12_379 Depth=4
	v_bfe_u32 v25, v28, 16, 1
	v_add3_u32 v25, v28, v25, s93
                                        ; implicit-def: $vgpr28
; %bb.497:                              ;   in Loop: Header=BB12_379 Depth=4
	s_andn2_saveexec_b64 s[62:63], vcc
; %bb.498:                              ;   in Loop: Header=BB12_379 Depth=4
	v_or_b32_e32 v25, 0x10000, v28
	v_cmp_eq_u32_sdwa vcc, v28, v42 src0_sel:WORD_0 src1_sel:DWORD
	v_cndmask_b32_e32 v25, v25, v28, vcc
; %bb.499:                              ;   in Loop: Header=BB12_379 Depth=4
	s_or_b64 exec, exec, s[62:63]
	v_and_b32_e32 v26, 0xffff0000, v26
	v_and_b32_e32 v28, 0xffff0000, v34
	v_max_f32_e32 v28, v28, v28
	v_max_f32_e32 v26, v26, v26
	v_min_f32_e32 v32, v26, v28
	v_max_f32_e32 v26, v26, v28
	v_cndmask_b32_e64 v28, v26, v32, s[28:29]
	v_and_b32_e32 v26, 0x7f800000, v28
	v_cmp_ne_u32_e32 vcc, s92, v26
                                        ; implicit-def: $vgpr26
	s_and_saveexec_b64 s[62:63], vcc
	s_xor_b64 vcc, exec, s[62:63]
; %bb.500:                              ;   in Loop: Header=BB12_379 Depth=4
	v_bfe_u32 v26, v28, 16, 1
	v_add3_u32 v26, v28, v26, s93
                                        ; implicit-def: $vgpr28
; %bb.501:                              ;   in Loop: Header=BB12_379 Depth=4
	s_andn2_saveexec_b64 s[62:63], vcc
; %bb.502:                              ;   in Loop: Header=BB12_379 Depth=4
	v_or_b32_e32 v26, 0x10000, v28
	v_cmp_eq_u32_sdwa vcc, v28, v42 src0_sel:WORD_0 src1_sel:DWORD
	v_cndmask_b32_e32 v26, v26, v28, vcc
; %bb.503:                              ;   in Loop: Header=BB12_379 Depth=4
	s_or_b64 exec, exec, s[62:63]
	v_lshlrev_b32_e32 v28, 16, v27
	v_lshlrev_b32_e32 v32, 16, v35
	v_max_f32_e32 v32, v32, v32
	v_max_f32_e32 v28, v28, v28
	v_min_f32_e32 v33, v28, v32
	v_max_f32_e32 v28, v28, v32
	v_cndmask_b32_e64 v32, v28, v33, s[28:29]
	v_and_b32_e32 v28, 0x7f800000, v32
	v_cmp_ne_u32_e32 vcc, s92, v28
                                        ; implicit-def: $vgpr28
	s_and_saveexec_b64 s[62:63], vcc
	s_xor_b64 vcc, exec, s[62:63]
; %bb.504:                              ;   in Loop: Header=BB12_379 Depth=4
	v_bfe_u32 v28, v32, 16, 1
	v_add3_u32 v28, v32, v28, s93
                                        ; implicit-def: $vgpr32
; %bb.505:                              ;   in Loop: Header=BB12_379 Depth=4
	s_andn2_saveexec_b64 s[62:63], vcc
; %bb.506:                              ;   in Loop: Header=BB12_379 Depth=4
	v_or_b32_e32 v28, 0x10000, v32
	v_cmp_eq_u32_sdwa vcc, v32, v42 src0_sel:WORD_0 src1_sel:DWORD
	v_cndmask_b32_e32 v28, v28, v32, vcc
; %bb.507:                              ;   in Loop: Header=BB12_379 Depth=4
	s_or_b64 exec, exec, s[62:63]
	v_and_b32_e32 v27, 0xffff0000, v27
	v_and_b32_e32 v32, 0xffff0000, v35
	v_max_f32_e32 v32, v32, v32
	v_max_f32_e32 v27, v27, v27
	v_min_f32_e32 v33, v27, v32
	v_max_f32_e32 v27, v27, v32
	v_cndmask_b32_e64 v32, v27, v33, s[28:29]
	v_and_b32_e32 v27, 0x7f800000, v32
	v_cmp_ne_u32_e32 vcc, s92, v27
                                        ; implicit-def: $vgpr27
	s_and_saveexec_b64 s[62:63], vcc
	s_xor_b64 vcc, exec, s[62:63]
; %bb.508:                              ;   in Loop: Header=BB12_379 Depth=4
	v_bfe_u32 v27, v32, 16, 1
	v_add3_u32 v27, v32, v27, s93
                                        ; implicit-def: $vgpr32
; %bb.509:                              ;   in Loop: Header=BB12_379 Depth=4
	s_andn2_saveexec_b64 s[62:63], vcc
	s_cbranch_execz .LBB12_378
; %bb.510:                              ;   in Loop: Header=BB12_379 Depth=4
	v_or_b32_e32 v27, 0x10000, v32
	v_cmp_eq_u32_sdwa vcc, v32, v42 src0_sel:WORD_0 src1_sel:DWORD
	v_cndmask_b32_e32 v27, v27, v32, vcc
	s_branch .LBB12_378
.LBB12_511:                             ;   in Loop: Header=BB12_303 Depth=3
	s_mov_b64 s[58:59], 0
                                        ; implicit-def: $sgpr30
                                        ; implicit-def: $vgpr10
	s_andn2_b64 vcc, exec, s[28:29]
	s_cbranch_vccz .LBB12_376
.LBB12_512:                             ;   in Loop: Header=BB12_303 Depth=3
	v_mov_b32_e32 v11, s30
	v_accvgpr_read_b32 v12, a38
	v_accvgpr_read_b32 v4, a31
	s_and_saveexec_b64 s[36:37], s[58:59]
	s_cbranch_execnz .LBB12_696
	s_branch .LBB12_829
.LBB12_513:                             ;   in Loop: Header=BB12_303 Depth=3
	s_or_b64 exec, exec, s[34:35]
	v_accvgpr_read_b32 v27, a5
	s_and_b64 s[28:29], s[36:37], exec
	v_accvgpr_read_b32 v24, a8
	v_accvgpr_read_b32 v25, a0
	v_accvgpr_read_b32 v26, a4
	v_accvgpr_read_b32 v28, a1
.LBB12_514:                             ;   in Loop: Header=BB12_303 Depth=3
	s_or_b64 exec, exec, s[30:31]
	s_and_saveexec_b64 s[30:31], s[28:29]
	s_cbranch_execz .LBB12_580
; %bb.515:                              ;   in Loop: Header=BB12_303 Depth=3
	v_lshlrev_b32_e32 v0, 16, v20
	v_lshlrev_b32_e32 v2, 16, v16
	v_max_f32_e32 v2, v2, v2
	v_max_f32_e32 v0, v0, v0
	v_min_f32_e32 v3, v0, v2
	v_max_f32_e32 v0, v0, v2
	v_cmp_eq_u16_e32 vcc, 0, v25
	v_cndmask_b32_e32 v0, v0, v3, vcc
	v_and_b32_e32 v2, 0x7f800000, v0
	v_cmp_ne_u32_e64 s[28:29], s92, v2
                                        ; implicit-def: $vgpr6
	s_and_saveexec_b64 s[34:35], s[28:29]
	s_xor_b64 s[28:29], exec, s[34:35]
; %bb.516:                              ;   in Loop: Header=BB12_303 Depth=3
	v_bfe_u32 v2, v0, 16, 1
	v_add3_u32 v6, v0, v2, s93
                                        ; implicit-def: $vgpr0
; %bb.517:                              ;   in Loop: Header=BB12_303 Depth=3
	s_andn2_saveexec_b64 s[34:35], s[28:29]
; %bb.518:                              ;   in Loop: Header=BB12_303 Depth=3
	v_or_b32_e32 v2, 0x10000, v0
	v_cmp_eq_u32_sdwa s[28:29], v0, v42 src0_sel:WORD_0 src1_sel:DWORD
	v_cndmask_b32_e64 v6, v2, v0, s[28:29]
; %bb.519:                              ;   in Loop: Header=BB12_303 Depth=3
	s_or_b64 exec, exec, s[34:35]
	v_and_b32_e32 v0, 0xffff0000, v20
	v_and_b32_e32 v2, 0xffff0000, v16
	v_max_f32_e32 v2, v2, v2
	v_max_f32_e32 v0, v0, v0
	v_min_f32_e32 v3, v0, v2
	v_max_f32_e32 v0, v0, v2
	v_cndmask_b32_e32 v0, v0, v3, vcc
	v_and_b32_e32 v2, 0x7f800000, v0
	v_cmp_ne_u32_e64 s[28:29], s92, v2
                                        ; implicit-def: $vgpr7
	s_and_saveexec_b64 s[34:35], s[28:29]
	s_xor_b64 s[28:29], exec, s[34:35]
; %bb.520:                              ;   in Loop: Header=BB12_303 Depth=3
	v_bfe_u32 v2, v0, 16, 1
	v_add3_u32 v7, v0, v2, s93
                                        ; implicit-def: $vgpr0
; %bb.521:                              ;   in Loop: Header=BB12_303 Depth=3
	s_andn2_saveexec_b64 s[34:35], s[28:29]
; %bb.522:                              ;   in Loop: Header=BB12_303 Depth=3
	v_or_b32_e32 v2, 0x10000, v0
	v_cmp_eq_u32_sdwa s[28:29], v0, v42 src0_sel:WORD_0 src1_sel:DWORD
	v_cndmask_b32_e64 v7, v2, v0, s[28:29]
; %bb.523:                              ;   in Loop: Header=BB12_303 Depth=3
	s_or_b64 exec, exec, s[34:35]
	v_lshlrev_b32_e32 v0, 16, v21
	v_lshlrev_b32_e32 v2, 16, v17
	v_max_f32_e32 v2, v2, v2
	v_max_f32_e32 v0, v0, v0
	v_min_f32_e32 v3, v0, v2
	v_max_f32_e32 v0, v0, v2
	v_cndmask_b32_e32 v0, v0, v3, vcc
	v_and_b32_e32 v2, 0x7f800000, v0
	v_cmp_ne_u32_e64 s[28:29], s92, v2
                                        ; implicit-def: $vgpr16
	s_and_saveexec_b64 s[34:35], s[28:29]
	s_xor_b64 s[28:29], exec, s[34:35]
; %bb.524:                              ;   in Loop: Header=BB12_303 Depth=3
	v_bfe_u32 v2, v0, 16, 1
	v_add3_u32 v16, v0, v2, s93
                                        ; implicit-def: $vgpr0
; %bb.525:                              ;   in Loop: Header=BB12_303 Depth=3
	s_andn2_saveexec_b64 s[34:35], s[28:29]
; %bb.526:                              ;   in Loop: Header=BB12_303 Depth=3
	v_or_b32_e32 v2, 0x10000, v0
	v_cmp_eq_u32_sdwa s[28:29], v0, v42 src0_sel:WORD_0 src1_sel:DWORD
	v_cndmask_b32_e64 v16, v2, v0, s[28:29]
; %bb.527:                              ;   in Loop: Header=BB12_303 Depth=3
	s_or_b64 exec, exec, s[34:35]
	v_and_b32_e32 v0, 0xffff0000, v21
	v_and_b32_e32 v2, 0xffff0000, v17
	v_max_f32_e32 v2, v2, v2
	v_max_f32_e32 v0, v0, v0
	v_min_f32_e32 v3, v0, v2
	v_max_f32_e32 v0, v0, v2
	v_cndmask_b32_e32 v0, v0, v3, vcc
	v_and_b32_e32 v2, 0x7f800000, v0
	v_cmp_ne_u32_e64 s[28:29], s92, v2
                                        ; implicit-def: $vgpr17
	s_and_saveexec_b64 s[34:35], s[28:29]
	s_xor_b64 s[28:29], exec, s[34:35]
; %bb.528:                              ;   in Loop: Header=BB12_303 Depth=3
	v_bfe_u32 v2, v0, 16, 1
	v_add3_u32 v17, v0, v2, s93
                                        ; implicit-def: $vgpr0
; %bb.529:                              ;   in Loop: Header=BB12_303 Depth=3
	s_andn2_saveexec_b64 s[34:35], s[28:29]
; %bb.530:                              ;   in Loop: Header=BB12_303 Depth=3
	v_or_b32_e32 v2, 0x10000, v0
	v_cmp_eq_u32_sdwa s[28:29], v0, v42 src0_sel:WORD_0 src1_sel:DWORD
	v_cndmask_b32_e64 v17, v2, v0, s[28:29]
; %bb.531:                              ;   in Loop: Header=BB12_303 Depth=3
	s_or_b64 exec, exec, s[34:35]
	v_lshlrev_b32_e32 v0, 16, v22
	v_lshlrev_b32_e32 v2, 16, v18
	v_max_f32_e32 v2, v2, v2
	v_max_f32_e32 v0, v0, v0
	v_min_f32_e32 v3, v0, v2
	v_max_f32_e32 v0, v0, v2
	v_cndmask_b32_e32 v2, v0, v3, vcc
	v_and_b32_e32 v0, 0x7f800000, v2
	v_cmp_ne_u32_e64 s[28:29], s92, v0
                                        ; implicit-def: $vgpr0
	s_and_saveexec_b64 s[34:35], s[28:29]
	s_xor_b64 s[28:29], exec, s[34:35]
; %bb.532:                              ;   in Loop: Header=BB12_303 Depth=3
	v_bfe_u32 v0, v2, 16, 1
	v_add3_u32 v0, v2, v0, s93
                                        ; implicit-def: $vgpr2
; %bb.533:                              ;   in Loop: Header=BB12_303 Depth=3
	s_andn2_saveexec_b64 s[34:35], s[28:29]
; %bb.534:                              ;   in Loop: Header=BB12_303 Depth=3
	v_or_b32_e32 v0, 0x10000, v2
	v_cmp_eq_u32_sdwa s[28:29], v2, v42 src0_sel:WORD_0 src1_sel:DWORD
	v_cndmask_b32_e64 v0, v0, v2, s[28:29]
; %bb.535:                              ;   in Loop: Header=BB12_303 Depth=3
	s_or_b64 exec, exec, s[34:35]
	v_and_b32_e32 v2, 0xffff0000, v22
	v_and_b32_e32 v3, 0xffff0000, v18
	v_max_f32_e32 v3, v3, v3
	v_max_f32_e32 v2, v2, v2
	v_min_f32_e32 v18, v2, v3
	v_max_f32_e32 v2, v2, v3
	v_cndmask_b32_e32 v2, v2, v18, vcc
	v_and_b32_e32 v3, 0x7f800000, v2
	v_cmp_ne_u32_e64 s[28:29], s92, v3
                                        ; implicit-def: $vgpr18
	s_and_saveexec_b64 s[34:35], s[28:29]
	s_xor_b64 s[28:29], exec, s[34:35]
; %bb.536:                              ;   in Loop: Header=BB12_303 Depth=3
	v_bfe_u32 v3, v2, 16, 1
	v_add3_u32 v18, v2, v3, s93
                                        ; implicit-def: $vgpr2
; %bb.537:                              ;   in Loop: Header=BB12_303 Depth=3
	s_andn2_saveexec_b64 s[34:35], s[28:29]
; %bb.538:                              ;   in Loop: Header=BB12_303 Depth=3
	v_or_b32_e32 v3, 0x10000, v2
	v_cmp_eq_u32_sdwa s[28:29], v2, v42 src0_sel:WORD_0 src1_sel:DWORD
	v_cndmask_b32_e64 v18, v3, v2, s[28:29]
; %bb.539:                              ;   in Loop: Header=BB12_303 Depth=3
	s_or_b64 exec, exec, s[34:35]
	v_lshlrev_b32_e32 v2, 16, v23
	v_lshlrev_b32_e32 v3, 16, v19
	v_max_f32_e32 v3, v3, v3
	v_max_f32_e32 v2, v2, v2
	v_min_f32_e32 v20, v2, v3
	v_max_f32_e32 v2, v2, v3
	v_cndmask_b32_e32 v2, v2, v20, vcc
	v_and_b32_e32 v3, 0x7f800000, v2
	v_cmp_ne_u32_e64 s[28:29], s92, v3
                                        ; implicit-def: $vgpr20
	s_and_saveexec_b64 s[34:35], s[28:29]
	s_xor_b64 s[28:29], exec, s[34:35]
; %bb.540:                              ;   in Loop: Header=BB12_303 Depth=3
	v_bfe_u32 v3, v2, 16, 1
	v_add3_u32 v20, v2, v3, s93
                                        ; implicit-def: $vgpr2
; %bb.541:                              ;   in Loop: Header=BB12_303 Depth=3
	s_andn2_saveexec_b64 s[34:35], s[28:29]
; %bb.542:                              ;   in Loop: Header=BB12_303 Depth=3
	v_or_b32_e32 v3, 0x10000, v2
	v_cmp_eq_u32_sdwa s[28:29], v2, v42 src0_sel:WORD_0 src1_sel:DWORD
	v_cndmask_b32_e64 v20, v3, v2, s[28:29]
; %bb.543:                              ;   in Loop: Header=BB12_303 Depth=3
	s_or_b64 exec, exec, s[34:35]
	v_and_b32_e32 v2, 0xffff0000, v23
	v_and_b32_e32 v3, 0xffff0000, v19
	v_max_f32_e32 v3, v3, v3
	v_max_f32_e32 v2, v2, v2
	v_min_f32_e32 v19, v2, v3
	v_max_f32_e32 v2, v2, v3
	v_cndmask_b32_e32 v2, v2, v19, vcc
	v_and_b32_e32 v3, 0x7f800000, v2
	v_cmp_ne_u32_e64 s[28:29], s92, v3
                                        ; implicit-def: $vgpr19
	s_and_saveexec_b64 s[34:35], s[28:29]
	s_xor_b64 s[28:29], exec, s[34:35]
; %bb.544:                              ;   in Loop: Header=BB12_303 Depth=3
	v_bfe_u32 v3, v2, 16, 1
	v_add3_u32 v19, v2, v3, s93
                                        ; implicit-def: $vgpr2
; %bb.545:                              ;   in Loop: Header=BB12_303 Depth=3
	s_andn2_saveexec_b64 s[34:35], s[28:29]
; %bb.546:                              ;   in Loop: Header=BB12_303 Depth=3
	v_or_b32_e32 v3, 0x10000, v2
	v_cmp_eq_u32_sdwa s[28:29], v2, v42 src0_sel:WORD_0 src1_sel:DWORD
	v_cndmask_b32_e64 v19, v3, v2, s[28:29]
; %bb.547:                              ;   in Loop: Header=BB12_303 Depth=3
	s_or_b64 exec, exec, s[34:35]
	v_lshlrev_b32_e32 v2, 16, v12
	v_lshlrev_b32_e32 v3, 16, v8
	v_max_f32_e32 v3, v3, v3
	v_max_f32_e32 v2, v2, v2
	v_min_f32_e32 v21, v2, v3
	v_max_f32_e32 v2, v2, v3
	v_cndmask_b32_e32 v2, v2, v21, vcc
	v_and_b32_e32 v3, 0x7f800000, v2
	v_cmp_ne_u32_e64 s[28:29], s92, v3
                                        ; implicit-def: $vgpr21
	s_and_saveexec_b64 s[34:35], s[28:29]
	s_xor_b64 s[28:29], exec, s[34:35]
; %bb.548:                              ;   in Loop: Header=BB12_303 Depth=3
	v_bfe_u32 v3, v2, 16, 1
	v_add3_u32 v21, v2, v3, s93
                                        ; implicit-def: $vgpr2
; %bb.549:                              ;   in Loop: Header=BB12_303 Depth=3
	s_andn2_saveexec_b64 s[34:35], s[28:29]
; %bb.550:                              ;   in Loop: Header=BB12_303 Depth=3
	v_or_b32_e32 v3, 0x10000, v2
	v_cmp_eq_u32_sdwa s[28:29], v2, v42 src0_sel:WORD_0 src1_sel:DWORD
	v_cndmask_b32_e64 v21, v3, v2, s[28:29]
; %bb.551:                              ;   in Loop: Header=BB12_303 Depth=3
	s_or_b64 exec, exec, s[34:35]
	v_and_b32_e32 v2, 0xffff0000, v12
	v_and_b32_e32 v3, 0xffff0000, v8
	v_max_f32_e32 v3, v3, v3
	v_max_f32_e32 v2, v2, v2
	v_min_f32_e32 v8, v2, v3
	v_max_f32_e32 v2, v2, v3
	v_cndmask_b32_e32 v2, v2, v8, vcc
	v_and_b32_e32 v3, 0x7f800000, v2
	v_cmp_ne_u32_e64 s[28:29], s92, v3
                                        ; implicit-def: $vgpr8
	s_and_saveexec_b64 s[34:35], s[28:29]
	s_xor_b64 s[28:29], exec, s[34:35]
; %bb.552:                              ;   in Loop: Header=BB12_303 Depth=3
	v_bfe_u32 v3, v2, 16, 1
	v_add3_u32 v8, v2, v3, s93
                                        ; implicit-def: $vgpr2
; %bb.553:                              ;   in Loop: Header=BB12_303 Depth=3
	s_andn2_saveexec_b64 s[34:35], s[28:29]
; %bb.554:                              ;   in Loop: Header=BB12_303 Depth=3
	v_or_b32_e32 v3, 0x10000, v2
	v_cmp_eq_u32_sdwa s[28:29], v2, v42 src0_sel:WORD_0 src1_sel:DWORD
	v_cndmask_b32_e64 v8, v3, v2, s[28:29]
; %bb.555:                              ;   in Loop: Header=BB12_303 Depth=3
	s_or_b64 exec, exec, s[34:35]
	v_lshlrev_b32_e32 v2, 16, v13
	v_lshlrev_b32_e32 v3, 16, v9
	v_max_f32_e32 v3, v3, v3
	v_max_f32_e32 v2, v2, v2
	v_min_f32_e32 v12, v2, v3
	v_max_f32_e32 v2, v2, v3
	v_cndmask_b32_e32 v3, v2, v12, vcc
	v_and_b32_e32 v2, 0x7f800000, v3
	v_cmp_ne_u32_e64 s[28:29], s92, v2
                                        ; implicit-def: $vgpr2
	s_and_saveexec_b64 s[34:35], s[28:29]
	s_xor_b64 s[28:29], exec, s[34:35]
; %bb.556:                              ;   in Loop: Header=BB12_303 Depth=3
	v_bfe_u32 v2, v3, 16, 1
	v_add3_u32 v2, v3, v2, s93
                                        ; implicit-def: $vgpr3
; %bb.557:                              ;   in Loop: Header=BB12_303 Depth=3
	s_andn2_saveexec_b64 s[34:35], s[28:29]
; %bb.558:                              ;   in Loop: Header=BB12_303 Depth=3
	v_or_b32_e32 v2, 0x10000, v3
	v_cmp_eq_u32_sdwa s[28:29], v3, v42 src0_sel:WORD_0 src1_sel:DWORD
	v_cndmask_b32_e64 v2, v2, v3, s[28:29]
; %bb.559:                              ;   in Loop: Header=BB12_303 Depth=3
	s_or_b64 exec, exec, s[34:35]
	v_and_b32_e32 v3, 0xffff0000, v13
	v_and_b32_e32 v9, 0xffff0000, v9
	v_max_f32_e32 v9, v9, v9
	v_max_f32_e32 v3, v3, v3
	v_min_f32_e32 v12, v3, v9
	v_max_f32_e32 v3, v3, v9
	v_cndmask_b32_e32 v9, v3, v12, vcc
	v_and_b32_e32 v3, 0x7f800000, v9
	v_cmp_ne_u32_e64 s[28:29], s92, v3
                                        ; implicit-def: $vgpr3
	s_and_saveexec_b64 s[34:35], s[28:29]
	s_xor_b64 s[28:29], exec, s[34:35]
; %bb.560:                              ;   in Loop: Header=BB12_303 Depth=3
	v_bfe_u32 v3, v9, 16, 1
	v_add3_u32 v3, v9, v3, s93
                                        ; implicit-def: $vgpr9
; %bb.561:                              ;   in Loop: Header=BB12_303 Depth=3
	s_andn2_saveexec_b64 s[34:35], s[28:29]
; %bb.562:                              ;   in Loop: Header=BB12_303 Depth=3
	v_or_b32_e32 v3, 0x10000, v9
	v_cmp_eq_u32_sdwa s[28:29], v9, v42 src0_sel:WORD_0 src1_sel:DWORD
	v_cndmask_b32_e64 v3, v3, v9, s[28:29]
; %bb.563:                              ;   in Loop: Header=BB12_303 Depth=3
	s_or_b64 exec, exec, s[34:35]
	v_lshlrev_b32_e32 v9, 16, v14
	v_lshlrev_b32_e32 v12, 16, v10
	v_max_f32_e32 v12, v12, v12
	v_max_f32_e32 v9, v9, v9
	v_min_f32_e32 v13, v9, v12
	v_max_f32_e32 v9, v9, v12
	v_cndmask_b32_e32 v12, v9, v13, vcc
	v_and_b32_e32 v9, 0x7f800000, v12
	v_cmp_ne_u32_e64 s[28:29], s92, v9
                                        ; implicit-def: $vgpr9
	s_and_saveexec_b64 s[34:35], s[28:29]
	s_xor_b64 s[28:29], exec, s[34:35]
; %bb.564:                              ;   in Loop: Header=BB12_303 Depth=3
	v_bfe_u32 v9, v12, 16, 1
	v_add3_u32 v9, v12, v9, s93
                                        ; implicit-def: $vgpr12
; %bb.565:                              ;   in Loop: Header=BB12_303 Depth=3
	s_andn2_saveexec_b64 s[34:35], s[28:29]
; %bb.566:                              ;   in Loop: Header=BB12_303 Depth=3
	v_or_b32_e32 v9, 0x10000, v12
	v_cmp_eq_u32_sdwa s[28:29], v12, v42 src0_sel:WORD_0 src1_sel:DWORD
	v_cndmask_b32_e64 v9, v9, v12, s[28:29]
; %bb.567:                              ;   in Loop: Header=BB12_303 Depth=3
	s_or_b64 exec, exec, s[34:35]
	v_and_b32_e32 v12, 0xffff0000, v14
	v_and_b32_e32 v10, 0xffff0000, v10
	v_max_f32_e32 v10, v10, v10
	v_max_f32_e32 v12, v12, v12
	v_min_f32_e32 v13, v12, v10
	v_max_f32_e32 v10, v12, v10
	v_cndmask_b32_e32 v12, v10, v13, vcc
	v_and_b32_e32 v10, 0x7f800000, v12
	v_cmp_ne_u32_e64 s[28:29], s92, v10
                                        ; implicit-def: $vgpr10
	s_and_saveexec_b64 s[34:35], s[28:29]
	s_xor_b64 s[28:29], exec, s[34:35]
; %bb.568:                              ;   in Loop: Header=BB12_303 Depth=3
	v_bfe_u32 v10, v12, 16, 1
	v_add3_u32 v10, v12, v10, s93
                                        ; implicit-def: $vgpr12
; %bb.569:                              ;   in Loop: Header=BB12_303 Depth=3
	s_andn2_saveexec_b64 s[34:35], s[28:29]
; %bb.570:                              ;   in Loop: Header=BB12_303 Depth=3
	v_or_b32_e32 v10, 0x10000, v12
	v_cmp_eq_u32_sdwa s[28:29], v12, v42 src0_sel:WORD_0 src1_sel:DWORD
	v_cndmask_b32_e64 v10, v10, v12, s[28:29]
; %bb.571:                              ;   in Loop: Header=BB12_303 Depth=3
	s_or_b64 exec, exec, s[34:35]
	v_lshlrev_b32_e32 v12, 16, v15
	v_lshlrev_b32_e32 v13, 16, v11
	v_max_f32_e32 v13, v13, v13
	v_max_f32_e32 v12, v12, v12
	v_min_f32_e32 v14, v12, v13
	v_max_f32_e32 v12, v12, v13
	v_cndmask_b32_e32 v13, v12, v14, vcc
	v_and_b32_e32 v12, 0x7f800000, v13
	v_cmp_ne_u32_e64 s[28:29], s92, v12
                                        ; implicit-def: $vgpr12
	s_and_saveexec_b64 s[34:35], s[28:29]
	s_xor_b64 s[28:29], exec, s[34:35]
; %bb.572:                              ;   in Loop: Header=BB12_303 Depth=3
	v_bfe_u32 v12, v13, 16, 1
	v_add3_u32 v12, v13, v12, s93
                                        ; implicit-def: $vgpr13
; %bb.573:                              ;   in Loop: Header=BB12_303 Depth=3
	s_andn2_saveexec_b64 s[34:35], s[28:29]
; %bb.574:                              ;   in Loop: Header=BB12_303 Depth=3
	v_or_b32_e32 v12, 0x10000, v13
	v_cmp_eq_u32_sdwa s[28:29], v13, v42 src0_sel:WORD_0 src1_sel:DWORD
	v_cndmask_b32_e64 v12, v12, v13, s[28:29]
; %bb.575:                              ;   in Loop: Header=BB12_303 Depth=3
	s_or_b64 exec, exec, s[34:35]
	v_and_b32_e32 v13, 0xffff0000, v15
	v_and_b32_e32 v11, 0xffff0000, v11
	v_max_f32_e32 v11, v11, v11
	v_max_f32_e32 v13, v13, v13
	v_min_f32_e32 v14, v13, v11
	v_max_f32_e32 v11, v13, v11
	v_cndmask_b32_e32 v13, v11, v14, vcc
	v_and_b32_e32 v11, 0x7f800000, v13
	v_cmp_ne_u32_e32 vcc, s92, v11
                                        ; implicit-def: $vgpr11
	s_and_saveexec_b64 s[28:29], vcc
	s_xor_b64 s[28:29], exec, s[28:29]
; %bb.576:                              ;   in Loop: Header=BB12_303 Depth=3
	v_bfe_u32 v11, v13, 16, 1
	v_add3_u32 v11, v13, v11, s93
                                        ; implicit-def: $vgpr13
; %bb.577:                              ;   in Loop: Header=BB12_303 Depth=3
	s_andn2_saveexec_b64 s[28:29], s[28:29]
; %bb.578:                              ;   in Loop: Header=BB12_303 Depth=3
	v_or_b32_e32 v11, 0x10000, v13
	v_cmp_eq_u32_sdwa vcc, v13, v42 src0_sel:WORD_0 src1_sel:DWORD
	v_cndmask_b32_e32 v11, v11, v13, vcc
; %bb.579:                              ;   in Loop: Header=BB12_303 Depth=3
	s_or_b64 exec, exec, s[28:29]
	v_lshrrev_b32_e32 v0, 16, v0
	v_lshrrev_b32_e32 v13, 16, v16
	v_and_or_b32 v16, v18, s94, v0
	v_lshrrev_b32_e32 v0, 16, v20
	v_and_or_b32 v15, v17, s94, v13
	;; [unrolled: 2-line block ×4, first 2 shown]
	v_and_or_b32 v7, v3, s94, v0
	v_lshrrev_b32_e32 v0, 16, v21
	v_and_or_b32 v6, v8, s94, v0
	v_lshrrev_b32_e32 v0, 16, v9
	;; [unrolled: 2-line block ×3, first 2 shown]
	v_and_or_b32 v9, v11, s94, v0
	global_store_dwordx4 v[4:5], v[14:17], off glc slc
	global_store_dwordx4 v[4:5], v[6:9], off offset:1024 glc slc
.LBB12_580:                             ;   in Loop: Header=BB12_303 Depth=3
	s_or_b64 exec, exec, s[30:31]
	v_lshlrev_b32_e32 v6, 11, v28
	v_cmp_ne_u32_e32 vcc, v55, v6
                                        ; implicit-def: $vgpr11
                                        ; implicit-def: $vgpr12
                                        ; implicit-def: $vgpr10
                                        ; implicit-def: $vgpr4
	s_and_saveexec_b64 s[60:61], vcc
	s_cbranch_execz .LBB12_695
; %bb.581:                              ;   in Loop: Header=BB12_303 Depth=3
	v_lshlrev_b32_e32 v2, 6, v57
	v_accvgpr_read_b32 v3, a38
	v_sub_u32_e32 v2, v3, v2
	v_ashrrev_i32_e32 v3, 31, v2
	v_lshrrev_b32_e32 v3, 26, v3
	v_add_u32_e32 v3, v2, v3
	v_ashrrev_i32_e32 v5, 6, v3
	v_and_b32_e32 v3, 0xffffffc0, v3
	v_sub_u32_e32 v8, v2, v3
	v_lshlrev_b32_e32 v2, 4, v8
	v_sub_u32_e32 v0, v55, v6
	v_lshl_add_u32 v2, v5, 10, v2
	v_add_u32_e32 v4, v2, v6
	v_sub_u32_e32 v11, v0, v2
	v_ashrrev_i32_e32 v2, 31, v0
	v_lshrrev_b32_e32 v2, 22, v2
	v_add_u32_e32 v2, v0, v2
	v_and_b32_e32 v10, 0xfffffc00, v2
	v_sub_u32_e32 v13, v0, v10
	v_ashrrev_i32_e32 v3, 10, v2
	v_cmp_lt_i32_e64 s[28:29], 15, v13
	v_addc_co_u32_e64 v0, vcc, 0, v3, s[28:29]
	v_ashrrev_i32_e32 v7, 31, v4
	v_add_co_u32_e32 v2, vcc, v4, v26
	v_addc_co_u32_e32 v3, vcc, v7, v27, vcc
	v_sub_u32_e32 v14, v0, v5
	v_cmp_lt_i32_e32 vcc, 15, v11
	s_mov_b64 s[30:31], 0
	s_and_saveexec_b64 s[62:63], vcc
	s_cbranch_execz .LBB12_658
; %bb.582:                              ;   in Loop: Header=BB12_303 Depth=3
	s_trap 2
	ds_read_b128 v[16:19], v0
	v_cmp_eq_u16_e64 s[30:31], 0, v25
	s_mov_b64 s[68:69], 0
	s_mov_b64 s[64:65], 0
                                        ; implicit-def: $sgpr66_sgpr67
	s_waitcnt lgkmcnt(0)
	v_add_co_u32_e32 v0, vcc, v16, v4
	v_addc_co_u32_e32 v5, vcc, v17, v7, vcc
	v_add_co_u32_e32 v4, vcc, v18, v4
	v_addc_co_u32_e32 v9, vcc, v19, v7, vcc
	s_branch .LBB12_584
.LBB12_583:                             ;   in Loop: Header=BB12_584 Depth=4
	s_or_b64 exec, exec, s[34:35]
	v_cmp_gt_i32_e32 vcc, 16, v11
	s_or_b64 s[64:65], vcc, s[64:65]
	s_andn2_b64 vcc, s[66:67], exec
	s_and_b64 s[34:35], s[68:69], exec
	s_or_b64 s[66:67], vcc, s[34:35]
	s_andn2_b64 exec, exec, s[64:65]
	s_cbranch_execz .LBB12_657
.LBB12_584:                             ;   Parent Loop BB12_47 Depth=1
                                        ;     Parent Loop BB12_300 Depth=2
                                        ;       Parent Loop BB12_303 Depth=3
                                        ; =>      This Loop Header: Depth=4
                                        ;           Child Loop BB12_585 Depth 5
                                        ;           Child Loop BB12_622 Depth 5
	v_lshrrev_b32_e64 v7, 6, s33
	v_add_u32_e32 v7, 0xc0, v7
	s_mov_b64 s[70:71], -1
	s_mov_b64 s[72:73], 0
.LBB12_585:                             ;   Parent Loop BB12_47 Depth=1
                                        ;     Parent Loop BB12_300 Depth=2
                                        ;       Parent Loop BB12_303 Depth=3
                                        ;         Parent Loop BB12_584 Depth=4
                                        ; =>        This Inner Loop Header: Depth=5
	s_cmp_eq_u32 s72, 1
	s_cselect_b64 s[34:35], -1, 0
	v_cndmask_b32_e64 v21, v5, v9, s[34:35]
	v_cndmask_b32_e64 v20, v0, v4, s[34:35]
	global_load_dwordx4 v[16:19], v[20:21], off glc slc
	v_add_co_u32_e32 v12, vcc, s79, v20
	s_cmp_eq_u32 s72, 0
	v_addc_co_u32_e32 v15, vcc, 0, v21, vcc
	s_cselect_b64 vcc, -1, 0
	s_and_b64 s[36:37], exec, s[70:71]
	s_mov_b64 s[72:73], 1
	v_cndmask_b32_e64 v4, v4, v12, s[34:35]
	s_mov_b64 s[70:71], 0
	v_cndmask_b32_e32 v5, v5, v15, vcc
	v_cndmask_b32_e32 v0, v0, v12, vcc
	v_cndmask_b32_e64 v9, v9, v15, s[34:35]
	s_mov_b64 vcc, s[36:37]
	s_waitcnt vmcnt(0)
	buffer_store_dword v17, v7, s[0:3], 0 offen offset:4
	buffer_store_dword v16, v7, s[0:3], 0 offen
	buffer_store_dword v19, v7, s[0:3], 0 offen offset:12
	buffer_store_dword v18, v7, s[0:3], 0 offen offset:8
	v_mov_b32_e32 v7, v1
	s_cbranch_vccnz .LBB12_585
; %bb.586:                              ;   in Loop: Header=BB12_584 Depth=4
	s_and_saveexec_b64 s[34:35], s[68:69]
	s_cbranch_execz .LBB12_620
; %bb.587:                              ;   in Loop: Header=BB12_584 Depth=4
	buffer_load_dword v16, off, s[0:3], s33 offset:224
	buffer_load_dword v17, off, s[0:3], s33 offset:240
	;; [unrolled: 1-line block ×8, first 2 shown]
	s_waitcnt vmcnt(7)
	v_lshlrev_b32_e32 v7, 16, v16
	s_waitcnt vmcnt(6)
	v_lshlrev_b32_e32 v22, 16, v17
	v_max_f32_e32 v22, v22, v22
	v_max_f32_e32 v7, v7, v7
	v_min_f32_e32 v23, v7, v22
	v_max_f32_e32 v7, v7, v22
	v_cndmask_b32_e64 v22, v7, v23, s[30:31]
	v_and_b32_e32 v7, 0x7f800000, v22
	v_cmp_ne_u32_e32 vcc, s92, v7
                                        ; implicit-def: $vgpr7
	s_and_saveexec_b64 s[36:37], vcc
	s_xor_b64 vcc, exec, s[36:37]
; %bb.588:                              ;   in Loop: Header=BB12_584 Depth=4
	v_bfe_u32 v7, v22, 16, 1
	v_add3_u32 v7, v22, v7, s93
                                        ; implicit-def: $vgpr22
; %bb.589:                              ;   in Loop: Header=BB12_584 Depth=4
	s_andn2_saveexec_b64 s[36:37], vcc
; %bb.590:                              ;   in Loop: Header=BB12_584 Depth=4
	v_or_b32_e32 v7, 0x10000, v22
	v_cmp_eq_u32_sdwa vcc, v22, v42 src0_sel:WORD_0 src1_sel:DWORD
	v_cndmask_b32_e32 v7, v7, v22, vcc
; %bb.591:                              ;   in Loop: Header=BB12_584 Depth=4
	s_or_b64 exec, exec, s[36:37]
	v_and_b32_e32 v16, 0xffff0000, v16
	v_and_b32_e32 v17, 0xffff0000, v17
	v_max_f32_e32 v17, v17, v17
	v_max_f32_e32 v16, v16, v16
	v_min_f32_e32 v22, v16, v17
	v_max_f32_e32 v16, v16, v17
	v_cndmask_b32_e64 v17, v16, v22, s[30:31]
	v_and_b32_e32 v16, 0x7f800000, v17
	v_cmp_ne_u32_e32 vcc, s92, v16
                                        ; implicit-def: $vgpr16
	s_and_saveexec_b64 s[36:37], vcc
	s_xor_b64 vcc, exec, s[36:37]
; %bb.592:                              ;   in Loop: Header=BB12_584 Depth=4
	v_bfe_u32 v16, v17, 16, 1
	v_add3_u32 v16, v17, v16, s93
                                        ; implicit-def: $vgpr17
; %bb.593:                              ;   in Loop: Header=BB12_584 Depth=4
	s_andn2_saveexec_b64 s[36:37], vcc
; %bb.594:                              ;   in Loop: Header=BB12_584 Depth=4
	v_or_b32_e32 v16, 0x10000, v17
	v_cmp_eq_u32_sdwa vcc, v17, v42 src0_sel:WORD_0 src1_sel:DWORD
	v_cndmask_b32_e32 v16, v16, v17, vcc
; %bb.595:                              ;   in Loop: Header=BB12_584 Depth=4
	s_or_b64 exec, exec, s[36:37]
	s_waitcnt vmcnt(5)
	v_lshlrev_b32_e32 v17, 16, v20
	s_waitcnt vmcnt(2)
	v_lshlrev_b32_e32 v22, 16, v21
	v_max_f32_e32 v22, v22, v22
	v_max_f32_e32 v17, v17, v17
	v_min_f32_e32 v23, v17, v22
	v_max_f32_e32 v17, v17, v22
	v_cndmask_b32_e64 v22, v17, v23, s[30:31]
	v_and_b32_e32 v17, 0x7f800000, v22
	v_cmp_ne_u32_e32 vcc, s92, v17
                                        ; implicit-def: $vgpr17
	s_and_saveexec_b64 s[36:37], vcc
	s_xor_b64 vcc, exec, s[36:37]
; %bb.596:                              ;   in Loop: Header=BB12_584 Depth=4
	v_bfe_u32 v17, v22, 16, 1
	v_add3_u32 v17, v22, v17, s93
                                        ; implicit-def: $vgpr22
; %bb.597:                              ;   in Loop: Header=BB12_584 Depth=4
	s_andn2_saveexec_b64 s[36:37], vcc
; %bb.598:                              ;   in Loop: Header=BB12_584 Depth=4
	v_or_b32_e32 v17, 0x10000, v22
	v_cmp_eq_u32_sdwa vcc, v22, v42 src0_sel:WORD_0 src1_sel:DWORD
	v_cndmask_b32_e32 v17, v17, v22, vcc
; %bb.599:                              ;   in Loop: Header=BB12_584 Depth=4
	s_or_b64 exec, exec, s[36:37]
	v_and_b32_e32 v20, 0xffff0000, v20
	v_and_b32_e32 v21, 0xffff0000, v21
	v_max_f32_e32 v21, v21, v21
	v_max_f32_e32 v20, v20, v20
	v_min_f32_e32 v22, v20, v21
	v_max_f32_e32 v20, v20, v21
	v_cndmask_b32_e64 v21, v20, v22, s[30:31]
	v_and_b32_e32 v20, 0x7f800000, v21
	v_cmp_ne_u32_e32 vcc, s92, v20
                                        ; implicit-def: $vgpr20
	s_and_saveexec_b64 s[36:37], vcc
	s_xor_b64 vcc, exec, s[36:37]
; %bb.600:                              ;   in Loop: Header=BB12_584 Depth=4
	v_bfe_u32 v20, v21, 16, 1
	v_add3_u32 v20, v21, v20, s93
                                        ; implicit-def: $vgpr21
; %bb.601:                              ;   in Loop: Header=BB12_584 Depth=4
	s_andn2_saveexec_b64 s[36:37], vcc
; %bb.602:                              ;   in Loop: Header=BB12_584 Depth=4
	v_or_b32_e32 v20, 0x10000, v21
	v_cmp_eq_u32_sdwa vcc, v21, v42 src0_sel:WORD_0 src1_sel:DWORD
	v_cndmask_b32_e32 v20, v20, v21, vcc
; %bb.603:                              ;   in Loop: Header=BB12_584 Depth=4
	s_or_b64 exec, exec, s[36:37]
	v_lshlrev_b32_e32 v21, 16, v18
	s_waitcnt vmcnt(1)
	v_lshlrev_b32_e32 v22, 16, v19
	v_max_f32_e32 v22, v22, v22
	v_max_f32_e32 v21, v21, v21
	v_min_f32_e32 v23, v21, v22
	v_max_f32_e32 v21, v21, v22
	v_cndmask_b32_e64 v22, v21, v23, s[30:31]
	v_and_b32_e32 v21, 0x7f800000, v22
	v_cmp_ne_u32_e32 vcc, s92, v21
                                        ; implicit-def: $vgpr21
	s_and_saveexec_b64 s[36:37], vcc
	s_xor_b64 vcc, exec, s[36:37]
; %bb.604:                              ;   in Loop: Header=BB12_584 Depth=4
	v_bfe_u32 v21, v22, 16, 1
	v_add3_u32 v21, v22, v21, s93
                                        ; implicit-def: $vgpr22
; %bb.605:                              ;   in Loop: Header=BB12_584 Depth=4
	s_andn2_saveexec_b64 s[36:37], vcc
; %bb.606:                              ;   in Loop: Header=BB12_584 Depth=4
	v_or_b32_e32 v21, 0x10000, v22
	v_cmp_eq_u32_sdwa vcc, v22, v42 src0_sel:WORD_0 src1_sel:DWORD
	v_cndmask_b32_e32 v21, v21, v22, vcc
; %bb.607:                              ;   in Loop: Header=BB12_584 Depth=4
	s_or_b64 exec, exec, s[36:37]
	v_and_b32_e32 v18, 0xffff0000, v18
	v_and_b32_e32 v19, 0xffff0000, v19
	v_max_f32_e32 v19, v19, v19
	v_max_f32_e32 v18, v18, v18
	v_min_f32_e32 v22, v18, v19
	v_max_f32_e32 v18, v18, v19
	v_cndmask_b32_e64 v19, v18, v22, s[30:31]
	v_and_b32_e32 v18, 0x7f800000, v19
	v_cmp_ne_u32_e32 vcc, s92, v18
                                        ; implicit-def: $vgpr18
	s_and_saveexec_b64 s[36:37], vcc
	s_xor_b64 vcc, exec, s[36:37]
; %bb.608:                              ;   in Loop: Header=BB12_584 Depth=4
	v_bfe_u32 v18, v19, 16, 1
	v_add3_u32 v18, v19, v18, s93
                                        ; implicit-def: $vgpr19
; %bb.609:                              ;   in Loop: Header=BB12_584 Depth=4
	s_andn2_saveexec_b64 s[36:37], vcc
; %bb.610:                              ;   in Loop: Header=BB12_584 Depth=4
	v_or_b32_e32 v18, 0x10000, v19
	v_cmp_eq_u32_sdwa vcc, v19, v42 src0_sel:WORD_0 src1_sel:DWORD
	v_cndmask_b32_e32 v18, v18, v19, vcc
; %bb.611:                              ;   in Loop: Header=BB12_584 Depth=4
	s_or_b64 exec, exec, s[36:37]
	v_lshlrev_b32_e32 v19, 16, v12
	s_waitcnt vmcnt(0)
	v_lshlrev_b32_e32 v22, 16, v15
	v_max_f32_e32 v22, v22, v22
	v_max_f32_e32 v19, v19, v19
	v_min_f32_e32 v23, v19, v22
	v_max_f32_e32 v19, v19, v22
	v_cndmask_b32_e64 v22, v19, v23, s[30:31]
	v_and_b32_e32 v19, 0x7f800000, v22
	v_cmp_ne_u32_e32 vcc, s92, v19
                                        ; implicit-def: $vgpr19
	s_and_saveexec_b64 s[36:37], vcc
	s_xor_b64 vcc, exec, s[36:37]
; %bb.612:                              ;   in Loop: Header=BB12_584 Depth=4
	v_bfe_u32 v19, v22, 16, 1
	v_add3_u32 v19, v22, v19, s93
                                        ; implicit-def: $vgpr22
; %bb.613:                              ;   in Loop: Header=BB12_584 Depth=4
	s_andn2_saveexec_b64 s[36:37], vcc
; %bb.614:                              ;   in Loop: Header=BB12_584 Depth=4
	v_or_b32_e32 v19, 0x10000, v22
	v_cmp_eq_u32_sdwa vcc, v22, v42 src0_sel:WORD_0 src1_sel:DWORD
	v_cndmask_b32_e32 v19, v19, v22, vcc
; %bb.615:                              ;   in Loop: Header=BB12_584 Depth=4
	s_or_b64 exec, exec, s[36:37]
	v_and_b32_e32 v12, 0xffff0000, v12
	v_and_b32_e32 v15, 0xffff0000, v15
	v_max_f32_e32 v15, v15, v15
	v_max_f32_e32 v12, v12, v12
	v_min_f32_e32 v22, v12, v15
	v_max_f32_e32 v12, v12, v15
	v_cndmask_b32_e64 v15, v12, v22, s[30:31]
	v_and_b32_e32 v12, 0x7f800000, v15
	v_cmp_ne_u32_e32 vcc, s92, v12
                                        ; implicit-def: $vgpr12
	s_and_saveexec_b64 s[36:37], vcc
	s_xor_b64 vcc, exec, s[36:37]
; %bb.616:                              ;   in Loop: Header=BB12_584 Depth=4
	v_bfe_u32 v12, v15, 16, 1
	v_add3_u32 v12, v15, v12, s93
                                        ; implicit-def: $vgpr15
; %bb.617:                              ;   in Loop: Header=BB12_584 Depth=4
	s_andn2_saveexec_b64 s[36:37], vcc
; %bb.618:                              ;   in Loop: Header=BB12_584 Depth=4
	v_or_b32_e32 v12, 0x10000, v15
	v_cmp_eq_u32_sdwa vcc, v15, v42 src0_sel:WORD_0 src1_sel:DWORD
	v_cndmask_b32_e32 v12, v12, v15, vcc
; %bb.619:                              ;   in Loop: Header=BB12_584 Depth=4
	s_or_b64 exec, exec, s[36:37]
	v_lshrrev_b32_e32 v7, 16, v7
	v_and_or_b32 v16, v16, s94, v7
	v_lshrrev_b32_e32 v7, 16, v21
	v_lshrrev_b32_e32 v15, 16, v17
	v_and_or_b32 v18, v18, s94, v7
	v_lshrrev_b32_e32 v7, 16, v19
	v_and_or_b32 v17, v20, s94, v15
	v_and_or_b32 v19, v12, s94, v7
	v_accvgpr_read_b32 v7, a39
	buffer_store_dword v17, off, s[0:3], s33 offset:228
	buffer_store_dword v16, off, s[0:3], s33 offset:224
	;; [unrolled: 1-line block ×4, first 2 shown]
	global_store_dwordx4 v[2:3], v[16:19], off glc slc
	v_add_co_u32_e32 v2, vcc, v7, v2
	v_accvgpr_read_b32 v7, a40
	v_addc_co_u32_e32 v3, vcc, v7, v3, vcc
.LBB12_620:                             ;   in Loop: Header=BB12_584 Depth=4
	s_or_b64 exec, exec, s[34:35]
	v_accvgpr_read_b32 v12, a32
	v_add_co_u32_e32 v0, vcc, v0, v12
	v_accvgpr_read_b32 v7, a35
	v_addc_co_u32_e32 v5, vcc, v5, v7, vcc
	v_add_co_u32_e32 v4, vcc, v4, v12
	v_addc_co_u32_e32 v9, vcc, v9, v7, vcc
	v_accvgpr_read_b32 v7, a17
	v_sub_u32_e32 v11, v11, v7
	v_cmp_lt_i32_e64 s[68:69], 15, v11
	s_and_saveexec_b64 s[70:71], s[68:69]
	s_cbranch_execz .LBB12_623
; %bb.621:                              ;   in Loop: Header=BB12_584 Depth=4
	v_lshrrev_b32_e64 v7, 6, s33
	v_add_u32_e32 v7, 0xe0, v7
	s_mov_b64 s[74:75], 0
	s_mov_b64 s[72:73], -1
	v_accvgpr_read_b32 v22, a23
.LBB12_622:                             ;   Parent Loop BB12_47 Depth=1
                                        ;     Parent Loop BB12_300 Depth=2
                                        ;       Parent Loop BB12_303 Depth=3
                                        ;         Parent Loop BB12_584 Depth=4
                                        ; =>        This Inner Loop Header: Depth=5
	s_cmp_eq_u32 s74, 1
	s_cselect_b64 s[34:35], -1, 0
	v_cndmask_b32_e64 v21, v5, v9, s[34:35]
	v_cndmask_b32_e64 v20, v0, v4, s[34:35]
	global_load_dwordx4 v[16:19], v[20:21], off glc slc
	v_add_co_u32_e32 v12, vcc, s79, v20
	s_cmp_eq_u32 s74, 0
	v_addc_co_u32_e32 v15, vcc, 0, v21, vcc
	s_cselect_b64 vcc, -1, 0
	s_and_b64 s[36:37], exec, s[72:73]
	s_mov_b64 s[74:75], 1
	v_cndmask_b32_e64 v4, v4, v12, s[34:35]
	s_mov_b64 s[72:73], 0
	v_cndmask_b32_e32 v5, v5, v15, vcc
	v_cndmask_b32_e32 v0, v0, v12, vcc
	v_cndmask_b32_e64 v9, v9, v15, s[34:35]
	s_mov_b64 vcc, s[36:37]
	s_waitcnt vmcnt(0)
	buffer_store_dword v17, v7, s[0:3], 0 offen offset:4
	buffer_store_dword v16, v7, s[0:3], 0 offen
	buffer_store_dword v19, v7, s[0:3], 0 offen offset:12
	buffer_store_dword v18, v7, s[0:3], 0 offen offset:8
	v_mov_b32_e32 v7, v22
	s_cbranch_vccnz .LBB12_622
.LBB12_623:                             ;   in Loop: Header=BB12_584 Depth=4
	s_or_b64 exec, exec, s[70:71]
	buffer_load_dword v16, off, s[0:3], s33 offset:192
	buffer_load_dword v17, off, s[0:3], s33 offset:208
	;; [unrolled: 1-line block ×8, first 2 shown]
	s_waitcnt vmcnt(7)
	v_lshlrev_b32_e32 v7, 16, v16
	s_waitcnt vmcnt(6)
	v_lshlrev_b32_e32 v22, 16, v17
	v_max_f32_e32 v22, v22, v22
	v_max_f32_e32 v7, v7, v7
	v_min_f32_e32 v23, v7, v22
	v_max_f32_e32 v7, v7, v22
	v_cndmask_b32_e64 v22, v7, v23, s[30:31]
	v_and_b32_e32 v7, 0x7f800000, v22
	v_cmp_ne_u32_e32 vcc, s92, v7
                                        ; implicit-def: $vgpr7
	s_and_saveexec_b64 s[34:35], vcc
	s_xor_b64 vcc, exec, s[34:35]
; %bb.624:                              ;   in Loop: Header=BB12_584 Depth=4
	v_bfe_u32 v7, v22, 16, 1
	v_add3_u32 v7, v22, v7, s93
                                        ; implicit-def: $vgpr22
; %bb.625:                              ;   in Loop: Header=BB12_584 Depth=4
	s_andn2_saveexec_b64 s[34:35], vcc
; %bb.626:                              ;   in Loop: Header=BB12_584 Depth=4
	v_or_b32_e32 v7, 0x10000, v22
	v_cmp_eq_u32_sdwa vcc, v22, v42 src0_sel:WORD_0 src1_sel:DWORD
	v_cndmask_b32_e32 v7, v7, v22, vcc
; %bb.627:                              ;   in Loop: Header=BB12_584 Depth=4
	s_or_b64 exec, exec, s[34:35]
	v_and_b32_e32 v16, 0xffff0000, v16
	v_and_b32_e32 v17, 0xffff0000, v17
	v_max_f32_e32 v17, v17, v17
	v_max_f32_e32 v16, v16, v16
	v_min_f32_e32 v22, v16, v17
	v_max_f32_e32 v16, v16, v17
	v_cndmask_b32_e64 v17, v16, v22, s[30:31]
	v_and_b32_e32 v16, 0x7f800000, v17
	v_cmp_ne_u32_e32 vcc, s92, v16
                                        ; implicit-def: $vgpr16
	s_and_saveexec_b64 s[34:35], vcc
	s_xor_b64 vcc, exec, s[34:35]
; %bb.628:                              ;   in Loop: Header=BB12_584 Depth=4
	v_bfe_u32 v16, v17, 16, 1
	v_add3_u32 v16, v17, v16, s93
                                        ; implicit-def: $vgpr17
; %bb.629:                              ;   in Loop: Header=BB12_584 Depth=4
	s_andn2_saveexec_b64 s[34:35], vcc
; %bb.630:                              ;   in Loop: Header=BB12_584 Depth=4
	v_or_b32_e32 v16, 0x10000, v17
	v_cmp_eq_u32_sdwa vcc, v17, v42 src0_sel:WORD_0 src1_sel:DWORD
	v_cndmask_b32_e32 v16, v16, v17, vcc
; %bb.631:                              ;   in Loop: Header=BB12_584 Depth=4
	s_or_b64 exec, exec, s[34:35]
	s_waitcnt vmcnt(5)
	v_lshlrev_b32_e32 v17, 16, v20
	s_waitcnt vmcnt(2)
	v_lshlrev_b32_e32 v22, 16, v21
	v_max_f32_e32 v22, v22, v22
	v_max_f32_e32 v17, v17, v17
	v_min_f32_e32 v23, v17, v22
	v_max_f32_e32 v17, v17, v22
	v_cndmask_b32_e64 v22, v17, v23, s[30:31]
	v_and_b32_e32 v17, 0x7f800000, v22
	v_cmp_ne_u32_e32 vcc, s92, v17
                                        ; implicit-def: $vgpr17
	s_and_saveexec_b64 s[34:35], vcc
	s_xor_b64 vcc, exec, s[34:35]
; %bb.632:                              ;   in Loop: Header=BB12_584 Depth=4
	v_bfe_u32 v17, v22, 16, 1
	v_add3_u32 v17, v22, v17, s93
                                        ; implicit-def: $vgpr22
; %bb.633:                              ;   in Loop: Header=BB12_584 Depth=4
	s_andn2_saveexec_b64 s[34:35], vcc
; %bb.634:                              ;   in Loop: Header=BB12_584 Depth=4
	v_or_b32_e32 v17, 0x10000, v22
	v_cmp_eq_u32_sdwa vcc, v22, v42 src0_sel:WORD_0 src1_sel:DWORD
	v_cndmask_b32_e32 v17, v17, v22, vcc
; %bb.635:                              ;   in Loop: Header=BB12_584 Depth=4
	s_or_b64 exec, exec, s[34:35]
	v_and_b32_e32 v20, 0xffff0000, v20
	v_and_b32_e32 v21, 0xffff0000, v21
	v_max_f32_e32 v21, v21, v21
	v_max_f32_e32 v20, v20, v20
	v_min_f32_e32 v22, v20, v21
	v_max_f32_e32 v20, v20, v21
	v_cndmask_b32_e64 v21, v20, v22, s[30:31]
	v_and_b32_e32 v20, 0x7f800000, v21
	v_cmp_ne_u32_e32 vcc, s92, v20
                                        ; implicit-def: $vgpr20
	s_and_saveexec_b64 s[34:35], vcc
	s_xor_b64 vcc, exec, s[34:35]
; %bb.636:                              ;   in Loop: Header=BB12_584 Depth=4
	v_bfe_u32 v20, v21, 16, 1
	v_add3_u32 v20, v21, v20, s93
                                        ; implicit-def: $vgpr21
; %bb.637:                              ;   in Loop: Header=BB12_584 Depth=4
	s_andn2_saveexec_b64 s[34:35], vcc
; %bb.638:                              ;   in Loop: Header=BB12_584 Depth=4
	v_or_b32_e32 v20, 0x10000, v21
	v_cmp_eq_u32_sdwa vcc, v21, v42 src0_sel:WORD_0 src1_sel:DWORD
	v_cndmask_b32_e32 v20, v20, v21, vcc
; %bb.639:                              ;   in Loop: Header=BB12_584 Depth=4
	s_or_b64 exec, exec, s[34:35]
	v_lshlrev_b32_e32 v21, 16, v18
	s_waitcnt vmcnt(1)
	v_lshlrev_b32_e32 v22, 16, v19
	v_max_f32_e32 v22, v22, v22
	v_max_f32_e32 v21, v21, v21
	v_min_f32_e32 v23, v21, v22
	v_max_f32_e32 v21, v21, v22
	v_cndmask_b32_e64 v22, v21, v23, s[30:31]
	v_and_b32_e32 v21, 0x7f800000, v22
	v_cmp_ne_u32_e32 vcc, s92, v21
                                        ; implicit-def: $vgpr21
	s_and_saveexec_b64 s[34:35], vcc
	s_xor_b64 vcc, exec, s[34:35]
; %bb.640:                              ;   in Loop: Header=BB12_584 Depth=4
	v_bfe_u32 v21, v22, 16, 1
	v_add3_u32 v21, v22, v21, s93
                                        ; implicit-def: $vgpr22
; %bb.641:                              ;   in Loop: Header=BB12_584 Depth=4
	s_andn2_saveexec_b64 s[34:35], vcc
; %bb.642:                              ;   in Loop: Header=BB12_584 Depth=4
	v_or_b32_e32 v21, 0x10000, v22
	v_cmp_eq_u32_sdwa vcc, v22, v42 src0_sel:WORD_0 src1_sel:DWORD
	v_cndmask_b32_e32 v21, v21, v22, vcc
; %bb.643:                              ;   in Loop: Header=BB12_584 Depth=4
	s_or_b64 exec, exec, s[34:35]
	v_and_b32_e32 v18, 0xffff0000, v18
	v_and_b32_e32 v19, 0xffff0000, v19
	v_max_f32_e32 v19, v19, v19
	v_max_f32_e32 v18, v18, v18
	v_min_f32_e32 v22, v18, v19
	v_max_f32_e32 v18, v18, v19
	v_cndmask_b32_e64 v19, v18, v22, s[30:31]
	v_and_b32_e32 v18, 0x7f800000, v19
	v_cmp_ne_u32_e32 vcc, s92, v18
                                        ; implicit-def: $vgpr18
	s_and_saveexec_b64 s[34:35], vcc
	s_xor_b64 vcc, exec, s[34:35]
; %bb.644:                              ;   in Loop: Header=BB12_584 Depth=4
	v_bfe_u32 v18, v19, 16, 1
	v_add3_u32 v18, v19, v18, s93
                                        ; implicit-def: $vgpr19
; %bb.645:                              ;   in Loop: Header=BB12_584 Depth=4
	s_andn2_saveexec_b64 s[34:35], vcc
; %bb.646:                              ;   in Loop: Header=BB12_584 Depth=4
	v_or_b32_e32 v18, 0x10000, v19
	v_cmp_eq_u32_sdwa vcc, v19, v42 src0_sel:WORD_0 src1_sel:DWORD
	v_cndmask_b32_e32 v18, v18, v19, vcc
; %bb.647:                              ;   in Loop: Header=BB12_584 Depth=4
	s_or_b64 exec, exec, s[34:35]
	v_lshlrev_b32_e32 v19, 16, v12
	s_waitcnt vmcnt(0)
	v_lshlrev_b32_e32 v22, 16, v15
	v_max_f32_e32 v22, v22, v22
	v_max_f32_e32 v19, v19, v19
	v_min_f32_e32 v23, v19, v22
	v_max_f32_e32 v19, v19, v22
	v_cndmask_b32_e64 v22, v19, v23, s[30:31]
	v_and_b32_e32 v19, 0x7f800000, v22
	v_cmp_ne_u32_e32 vcc, s92, v19
                                        ; implicit-def: $vgpr19
	s_and_saveexec_b64 s[34:35], vcc
	s_xor_b64 vcc, exec, s[34:35]
; %bb.648:                              ;   in Loop: Header=BB12_584 Depth=4
	v_bfe_u32 v19, v22, 16, 1
	v_add3_u32 v19, v22, v19, s93
                                        ; implicit-def: $vgpr22
; %bb.649:                              ;   in Loop: Header=BB12_584 Depth=4
	s_andn2_saveexec_b64 s[34:35], vcc
; %bb.650:                              ;   in Loop: Header=BB12_584 Depth=4
	v_or_b32_e32 v19, 0x10000, v22
	v_cmp_eq_u32_sdwa vcc, v22, v42 src0_sel:WORD_0 src1_sel:DWORD
	v_cndmask_b32_e32 v19, v19, v22, vcc
; %bb.651:                              ;   in Loop: Header=BB12_584 Depth=4
	s_or_b64 exec, exec, s[34:35]
	v_and_b32_e32 v12, 0xffff0000, v12
	v_and_b32_e32 v15, 0xffff0000, v15
	v_max_f32_e32 v15, v15, v15
	v_max_f32_e32 v12, v12, v12
	v_min_f32_e32 v22, v12, v15
	v_max_f32_e32 v12, v12, v15
	v_cndmask_b32_e64 v15, v12, v22, s[30:31]
	v_and_b32_e32 v12, 0x7f800000, v15
	v_cmp_ne_u32_e32 vcc, s92, v12
                                        ; implicit-def: $vgpr12
	s_and_saveexec_b64 s[34:35], vcc
	s_xor_b64 vcc, exec, s[34:35]
; %bb.652:                              ;   in Loop: Header=BB12_584 Depth=4
	v_bfe_u32 v12, v15, 16, 1
	v_add3_u32 v12, v15, v12, s93
                                        ; implicit-def: $vgpr15
; %bb.653:                              ;   in Loop: Header=BB12_584 Depth=4
	s_andn2_saveexec_b64 s[34:35], vcc
; %bb.654:                              ;   in Loop: Header=BB12_584 Depth=4
	v_or_b32_e32 v12, 0x10000, v15
	v_cmp_eq_u32_sdwa vcc, v15, v42 src0_sel:WORD_0 src1_sel:DWORD
	v_cndmask_b32_e32 v12, v12, v15, vcc
; %bb.655:                              ;   in Loop: Header=BB12_584 Depth=4
	s_or_b64 exec, exec, s[34:35]
	v_lshrrev_b32_e32 v7, 16, v7
	v_and_or_b32 v16, v16, s94, v7
	v_lshrrev_b32_e32 v7, 16, v21
	v_lshrrev_b32_e32 v15, 16, v17
	v_and_or_b32 v18, v18, s94, v7
	v_lshrrev_b32_e32 v7, 16, v19
	v_and_or_b32 v17, v20, s94, v15
	v_and_or_b32 v19, v12, s94, v7
	v_accvgpr_read_b32 v22, a22
	buffer_store_dword v17, off, s[0:3], s33 offset:196
	buffer_store_dword v16, off, s[0:3], s33 offset:192
	;; [unrolled: 1-line block ×4, first 2 shown]
	global_store_dwordx4 v[2:3], v[16:19], off glc slc
	v_add_co_u32_e32 v2, vcc, 0x400, v2
	v_sub_u32_e32 v14, v14, v22
	v_addc_co_u32_e32 v3, vcc, 0, v3, vcc
	s_and_saveexec_b64 s[34:35], s[68:69]
	s_cbranch_execz .LBB12_583
; %bb.656:                              ;   in Loop: Header=BB12_584 Depth=4
	v_accvgpr_read_b32 v12, a32
	v_add_co_u32_e32 v0, vcc, v0, v12
	v_accvgpr_read_b32 v7, a35
	v_addc_co_u32_e32 v5, vcc, v5, v7, vcc
	v_add_co_u32_e32 v4, vcc, v4, v12
	v_addc_co_u32_e32 v9, vcc, v9, v7, vcc
	v_add_co_u32_e32 v2, vcc, v2, v12
	v_addc_co_u32_e32 v3, vcc, v3, v7, vcc
	v_accvgpr_read_b32 v7, a17
	v_accvgpr_read_b32 v12, a22
	v_sub_u32_e32 v11, v11, v7
	v_sub_u32_e32 v14, v14, v12
	s_branch .LBB12_583
.LBB12_657:                             ;   in Loop: Header=BB12_303 Depth=3
	s_or_b64 exec, exec, s[64:65]
	s_and_b64 s[30:31], s[66:67], exec
.LBB12_658:                             ;   in Loop: Header=BB12_303 Depth=3
	s_or_b64 exec, exec, s[62:63]
	s_and_saveexec_b64 s[34:35], s[30:31]
	s_cbranch_execz .LBB12_692
; %bb.659:                              ;   in Loop: Header=BB12_303 Depth=3
	buffer_load_dword v7, off, s[0:3], s33 offset:224
	buffer_load_dword v9, off, s[0:3], s33 offset:240
	;; [unrolled: 1-line block ×8, first 2 shown]
	v_cmp_eq_u16_e32 vcc, 0, v25
	s_waitcnt vmcnt(0)
	v_lshlrev_b32_e32 v0, 16, v7
	v_lshlrev_b32_e32 v17, 16, v9
	v_max_f32_e32 v17, v17, v17
	v_max_f32_e32 v0, v0, v0
	v_min_f32_e32 v18, v0, v17
	v_max_f32_e32 v0, v0, v17
	v_cndmask_b32_e32 v17, v0, v18, vcc
	v_and_b32_e32 v0, 0x7f800000, v17
	v_cmp_ne_u32_e64 s[30:31], s92, v0
                                        ; implicit-def: $vgpr0
	s_and_saveexec_b64 s[36:37], s[30:31]
	s_xor_b64 s[30:31], exec, s[36:37]
; %bb.660:                              ;   in Loop: Header=BB12_303 Depth=3
	v_bfe_u32 v0, v17, 16, 1
	v_add3_u32 v0, v17, v0, s93
                                        ; implicit-def: $vgpr17
; %bb.661:                              ;   in Loop: Header=BB12_303 Depth=3
	s_andn2_saveexec_b64 s[36:37], s[30:31]
; %bb.662:                              ;   in Loop: Header=BB12_303 Depth=3
	v_or_b32_e32 v0, 0x10000, v17
	v_cmp_eq_u32_sdwa s[30:31], v17, v42 src0_sel:WORD_0 src1_sel:DWORD
	v_cndmask_b32_e64 v0, v0, v17, s[30:31]
; %bb.663:                              ;   in Loop: Header=BB12_303 Depth=3
	s_or_b64 exec, exec, s[36:37]
	v_and_b32_e32 v7, 0xffff0000, v7
	v_and_b32_e32 v9, 0xffff0000, v9
	v_max_f32_e32 v9, v9, v9
	v_max_f32_e32 v7, v7, v7
	v_min_f32_e32 v17, v7, v9
	v_max_f32_e32 v7, v7, v9
	v_cndmask_b32_e32 v9, v7, v17, vcc
	v_and_b32_e32 v7, 0x7f800000, v9
	v_cmp_ne_u32_e64 s[30:31], s92, v7
                                        ; implicit-def: $vgpr7
	s_and_saveexec_b64 s[36:37], s[30:31]
	s_xor_b64 s[30:31], exec, s[36:37]
; %bb.664:                              ;   in Loop: Header=BB12_303 Depth=3
	v_bfe_u32 v7, v9, 16, 1
	v_add3_u32 v7, v9, v7, s93
                                        ; implicit-def: $vgpr9
; %bb.665:                              ;   in Loop: Header=BB12_303 Depth=3
	s_andn2_saveexec_b64 s[36:37], s[30:31]
; %bb.666:                              ;   in Loop: Header=BB12_303 Depth=3
	v_or_b32_e32 v7, 0x10000, v9
	v_cmp_eq_u32_sdwa s[30:31], v9, v42 src0_sel:WORD_0 src1_sel:DWORD
	v_cndmask_b32_e64 v7, v7, v9, s[30:31]
; %bb.667:                              ;   in Loop: Header=BB12_303 Depth=3
	s_or_b64 exec, exec, s[36:37]
	v_lshlrev_b32_e32 v9, 16, v15
	v_lshlrev_b32_e32 v17, 16, v16
	v_max_f32_e32 v17, v17, v17
	v_max_f32_e32 v9, v9, v9
	v_min_f32_e32 v18, v9, v17
	v_max_f32_e32 v9, v9, v17
	v_cndmask_b32_e32 v17, v9, v18, vcc
	v_and_b32_e32 v9, 0x7f800000, v17
	v_cmp_ne_u32_e64 s[30:31], s92, v9
                                        ; implicit-def: $vgpr9
	s_and_saveexec_b64 s[36:37], s[30:31]
	s_xor_b64 s[30:31], exec, s[36:37]
; %bb.668:                              ;   in Loop: Header=BB12_303 Depth=3
	v_bfe_u32 v9, v17, 16, 1
	v_add3_u32 v9, v17, v9, s93
                                        ; implicit-def: $vgpr17
; %bb.669:                              ;   in Loop: Header=BB12_303 Depth=3
	s_andn2_saveexec_b64 s[36:37], s[30:31]
; %bb.670:                              ;   in Loop: Header=BB12_303 Depth=3
	v_or_b32_e32 v9, 0x10000, v17
	v_cmp_eq_u32_sdwa s[30:31], v17, v42 src0_sel:WORD_0 src1_sel:DWORD
	v_cndmask_b32_e64 v9, v9, v17, s[30:31]
; %bb.671:                              ;   in Loop: Header=BB12_303 Depth=3
	s_or_b64 exec, exec, s[36:37]
	v_and_b32_e32 v15, 0xffff0000, v15
	v_and_b32_e32 v16, 0xffff0000, v16
	v_max_f32_e32 v16, v16, v16
	v_max_f32_e32 v15, v15, v15
	v_min_f32_e32 v17, v15, v16
	v_max_f32_e32 v15, v15, v16
	v_cndmask_b32_e32 v16, v15, v17, vcc
	v_and_b32_e32 v15, 0x7f800000, v16
	v_cmp_ne_u32_e64 s[30:31], s92, v15
                                        ; implicit-def: $vgpr15
	s_and_saveexec_b64 s[36:37], s[30:31]
	s_xor_b64 s[30:31], exec, s[36:37]
; %bb.672:                              ;   in Loop: Header=BB12_303 Depth=3
	v_bfe_u32 v15, v16, 16, 1
	v_add3_u32 v15, v16, v15, s93
                                        ; implicit-def: $vgpr16
; %bb.673:                              ;   in Loop: Header=BB12_303 Depth=3
	s_andn2_saveexec_b64 s[36:37], s[30:31]
; %bb.674:                              ;   in Loop: Header=BB12_303 Depth=3
	v_or_b32_e32 v15, 0x10000, v16
	v_cmp_eq_u32_sdwa s[30:31], v16, v42 src0_sel:WORD_0 src1_sel:DWORD
	v_cndmask_b32_e64 v15, v15, v16, s[30:31]
; %bb.675:                              ;   in Loop: Header=BB12_303 Depth=3
	s_or_b64 exec, exec, s[36:37]
	v_lshlrev_b32_e32 v16, 16, v11
	v_lshlrev_b32_e32 v17, 16, v12
	v_max_f32_e32 v17, v17, v17
	v_max_f32_e32 v16, v16, v16
	v_min_f32_e32 v18, v16, v17
	v_max_f32_e32 v16, v16, v17
	v_cndmask_b32_e32 v17, v16, v18, vcc
	v_and_b32_e32 v16, 0x7f800000, v17
	v_cmp_ne_u32_e64 s[30:31], s92, v16
                                        ; implicit-def: $vgpr16
	s_and_saveexec_b64 s[36:37], s[30:31]
	s_xor_b64 s[30:31], exec, s[36:37]
; %bb.676:                              ;   in Loop: Header=BB12_303 Depth=3
	v_bfe_u32 v16, v17, 16, 1
	v_add3_u32 v16, v17, v16, s93
                                        ; implicit-def: $vgpr17
; %bb.677:                              ;   in Loop: Header=BB12_303 Depth=3
	s_andn2_saveexec_b64 s[36:37], s[30:31]
; %bb.678:                              ;   in Loop: Header=BB12_303 Depth=3
	v_or_b32_e32 v16, 0x10000, v17
	v_cmp_eq_u32_sdwa s[30:31], v17, v42 src0_sel:WORD_0 src1_sel:DWORD
	v_cndmask_b32_e64 v16, v16, v17, s[30:31]
; %bb.679:                              ;   in Loop: Header=BB12_303 Depth=3
	s_or_b64 exec, exec, s[36:37]
	v_and_b32_e32 v11, 0xffff0000, v11
	v_and_b32_e32 v12, 0xffff0000, v12
	v_max_f32_e32 v12, v12, v12
	v_max_f32_e32 v11, v11, v11
	v_min_f32_e32 v17, v11, v12
	v_max_f32_e32 v11, v11, v12
	v_cndmask_b32_e32 v12, v11, v17, vcc
	v_and_b32_e32 v11, 0x7f800000, v12
	v_cmp_ne_u32_e64 s[30:31], s92, v11
                                        ; implicit-def: $vgpr11
	s_and_saveexec_b64 s[36:37], s[30:31]
	s_xor_b64 s[30:31], exec, s[36:37]
; %bb.680:                              ;   in Loop: Header=BB12_303 Depth=3
	v_bfe_u32 v11, v12, 16, 1
	v_add3_u32 v11, v12, v11, s93
                                        ; implicit-def: $vgpr12
; %bb.681:                              ;   in Loop: Header=BB12_303 Depth=3
	s_andn2_saveexec_b64 s[36:37], s[30:31]
; %bb.682:                              ;   in Loop: Header=BB12_303 Depth=3
	v_or_b32_e32 v11, 0x10000, v12
	v_cmp_eq_u32_sdwa s[30:31], v12, v42 src0_sel:WORD_0 src1_sel:DWORD
	v_cndmask_b32_e64 v11, v11, v12, s[30:31]
; %bb.683:                              ;   in Loop: Header=BB12_303 Depth=3
	s_or_b64 exec, exec, s[36:37]
	v_lshlrev_b32_e32 v12, 16, v4
	v_lshlrev_b32_e32 v17, 16, v5
	v_max_f32_e32 v17, v17, v17
	v_max_f32_e32 v12, v12, v12
	v_min_f32_e32 v18, v12, v17
	v_max_f32_e32 v12, v12, v17
	v_cndmask_b32_e32 v17, v12, v18, vcc
	v_and_b32_e32 v12, 0x7f800000, v17
	v_cmp_ne_u32_e64 s[30:31], s92, v12
                                        ; implicit-def: $vgpr12
	s_and_saveexec_b64 s[36:37], s[30:31]
	s_xor_b64 s[30:31], exec, s[36:37]
; %bb.684:                              ;   in Loop: Header=BB12_303 Depth=3
	v_bfe_u32 v12, v17, 16, 1
	v_add3_u32 v12, v17, v12, s93
                                        ; implicit-def: $vgpr17
; %bb.685:                              ;   in Loop: Header=BB12_303 Depth=3
	s_andn2_saveexec_b64 s[36:37], s[30:31]
; %bb.686:                              ;   in Loop: Header=BB12_303 Depth=3
	v_or_b32_e32 v12, 0x10000, v17
	v_cmp_eq_u32_sdwa s[30:31], v17, v42 src0_sel:WORD_0 src1_sel:DWORD
	v_cndmask_b32_e64 v12, v12, v17, s[30:31]
; %bb.687:                              ;   in Loop: Header=BB12_303 Depth=3
	s_or_b64 exec, exec, s[36:37]
	v_and_b32_e32 v4, 0xffff0000, v4
	v_and_b32_e32 v5, 0xffff0000, v5
	v_max_f32_e32 v5, v5, v5
	v_max_f32_e32 v4, v4, v4
	v_min_f32_e32 v17, v4, v5
	v_max_f32_e32 v4, v4, v5
	v_cndmask_b32_e32 v5, v4, v17, vcc
	v_and_b32_e32 v4, 0x7f800000, v5
	v_cmp_ne_u32_e32 vcc, s92, v4
                                        ; implicit-def: $vgpr4
	s_and_saveexec_b64 s[30:31], vcc
	s_xor_b64 vcc, exec, s[30:31]
; %bb.688:                              ;   in Loop: Header=BB12_303 Depth=3
	v_bfe_u32 v4, v5, 16, 1
	v_add3_u32 v4, v5, v4, s93
                                        ; implicit-def: $vgpr5
; %bb.689:                              ;   in Loop: Header=BB12_303 Depth=3
	s_andn2_saveexec_b64 s[30:31], vcc
; %bb.690:                              ;   in Loop: Header=BB12_303 Depth=3
	v_or_b32_e32 v4, 0x10000, v5
	v_cmp_eq_u32_sdwa vcc, v5, v42 src0_sel:WORD_0 src1_sel:DWORD
	v_cndmask_b32_e32 v4, v4, v5, vcc
; %bb.691:                              ;   in Loop: Header=BB12_303 Depth=3
	s_or_b64 exec, exec, s[30:31]
	v_lshrrev_b32_e32 v0, 16, v0
	v_and_or_b32 v18, v7, s94, v0
	v_lshrrev_b32_e32 v0, 16, v16
	v_lshrrev_b32_e32 v5, 16, v9
	v_and_or_b32 v20, v11, s94, v0
	v_lshrrev_b32_e32 v0, 16, v12
	v_and_or_b32 v19, v15, s94, v5
	v_and_or_b32 v21, v4, s94, v0
	global_store_dwordx4 v[2:3], v[18:21], off glc slc
.LBB12_692:                             ;   in Loop: Header=BB12_303 Depth=3
	s_or_b64 exec, exec, s[34:35]
	v_and_b32_e32 v0, 14, v55
	v_cndmask_b32_e64 v55, v13, v0, s[28:29]
	v_cmp_ne_u32_e32 vcc, 0, v55
	s_mov_b64 s[30:31], s[58:59]
                                        ; implicit-def: $vgpr11
                                        ; implicit-def: $vgpr12
                                        ; implicit-def: $vgpr4
	s_and_saveexec_b64 s[34:35], vcc
	s_cbranch_execz .LBB12_694
; %bb.693:                              ;   in Loop: Header=BB12_303 Depth=3
	v_sub_u32_e32 v0, v13, v0
	v_cndmask_b32_e64 v0, 0, v0, s[28:29]
	v_add3_u32 v11, v10, v6, v0
	v_cmp_lt_i32_e32 vcc, 0, v14
	v_accvgpr_read_b32 v0, a22
	v_cndmask_b32_e32 v0, 0, v0, vcc
	v_sub_u32_e32 v0, v0, v14
	v_lshl_add_u32 v0, v0, 6, v8
	v_ashrrev_i32_e32 v2, 31, v0
	v_lshrrev_b32_e32 v2, 26, v2
	v_add_u32_e32 v2, v0, v2
	v_ashrrev_i32_e32 v4, 6, v2
	v_and_b32_e32 v2, 0xffffffc0, v2
	v_sub_u32_e32 v12, v0, v2
	s_or_b64 s[30:31], s[58:59], exec
.LBB12_694:                             ;   in Loop: Header=BB12_303 Depth=3
	s_or_b64 exec, exec, s[34:35]
	s_andn2_b64 s[28:29], s[58:59], exec
	s_and_b64 vcc, s[30:31], exec
	s_or_b64 s[58:59], s[28:29], vcc
	v_mov_b32_e32 v10, v25
.LBB12_695:                             ;   in Loop: Header=BB12_303 Depth=3
	s_or_b64 exec, exec, s[60:61]
	s_and_saveexec_b64 s[36:37], s[58:59]
	s_cbranch_execz .LBB12_829
.LBB12_696:                             ;   in Loop: Header=BB12_303 Depth=3
	v_lshlrev_b32_e32 v0, 10, v4
	v_lshlrev_b32_e32 v2, 1, v12
	v_add3_u32 v0, v11, v2, v0
	v_ashrrev_i32_e32 v2, 31, v55
	v_lshrrev_b32_e32 v2, 22, v2
	v_add_u32_e32 v5, v55, v2
	s_trap 2
	ds_read_b64 v[2:3], v0
	v_ashrrev_i32_e32 v13, 10, v5
	v_ashrrev_i32_e32 v9, 31, v0
	v_sub_u32_e32 v14, v13, v4
	s_mov_b64 s[28:29], 0
	s_waitcnt lgkmcnt(0)
	v_add_co_u32_e32 v4, vcc, v2, v0
	v_addc_co_u32_e32 v5, vcc, v3, v9, vcc
	v_cmp_lt_i32_e32 vcc, 0, v14
	v_mov_b32_e32 v36, 0
	v_mov_b32_e32 v28, 0
	;; [unrolled: 1-line block ×16, first 2 shown]
	s_and_saveexec_b64 s[30:31], vcc
	s_cbranch_execz .LBB12_768
; %bb.697:                              ;   in Loop: Header=BB12_303 Depth=3
	s_trap 2
	ds_read_b128 v[16:19], v0
	v_cmp_eq_u16_sdwa s[28:29], v10, v42 src0_sel:BYTE_0 src1_sel:DWORD
	s_mov_b64 s[60:61], 0
	s_mov_b64 s[58:59], 0
                                        ; implicit-def: $sgpr34_sgpr35
                                        ; implicit-def: $vgpr49
                                        ; implicit-def: $vgpr38
                                        ; implicit-def: $vgpr35
                                        ; implicit-def: $vgpr32
                                        ; implicit-def: $vgpr27
                                        ; implicit-def: $vgpr24
                                        ; implicit-def: $vgpr23
                                        ; implicit-def: $vgpr22
                                        ; implicit-def: $vgpr15
                                        ; implicit-def: $vgpr20
                                        ; implicit-def: $vgpr21
	s_waitcnt lgkmcnt(0)
	v_add_co_u32_e32 v6, vcc, v16, v0
	v_addc_co_u32_e32 v7, vcc, v17, v9, vcc
	v_add_co_u32_e32 v8, vcc, v18, v0
	v_addc_co_u32_e32 v9, vcc, v19, v9, vcc
                                        ; implicit-def: $vgpr0
                                        ; implicit-def: $vgpr16
                                        ; implicit-def: $vgpr17
                                        ; implicit-def: $vgpr18
                                        ; implicit-def: $vgpr19
	s_branch .LBB12_699
.LBB12_698:                             ;   in Loop: Header=BB12_699 Depth=4
	s_or_b64 exec, exec, s[62:63]
	flat_store_short_d16_hi v[4:5], v56 glc slc
	flat_store_short_d16_hi v[4:5], v43 offset:128 glc slc
	flat_store_short_d16_hi v[4:5], v50 offset:256 glc slc
	;; [unrolled: 1-line block ×7, first 2 shown]
	v_accvgpr_read_b32 v28, a32
	v_add_co_u32_e32 v25, vcc, v6, v28
	v_accvgpr_read_b32 v31, a35
	v_addc_co_u32_e32 v26, vcc, v7, v31, vcc
	v_add_co_u32_e32 v28, vcc, v8, v28
	v_accvgpr_read_b32 v33, a39
	v_mov_b32_e32 v34, 0x400
	v_addc_co_u32_e32 v30, vcc, v9, v31, vcc
	v_accvgpr_read_b32 v31, a40
	v_cndmask_b32_e64 v33, v34, v33, s[60:61]
	v_cndmask_b32_e64 v7, v7, v26, s[60:61]
	v_accvgpr_read_b32 v26, a22
	v_cndmask_b32_e64 v31, 0, v31, s[60:61]
	v_add_co_u32_e32 v4, vcc, v4, v33
	v_cndmask_b32_e64 v6, v6, v25, s[60:61]
	v_cndmask_b32_e64 v25, 0, v26, s[60:61]
	v_addc_co_u32_e32 v5, vcc, v5, v31, vcc
	v_sub_u32_e32 v14, v14, v25
	v_cmp_gt_i32_e32 vcc, 1, v14
	s_or_b64 s[58:59], vcc, s[58:59]
	s_andn2_b64 vcc, s[34:35], exec
	s_and_b64 s[34:35], s[60:61], exec
	v_cndmask_b32_e64 v9, v9, v30, s[60:61]
	v_cndmask_b32_e64 v8, v8, v28, s[60:61]
	s_or_b64 s[34:35], vcc, s[34:35]
	s_andn2_b64 exec, exec, s[58:59]
	s_cbranch_execz .LBB12_767
.LBB12_699:                             ;   Parent Loop BB12_47 Depth=1
                                        ;     Parent Loop BB12_300 Depth=2
                                        ;       Parent Loop BB12_303 Depth=3
                                        ; =>      This Inner Loop Header: Depth=4
	flat_load_ushort v58, v[6:7] glc slc
	flat_load_ushort v43, v[6:7] offset:128 glc slc
	flat_load_ushort v50, v[6:7] offset:256 glc slc
	;; [unrolled: 1-line block ×7, first 2 shown]
	flat_load_ushort v59, v[8:9] glc slc
	flat_load_ushort v57, v[8:9] offset:128 glc slc
	flat_load_ushort v51, v[8:9] offset:256 glc slc
	;; [unrolled: 1-line block ×7, first 2 shown]
	s_and_saveexec_b64 s[62:63], s[60:61]
	s_cbranch_execz .LBB12_733
; %bb.700:                              ;   in Loop: Header=BB12_699 Depth=4
	v_lshlrev_b32_e32 v28, 16, v49
	v_lshlrev_b32_e32 v49, 16, v0
	v_max_f32_e32 v49, v49, v49
	v_max_f32_e32 v28, v28, v28
	v_min_f32_e32 v40, v28, v49
	v_max_f32_e32 v28, v28, v49
	v_cndmask_b32_e64 v28, v28, v40, s[28:29]
	v_and_b32_e32 v49, 0x7f800000, v28
	v_cmp_ne_u32_e32 vcc, s92, v49
                                        ; implicit-def: $vgpr49
	s_and_saveexec_b64 s[60:61], vcc
	s_xor_b64 vcc, exec, s[60:61]
; %bb.701:                              ;   in Loop: Header=BB12_699 Depth=4
	v_bfe_u32 v49, v28, 16, 1
	v_add3_u32 v49, v28, v49, s93
                                        ; implicit-def: $vgpr28
; %bb.702:                              ;   in Loop: Header=BB12_699 Depth=4
	s_andn2_saveexec_b64 s[60:61], vcc
; %bb.703:                              ;   in Loop: Header=BB12_699 Depth=4
	v_or_b32_e32 v49, 0x10000, v28
	v_cmp_eq_u32_sdwa vcc, v28, v42 src0_sel:WORD_0 src1_sel:DWORD
	v_cndmask_b32_e32 v49, v49, v28, vcc
; %bb.704:                              ;   in Loop: Header=BB12_699 Depth=4
	s_or_b64 exec, exec, s[60:61]
	v_lshlrev_b32_e32 v28, 16, v38
	v_lshlrev_b32_e32 v38, 16, v15
	v_max_f32_e32 v38, v38, v38
	v_max_f32_e32 v28, v28, v28
	v_min_f32_e32 v40, v28, v38
	v_max_f32_e32 v28, v28, v38
	v_cndmask_b32_e64 v28, v28, v40, s[28:29]
	v_and_b32_e32 v38, 0x7f800000, v28
	v_cmp_ne_u32_e32 vcc, s92, v38
                                        ; implicit-def: $vgpr38
	s_and_saveexec_b64 s[60:61], vcc
	s_xor_b64 vcc, exec, s[60:61]
; %bb.705:                              ;   in Loop: Header=BB12_699 Depth=4
	v_bfe_u32 v38, v28, 16, 1
	v_add3_u32 v38, v28, v38, s93
                                        ; implicit-def: $vgpr28
; %bb.706:                              ;   in Loop: Header=BB12_699 Depth=4
	s_andn2_saveexec_b64 s[60:61], vcc
; %bb.707:                              ;   in Loop: Header=BB12_699 Depth=4
	v_or_b32_e32 v38, 0x10000, v28
	v_cmp_eq_u32_sdwa vcc, v28, v42 src0_sel:WORD_0 src1_sel:DWORD
	v_cndmask_b32_e32 v38, v38, v28, vcc
; %bb.708:                              ;   in Loop: Header=BB12_699 Depth=4
	s_or_b64 exec, exec, s[60:61]
	v_lshlrev_b32_e32 v28, 16, v35
	v_lshlrev_b32_e32 v35, 16, v16
	v_max_f32_e32 v35, v35, v35
	v_max_f32_e32 v28, v28, v28
	v_min_f32_e32 v40, v28, v35
	v_max_f32_e32 v28, v28, v35
	v_cndmask_b32_e64 v28, v28, v40, s[28:29]
	v_and_b32_e32 v35, 0x7f800000, v28
	v_cmp_ne_u32_e32 vcc, s92, v35
                                        ; implicit-def: $vgpr35
	s_and_saveexec_b64 s[60:61], vcc
	s_xor_b64 vcc, exec, s[60:61]
; %bb.709:                              ;   in Loop: Header=BB12_699 Depth=4
	v_bfe_u32 v35, v28, 16, 1
	v_add3_u32 v35, v28, v35, s93
                                        ; implicit-def: $vgpr28
; %bb.710:                              ;   in Loop: Header=BB12_699 Depth=4
	s_andn2_saveexec_b64 s[60:61], vcc
; %bb.711:                              ;   in Loop: Header=BB12_699 Depth=4
	v_or_b32_e32 v35, 0x10000, v28
	v_cmp_eq_u32_sdwa vcc, v28, v42 src0_sel:WORD_0 src1_sel:DWORD
	v_cndmask_b32_e32 v35, v35, v28, vcc
; %bb.712:                              ;   in Loop: Header=BB12_699 Depth=4
	s_or_b64 exec, exec, s[60:61]
	v_lshlrev_b32_e32 v28, 16, v32
	v_lshlrev_b32_e32 v32, 16, v17
	v_max_f32_e32 v32, v32, v32
	v_max_f32_e32 v28, v28, v28
	v_min_f32_e32 v40, v28, v32
	v_max_f32_e32 v28, v28, v32
	v_cndmask_b32_e64 v28, v28, v40, s[28:29]
	v_and_b32_e32 v32, 0x7f800000, v28
	v_cmp_ne_u32_e32 vcc, s92, v32
                                        ; implicit-def: $vgpr32
	s_and_saveexec_b64 s[60:61], vcc
	s_xor_b64 vcc, exec, s[60:61]
; %bb.713:                              ;   in Loop: Header=BB12_699 Depth=4
	v_bfe_u32 v32, v28, 16, 1
	v_add3_u32 v32, v28, v32, s93
                                        ; implicit-def: $vgpr28
; %bb.714:                              ;   in Loop: Header=BB12_699 Depth=4
	s_andn2_saveexec_b64 s[60:61], vcc
; %bb.715:                              ;   in Loop: Header=BB12_699 Depth=4
	v_or_b32_e32 v32, 0x10000, v28
	v_cmp_eq_u32_sdwa vcc, v28, v42 src0_sel:WORD_0 src1_sel:DWORD
	v_cndmask_b32_e32 v32, v32, v28, vcc
; %bb.716:                              ;   in Loop: Header=BB12_699 Depth=4
	s_or_b64 exec, exec, s[60:61]
	v_lshlrev_b32_e32 v27, 16, v27
	v_lshlrev_b32_e32 v28, 16, v18
	v_max_f32_e32 v28, v28, v28
	v_max_f32_e32 v27, v27, v27
	v_min_f32_e32 v40, v27, v28
	v_max_f32_e32 v27, v27, v28
	v_cndmask_b32_e64 v28, v27, v40, s[28:29]
	v_and_b32_e32 v27, 0x7f800000, v28
	v_cmp_ne_u32_e32 vcc, s92, v27
                                        ; implicit-def: $vgpr27
	s_and_saveexec_b64 s[60:61], vcc
	s_xor_b64 vcc, exec, s[60:61]
; %bb.717:                              ;   in Loop: Header=BB12_699 Depth=4
	v_bfe_u32 v27, v28, 16, 1
	v_add3_u32 v27, v28, v27, s93
                                        ; implicit-def: $vgpr28
; %bb.718:                              ;   in Loop: Header=BB12_699 Depth=4
	s_andn2_saveexec_b64 s[60:61], vcc
; %bb.719:                              ;   in Loop: Header=BB12_699 Depth=4
	v_or_b32_e32 v27, 0x10000, v28
	v_cmp_eq_u32_sdwa vcc, v28, v42 src0_sel:WORD_0 src1_sel:DWORD
	v_cndmask_b32_e32 v27, v27, v28, vcc
; %bb.720:                              ;   in Loop: Header=BB12_699 Depth=4
	s_or_b64 exec, exec, s[60:61]
	v_lshlrev_b32_e32 v24, 16, v24
	v_lshlrev_b32_e32 v28, 16, v19
	v_max_f32_e32 v28, v28, v28
	v_max_f32_e32 v24, v24, v24
	v_min_f32_e32 v40, v24, v28
	v_max_f32_e32 v24, v24, v28
	v_cndmask_b32_e64 v28, v24, v40, s[28:29]
	v_and_b32_e32 v24, 0x7f800000, v28
	v_cmp_ne_u32_e32 vcc, s92, v24
                                        ; implicit-def: $vgpr24
	s_and_saveexec_b64 s[60:61], vcc
	s_xor_b64 vcc, exec, s[60:61]
; %bb.721:                              ;   in Loop: Header=BB12_699 Depth=4
	v_bfe_u32 v24, v28, 16, 1
	v_add3_u32 v24, v28, v24, s93
                                        ; implicit-def: $vgpr28
; %bb.722:                              ;   in Loop: Header=BB12_699 Depth=4
	s_andn2_saveexec_b64 s[60:61], vcc
; %bb.723:                              ;   in Loop: Header=BB12_699 Depth=4
	v_or_b32_e32 v24, 0x10000, v28
	v_cmp_eq_u32_sdwa vcc, v28, v42 src0_sel:WORD_0 src1_sel:DWORD
	v_cndmask_b32_e32 v24, v24, v28, vcc
; %bb.724:                              ;   in Loop: Header=BB12_699 Depth=4
	s_or_b64 exec, exec, s[60:61]
	v_lshlrev_b32_e32 v23, 16, v23
	v_lshlrev_b32_e32 v28, 16, v20
	v_max_f32_e32 v28, v28, v28
	v_max_f32_e32 v23, v23, v23
	v_min_f32_e32 v40, v23, v28
	v_max_f32_e32 v23, v23, v28
	v_cndmask_b32_e64 v28, v23, v40, s[28:29]
	v_and_b32_e32 v23, 0x7f800000, v28
	v_cmp_ne_u32_e32 vcc, s92, v23
                                        ; implicit-def: $vgpr23
	s_and_saveexec_b64 s[60:61], vcc
	s_xor_b64 vcc, exec, s[60:61]
; %bb.725:                              ;   in Loop: Header=BB12_699 Depth=4
	v_bfe_u32 v23, v28, 16, 1
	v_add3_u32 v23, v28, v23, s93
                                        ; implicit-def: $vgpr28
; %bb.726:                              ;   in Loop: Header=BB12_699 Depth=4
	s_andn2_saveexec_b64 s[60:61], vcc
; %bb.727:                              ;   in Loop: Header=BB12_699 Depth=4
	v_or_b32_e32 v23, 0x10000, v28
	v_cmp_eq_u32_sdwa vcc, v28, v42 src0_sel:WORD_0 src1_sel:DWORD
	v_cndmask_b32_e32 v23, v23, v28, vcc
; %bb.728:                              ;   in Loop: Header=BB12_699 Depth=4
	s_or_b64 exec, exec, s[60:61]
	v_lshlrev_b32_e32 v22, 16, v22
	v_lshlrev_b32_e32 v28, 16, v21
	v_max_f32_e32 v28, v28, v28
	v_max_f32_e32 v22, v22, v22
	v_min_f32_e32 v40, v22, v28
	v_max_f32_e32 v22, v22, v28
	v_cndmask_b32_e64 v28, v22, v40, s[28:29]
	v_and_b32_e32 v22, 0x7f800000, v28
	v_cmp_ne_u32_e32 vcc, s92, v22
                                        ; implicit-def: $vgpr22
	s_and_saveexec_b64 s[60:61], vcc
	s_xor_b64 vcc, exec, s[60:61]
; %bb.729:                              ;   in Loop: Header=BB12_699 Depth=4
	v_bfe_u32 v22, v28, 16, 1
	v_add3_u32 v22, v28, v22, s93
                                        ; implicit-def: $vgpr28
; %bb.730:                              ;   in Loop: Header=BB12_699 Depth=4
	s_andn2_saveexec_b64 s[60:61], vcc
; %bb.731:                              ;   in Loop: Header=BB12_699 Depth=4
	v_or_b32_e32 v22, 0x10000, v28
	v_cmp_eq_u32_sdwa vcc, v28, v42 src0_sel:WORD_0 src1_sel:DWORD
	v_cndmask_b32_e32 v22, v22, v28, vcc
; %bb.732:                              ;   in Loop: Header=BB12_699 Depth=4
	s_or_b64 exec, exec, s[60:61]
	v_lshrrev_b32_e32 v49, 16, v49
	v_accvgpr_read_b32 v28, a39
	v_lshrrev_b32_e32 v23, 16, v23
	v_lshrrev_b32_e32 v24, 16, v24
	;; [unrolled: 1-line block ×7, first 2 shown]
	flat_store_short v[4:5], v49 glc slc
	flat_store_short v[4:5], v38 offset:128 glc slc
	flat_store_short v[4:5], v35 offset:256 glc slc
	;; [unrolled: 1-line block ×7, first 2 shown]
	v_add_co_u32_e32 v4, vcc, v4, v28
	v_accvgpr_read_b32 v28, a40
	v_addc_co_u32_e32 v5, vcc, v5, v28, vcc
.LBB12_733:                             ;   in Loop: Header=BB12_699 Depth=4
	s_or_b64 exec, exec, s[62:63]
	v_accvgpr_read_b32 v28, a39
	v_add_co_u32_e32 v6, vcc, v6, v28
	v_accvgpr_read_b32 v40, a40
	v_addc_co_u32_e32 v7, vcc, v7, v40, vcc
	v_add_co_u32_e32 v8, vcc, v8, v28
	v_accvgpr_read_b32 v28, a22
	v_sub_u32_e32 v14, v14, v28
	v_addc_co_u32_e32 v9, vcc, v9, v40, vcc
	v_cmp_lt_i32_e64 s[60:61], 0, v14
	s_and_saveexec_b64 s[62:63], s[60:61]
	s_cbranch_execz .LBB12_735
; %bb.734:                              ;   in Loop: Header=BB12_699 Depth=4
	flat_load_ushort v49, v[6:7] glc slc
	flat_load_ushort v38, v[6:7] offset:128 glc slc
	flat_load_ushort v35, v[6:7] offset:256 glc slc
	;; [unrolled: 1-line block ×7, first 2 shown]
	flat_load_ushort v0, v[8:9] glc slc
	flat_load_ushort v15, v[8:9] offset:128 glc slc
	flat_load_ushort v16, v[8:9] offset:256 glc slc
	;; [unrolled: 1-line block ×7, first 2 shown]
	v_add_co_u32_e32 v6, vcc, 0x400, v6
	v_addc_co_u32_e32 v7, vcc, 0, v7, vcc
	v_add_co_u32_e32 v8, vcc, 0x400, v8
	v_addc_co_u32_e32 v9, vcc, 0, v9, vcc
.LBB12_735:                             ;   in Loop: Header=BB12_699 Depth=4
	s_or_b64 exec, exec, s[62:63]
	s_waitcnt vmcnt(0) lgkmcnt(0)
	v_lshlrev_b32_e32 v28, 16, v58
	v_lshlrev_b32_e32 v40, 16, v59
	v_max_f32_e32 v40, v40, v40
	v_max_f32_e32 v28, v28, v28
	v_min_f32_e32 v41, v28, v40
	v_max_f32_e32 v28, v28, v40
	v_cndmask_b32_e64 v28, v28, v41, s[28:29]
	v_and_b32_e32 v40, 0x7f800000, v28
	v_cmp_ne_u32_e32 vcc, s92, v40
                                        ; implicit-def: $vgpr56
	s_and_saveexec_b64 s[62:63], vcc
	s_xor_b64 vcc, exec, s[62:63]
; %bb.736:                              ;   in Loop: Header=BB12_699 Depth=4
	v_bfe_u32 v40, v28, 16, 1
	v_add3_u32 v56, v28, v40, s93
                                        ; implicit-def: $vgpr28
; %bb.737:                              ;   in Loop: Header=BB12_699 Depth=4
	s_andn2_saveexec_b64 s[62:63], vcc
; %bb.738:                              ;   in Loop: Header=BB12_699 Depth=4
	v_or_b32_e32 v40, 0x10000, v28
	v_cmp_eq_u32_sdwa vcc, v28, v42 src0_sel:WORD_0 src1_sel:DWORD
	v_cndmask_b32_e32 v56, v40, v28, vcc
; %bb.739:                              ;   in Loop: Header=BB12_699 Depth=4
	s_or_b64 exec, exec, s[62:63]
	v_lshlrev_b32_e32 v28, 16, v43
	v_lshlrev_b32_e32 v40, 16, v57
	v_max_f32_e32 v40, v40, v40
	v_max_f32_e32 v28, v28, v28
	v_min_f32_e32 v41, v28, v40
	v_max_f32_e32 v28, v28, v40
	v_cndmask_b32_e64 v28, v28, v41, s[28:29]
	v_and_b32_e32 v40, 0x7f800000, v28
	v_cmp_ne_u32_e32 vcc, s92, v40
                                        ; implicit-def: $vgpr43
	s_and_saveexec_b64 s[62:63], vcc
	s_xor_b64 vcc, exec, s[62:63]
; %bb.740:                              ;   in Loop: Header=BB12_699 Depth=4
	v_bfe_u32 v40, v28, 16, 1
	v_add3_u32 v43, v28, v40, s93
                                        ; implicit-def: $vgpr28
; %bb.741:                              ;   in Loop: Header=BB12_699 Depth=4
	s_andn2_saveexec_b64 s[62:63], vcc
; %bb.742:                              ;   in Loop: Header=BB12_699 Depth=4
	v_or_b32_e32 v40, 0x10000, v28
	v_cmp_eq_u32_sdwa vcc, v28, v42 src0_sel:WORD_0 src1_sel:DWORD
	v_cndmask_b32_e32 v43, v40, v28, vcc
; %bb.743:                              ;   in Loop: Header=BB12_699 Depth=4
	s_or_b64 exec, exec, s[62:63]
	v_lshlrev_b32_e32 v28, 16, v50
	v_lshlrev_b32_e32 v50, 16, v51
	v_max_f32_e32 v50, v50, v50
	v_max_f32_e32 v28, v28, v28
	v_min_f32_e32 v51, v28, v50
	v_max_f32_e32 v28, v28, v50
	v_cndmask_b32_e64 v28, v28, v51, s[28:29]
	v_and_b32_e32 v50, 0x7f800000, v28
	v_cmp_ne_u32_e32 vcc, s92, v50
                                        ; implicit-def: $vgpr50
	s_and_saveexec_b64 s[62:63], vcc
	s_xor_b64 vcc, exec, s[62:63]
; %bb.744:                              ;   in Loop: Header=BB12_699 Depth=4
	v_bfe_u32 v50, v28, 16, 1
	v_add3_u32 v50, v28, v50, s93
                                        ; implicit-def: $vgpr28
; %bb.745:                              ;   in Loop: Header=BB12_699 Depth=4
	s_andn2_saveexec_b64 s[62:63], vcc
; %bb.746:                              ;   in Loop: Header=BB12_699 Depth=4
	v_or_b32_e32 v50, 0x10000, v28
	v_cmp_eq_u32_sdwa vcc, v28, v42 src0_sel:WORD_0 src1_sel:DWORD
	v_cndmask_b32_e32 v50, v50, v28, vcc
; %bb.747:                              ;   in Loop: Header=BB12_699 Depth=4
	s_or_b64 exec, exec, s[62:63]
	v_lshlrev_b32_e32 v28, 16, v39
	v_lshlrev_b32_e32 v39, 16, v48
	v_max_f32_e32 v39, v39, v39
	v_max_f32_e32 v28, v28, v28
	v_min_f32_e32 v48, v28, v39
	v_max_f32_e32 v28, v28, v39
	v_cndmask_b32_e64 v28, v28, v48, s[28:29]
	v_and_b32_e32 v39, 0x7f800000, v28
	v_cmp_ne_u32_e32 vcc, s92, v39
                                        ; implicit-def: $vgpr39
	s_and_saveexec_b64 s[62:63], vcc
	s_xor_b64 vcc, exec, s[62:63]
; %bb.748:                              ;   in Loop: Header=BB12_699 Depth=4
	v_bfe_u32 v39, v28, 16, 1
	v_add3_u32 v39, v28, v39, s93
                                        ; implicit-def: $vgpr28
; %bb.749:                              ;   in Loop: Header=BB12_699 Depth=4
	s_andn2_saveexec_b64 s[62:63], vcc
; %bb.750:                              ;   in Loop: Header=BB12_699 Depth=4
	v_or_b32_e32 v39, 0x10000, v28
	v_cmp_eq_u32_sdwa vcc, v28, v42 src0_sel:WORD_0 src1_sel:DWORD
	v_cndmask_b32_e32 v39, v39, v28, vcc
; %bb.751:                              ;   in Loop: Header=BB12_699 Depth=4
	s_or_b64 exec, exec, s[62:63]
	v_lshlrev_b32_e32 v28, 16, v36
	v_lshlrev_b32_e32 v36, 16, v37
	v_max_f32_e32 v36, v36, v36
	v_max_f32_e32 v28, v28, v28
	v_min_f32_e32 v37, v28, v36
	v_max_f32_e32 v28, v28, v36
	v_cndmask_b32_e64 v28, v28, v37, s[28:29]
	v_and_b32_e32 v36, 0x7f800000, v28
	v_cmp_ne_u32_e32 vcc, s92, v36
                                        ; implicit-def: $vgpr36
	s_and_saveexec_b64 s[62:63], vcc
	s_xor_b64 vcc, exec, s[62:63]
; %bb.752:                              ;   in Loop: Header=BB12_699 Depth=4
	v_bfe_u32 v36, v28, 16, 1
	v_add3_u32 v36, v28, v36, s93
                                        ; implicit-def: $vgpr28
; %bb.753:                              ;   in Loop: Header=BB12_699 Depth=4
	s_andn2_saveexec_b64 s[62:63], vcc
; %bb.754:                              ;   in Loop: Header=BB12_699 Depth=4
	v_or_b32_e32 v36, 0x10000, v28
	v_cmp_eq_u32_sdwa vcc, v28, v42 src0_sel:WORD_0 src1_sel:DWORD
	v_cndmask_b32_e32 v36, v36, v28, vcc
; %bb.755:                              ;   in Loop: Header=BB12_699 Depth=4
	s_or_b64 exec, exec, s[62:63]
	v_lshlrev_b32_e32 v28, 16, v33
	v_lshlrev_b32_e32 v33, 16, v34
	v_max_f32_e32 v33, v33, v33
	v_max_f32_e32 v28, v28, v28
	v_min_f32_e32 v34, v28, v33
	v_max_f32_e32 v28, v28, v33
	v_cndmask_b32_e64 v33, v28, v34, s[28:29]
	v_and_b32_e32 v28, 0x7f800000, v33
	v_cmp_ne_u32_e32 vcc, s92, v28
                                        ; implicit-def: $vgpr28
	s_and_saveexec_b64 s[62:63], vcc
	s_xor_b64 vcc, exec, s[62:63]
; %bb.756:                              ;   in Loop: Header=BB12_699 Depth=4
	v_bfe_u32 v28, v33, 16, 1
	v_add3_u32 v28, v33, v28, s93
                                        ; implicit-def: $vgpr33
; %bb.757:                              ;   in Loop: Header=BB12_699 Depth=4
	s_andn2_saveexec_b64 s[62:63], vcc
; %bb.758:                              ;   in Loop: Header=BB12_699 Depth=4
	v_or_b32_e32 v28, 0x10000, v33
	v_cmp_eq_u32_sdwa vcc, v33, v42 src0_sel:WORD_0 src1_sel:DWORD
	v_cndmask_b32_e32 v28, v28, v33, vcc
; %bb.759:                              ;   in Loop: Header=BB12_699 Depth=4
	s_or_b64 exec, exec, s[62:63]
	v_lshlrev_b32_e32 v30, 16, v30
	v_lshlrev_b32_e32 v31, 16, v31
	v_max_f32_e32 v31, v31, v31
	v_max_f32_e32 v30, v30, v30
	v_min_f32_e32 v33, v30, v31
	v_max_f32_e32 v30, v30, v31
	v_cndmask_b32_e64 v31, v30, v33, s[28:29]
	v_and_b32_e32 v30, 0x7f800000, v31
	v_cmp_ne_u32_e32 vcc, s92, v30
                                        ; implicit-def: $vgpr30
	s_and_saveexec_b64 s[62:63], vcc
	s_xor_b64 vcc, exec, s[62:63]
; %bb.760:                              ;   in Loop: Header=BB12_699 Depth=4
	v_bfe_u32 v30, v31, 16, 1
	v_add3_u32 v30, v31, v30, s93
                                        ; implicit-def: $vgpr31
; %bb.761:                              ;   in Loop: Header=BB12_699 Depth=4
	s_andn2_saveexec_b64 s[62:63], vcc
; %bb.762:                              ;   in Loop: Header=BB12_699 Depth=4
	v_or_b32_e32 v30, 0x10000, v31
	v_cmp_eq_u32_sdwa vcc, v31, v42 src0_sel:WORD_0 src1_sel:DWORD
	v_cndmask_b32_e32 v30, v30, v31, vcc
; %bb.763:                              ;   in Loop: Header=BB12_699 Depth=4
	s_or_b64 exec, exec, s[62:63]
	v_lshlrev_b32_e32 v25, 16, v25
	v_lshlrev_b32_e32 v26, 16, v26
	v_max_f32_e32 v26, v26, v26
	v_max_f32_e32 v25, v25, v25
	v_min_f32_e32 v31, v25, v26
	v_max_f32_e32 v25, v25, v26
	v_cndmask_b32_e64 v26, v25, v31, s[28:29]
	v_and_b32_e32 v25, 0x7f800000, v26
	v_cmp_ne_u32_e32 vcc, s92, v25
                                        ; implicit-def: $vgpr25
	s_and_saveexec_b64 s[62:63], vcc
	s_xor_b64 vcc, exec, s[62:63]
; %bb.764:                              ;   in Loop: Header=BB12_699 Depth=4
	v_bfe_u32 v25, v26, 16, 1
	v_add3_u32 v25, v26, v25, s93
                                        ; implicit-def: $vgpr26
; %bb.765:                              ;   in Loop: Header=BB12_699 Depth=4
	s_andn2_saveexec_b64 s[62:63], vcc
	s_cbranch_execz .LBB12_698
; %bb.766:                              ;   in Loop: Header=BB12_699 Depth=4
	v_or_b32_e32 v25, 0x10000, v26
	v_cmp_eq_u32_sdwa vcc, v26, v42 src0_sel:WORD_0 src1_sel:DWORD
	v_cndmask_b32_e32 v25, v25, v26, vcc
	s_branch .LBB12_698
.LBB12_767:                             ;   in Loop: Header=BB12_303 Depth=3
	s_or_b64 exec, exec, s[58:59]
	v_lshlrev_b32_e32 v36, 16, v49
	v_lshlrev_b32_e32 v37, 16, v0
	;; [unrolled: 1-line block ×16, first 2 shown]
	s_and_b64 s[28:29], s[34:35], exec
	v_accvgpr_read_b32 v24, a8
.LBB12_768:                             ;   in Loop: Header=BB12_303 Depth=3
	s_or_b64 exec, exec, s[30:31]
	s_and_saveexec_b64 s[30:31], s[28:29]
	s_cbranch_execz .LBB12_802
; %bb.769:                              ;   in Loop: Header=BB12_303 Depth=3
	v_max_f32_e32 v0, v37, v37
	v_max_f32_e32 v9, v36, v36
	v_min_f32_e32 v19, v9, v0
	v_max_f32_e32 v0, v9, v0
	v_cmp_eq_u16_sdwa vcc, v10, v42 src0_sel:BYTE_0 src1_sel:DWORD
	v_cndmask_b32_e32 v9, v0, v19, vcc
	v_and_b32_e32 v0, 0x7f800000, v9
	v_cmp_ne_u32_e64 s[28:29], s92, v0
                                        ; implicit-def: $vgpr0
	s_and_saveexec_b64 s[34:35], s[28:29]
	s_xor_b64 s[28:29], exec, s[34:35]
; %bb.770:                              ;   in Loop: Header=BB12_303 Depth=3
	v_bfe_u32 v0, v9, 16, 1
	v_add3_u32 v0, v9, v0, s93
                                        ; implicit-def: $vgpr9
; %bb.771:                              ;   in Loop: Header=BB12_303 Depth=3
	s_andn2_saveexec_b64 s[34:35], s[28:29]
; %bb.772:                              ;   in Loop: Header=BB12_303 Depth=3
	v_or_b32_e32 v0, 0x10000, v9
	v_cmp_eq_u32_sdwa s[28:29], v9, v42 src0_sel:WORD_0 src1_sel:DWORD
	v_cndmask_b32_e64 v0, v0, v9, s[28:29]
; %bb.773:                              ;   in Loop: Header=BB12_303 Depth=3
	s_or_b64 exec, exec, s[34:35]
	v_max_f32_e32 v9, v34, v34
	v_max_f32_e32 v19, v28, v28
	v_min_f32_e32 v20, v19, v9
	v_max_f32_e32 v9, v19, v9
	v_cndmask_b32_e32 v19, v9, v20, vcc
	v_and_b32_e32 v9, 0x7f800000, v19
	v_cmp_ne_u32_e64 s[28:29], s92, v9
                                        ; implicit-def: $vgpr9
	s_and_saveexec_b64 s[34:35], s[28:29]
	s_xor_b64 s[28:29], exec, s[34:35]
; %bb.774:                              ;   in Loop: Header=BB12_303 Depth=3
	v_bfe_u32 v9, v19, 16, 1
	v_add3_u32 v9, v19, v9, s93
                                        ; implicit-def: $vgpr19
; %bb.775:                              ;   in Loop: Header=BB12_303 Depth=3
	s_andn2_saveexec_b64 s[34:35], s[28:29]
; %bb.776:                              ;   in Loop: Header=BB12_303 Depth=3
	v_or_b32_e32 v9, 0x10000, v19
	v_cmp_eq_u32_sdwa s[28:29], v19, v42 src0_sel:WORD_0 src1_sel:DWORD
	v_cndmask_b32_e64 v9, v9, v19, s[28:29]
; %bb.777:                              ;   in Loop: Header=BB12_303 Depth=3
	s_or_b64 exec, exec, s[34:35]
	v_max_f32_e32 v19, v33, v33
	v_max_f32_e32 v20, v31, v31
	v_min_f32_e32 v21, v20, v19
	v_max_f32_e32 v19, v20, v19
	v_cndmask_b32_e32 v20, v19, v21, vcc
	v_and_b32_e32 v19, 0x7f800000, v20
	v_cmp_ne_u32_e64 s[28:29], s92, v19
                                        ; implicit-def: $vgpr19
	s_and_saveexec_b64 s[34:35], s[28:29]
	s_xor_b64 s[28:29], exec, s[34:35]
; %bb.778:                              ;   in Loop: Header=BB12_303 Depth=3
	v_bfe_u32 v19, v20, 16, 1
	v_add3_u32 v19, v20, v19, s93
                                        ; implicit-def: $vgpr20
; %bb.779:                              ;   in Loop: Header=BB12_303 Depth=3
	s_andn2_saveexec_b64 s[34:35], s[28:29]
; %bb.780:                              ;   in Loop: Header=BB12_303 Depth=3
	v_or_b32_e32 v19, 0x10000, v20
	v_cmp_eq_u32_sdwa s[28:29], v20, v42 src0_sel:WORD_0 src1_sel:DWORD
	v_cndmask_b32_e64 v19, v19, v20, s[28:29]
; %bb.781:                              ;   in Loop: Header=BB12_303 Depth=3
	s_or_b64 exec, exec, s[34:35]
	v_max_f32_e32 v20, v30, v30
	v_max_f32_e32 v21, v26, v26
	v_min_f32_e32 v22, v21, v20
	v_max_f32_e32 v20, v21, v20
	v_cndmask_b32_e32 v21, v20, v22, vcc
	v_and_b32_e32 v20, 0x7f800000, v21
	v_cmp_ne_u32_e64 s[28:29], s92, v20
                                        ; implicit-def: $vgpr20
	s_and_saveexec_b64 s[34:35], s[28:29]
	s_xor_b64 s[28:29], exec, s[34:35]
; %bb.782:                              ;   in Loop: Header=BB12_303 Depth=3
	v_bfe_u32 v20, v21, 16, 1
	v_add3_u32 v20, v21, v20, s93
                                        ; implicit-def: $vgpr21
; %bb.783:                              ;   in Loop: Header=BB12_303 Depth=3
	s_andn2_saveexec_b64 s[34:35], s[28:29]
; %bb.784:                              ;   in Loop: Header=BB12_303 Depth=3
	v_or_b32_e32 v20, 0x10000, v21
	v_cmp_eq_u32_sdwa s[28:29], v21, v42 src0_sel:WORD_0 src1_sel:DWORD
	v_cndmask_b32_e64 v20, v20, v21, s[28:29]
; %bb.785:                              ;   in Loop: Header=BB12_303 Depth=3
	s_or_b64 exec, exec, s[34:35]
	v_max_f32_e32 v18, v18, v18
	v_max_f32_e32 v21, v25, v25
	v_min_f32_e32 v22, v21, v18
	v_max_f32_e32 v18, v21, v18
	v_cndmask_b32_e32 v21, v18, v22, vcc
	v_and_b32_e32 v18, 0x7f800000, v21
	v_cmp_ne_u32_e64 s[28:29], s92, v18
                                        ; implicit-def: $vgpr18
	s_and_saveexec_b64 s[34:35], s[28:29]
	s_xor_b64 s[28:29], exec, s[34:35]
; %bb.786:                              ;   in Loop: Header=BB12_303 Depth=3
	v_bfe_u32 v18, v21, 16, 1
	v_add3_u32 v18, v21, v18, s93
                                        ; implicit-def: $vgpr21
; %bb.787:                              ;   in Loop: Header=BB12_303 Depth=3
	s_andn2_saveexec_b64 s[34:35], s[28:29]
; %bb.788:                              ;   in Loop: Header=BB12_303 Depth=3
	v_or_b32_e32 v18, 0x10000, v21
	v_cmp_eq_u32_sdwa s[28:29], v21, v42 src0_sel:WORD_0 src1_sel:DWORD
	v_cndmask_b32_e64 v18, v18, v21, s[28:29]
; %bb.789:                              ;   in Loop: Header=BB12_303 Depth=3
	s_or_b64 exec, exec, s[34:35]
	v_max_f32_e32 v17, v17, v17
	v_max_f32_e32 v16, v16, v16
	v_min_f32_e32 v21, v16, v17
	v_max_f32_e32 v16, v16, v17
	v_cndmask_b32_e32 v17, v16, v21, vcc
	v_and_b32_e32 v16, 0x7f800000, v17
	v_cmp_ne_u32_e64 s[28:29], s92, v16
                                        ; implicit-def: $vgpr16
	s_and_saveexec_b64 s[34:35], s[28:29]
	s_xor_b64 s[28:29], exec, s[34:35]
; %bb.790:                              ;   in Loop: Header=BB12_303 Depth=3
	v_bfe_u32 v16, v17, 16, 1
	v_add3_u32 v16, v17, v16, s93
                                        ; implicit-def: $vgpr17
; %bb.791:                              ;   in Loop: Header=BB12_303 Depth=3
	s_andn2_saveexec_b64 s[34:35], s[28:29]
; %bb.792:                              ;   in Loop: Header=BB12_303 Depth=3
	v_or_b32_e32 v16, 0x10000, v17
	v_cmp_eq_u32_sdwa s[28:29], v17, v42 src0_sel:WORD_0 src1_sel:DWORD
	v_cndmask_b32_e64 v16, v16, v17, s[28:29]
; %bb.793:                              ;   in Loop: Header=BB12_303 Depth=3
	s_or_b64 exec, exec, s[34:35]
	v_max_f32_e32 v15, v15, v15
	v_max_f32_e32 v8, v8, v8
	v_min_f32_e32 v17, v8, v15
	v_max_f32_e32 v8, v8, v15
	v_cndmask_b32_e32 v15, v8, v17, vcc
	v_and_b32_e32 v8, 0x7f800000, v15
	v_cmp_ne_u32_e64 s[28:29], s92, v8
                                        ; implicit-def: $vgpr8
	s_and_saveexec_b64 s[34:35], s[28:29]
	s_xor_b64 s[28:29], exec, s[34:35]
; %bb.794:                              ;   in Loop: Header=BB12_303 Depth=3
	v_bfe_u32 v8, v15, 16, 1
	v_add3_u32 v8, v15, v8, s93
                                        ; implicit-def: $vgpr15
; %bb.795:                              ;   in Loop: Header=BB12_303 Depth=3
	s_andn2_saveexec_b64 s[34:35], s[28:29]
; %bb.796:                              ;   in Loop: Header=BB12_303 Depth=3
	v_or_b32_e32 v8, 0x10000, v15
	v_cmp_eq_u32_sdwa s[28:29], v15, v42 src0_sel:WORD_0 src1_sel:DWORD
	v_cndmask_b32_e64 v8, v8, v15, s[28:29]
; %bb.797:                              ;   in Loop: Header=BB12_303 Depth=3
	s_or_b64 exec, exec, s[34:35]
	v_max_f32_e32 v7, v7, v7
	v_max_f32_e32 v6, v6, v6
	v_min_f32_e32 v15, v6, v7
	v_max_f32_e32 v6, v6, v7
	v_cndmask_b32_e32 v7, v6, v15, vcc
	v_and_b32_e32 v6, 0x7f800000, v7
	v_cmp_ne_u32_e32 vcc, s92, v6
                                        ; implicit-def: $vgpr6
	s_and_saveexec_b64 s[28:29], vcc
	s_xor_b64 s[28:29], exec, s[28:29]
; %bb.798:                              ;   in Loop: Header=BB12_303 Depth=3
	v_bfe_u32 v6, v7, 16, 1
	v_add3_u32 v6, v7, v6, s93
                                        ; implicit-def: $vgpr7
; %bb.799:                              ;   in Loop: Header=BB12_303 Depth=3
	s_andn2_saveexec_b64 s[28:29], s[28:29]
; %bb.800:                              ;   in Loop: Header=BB12_303 Depth=3
	v_or_b32_e32 v6, 0x10000, v7
	v_cmp_eq_u32_sdwa vcc, v7, v42 src0_sel:WORD_0 src1_sel:DWORD
	v_cndmask_b32_e32 v6, v6, v7, vcc
; %bb.801:                              ;   in Loop: Header=BB12_303 Depth=3
	s_or_b64 exec, exec, s[28:29]
	flat_store_short_d16_hi v[4:5], v0 glc slc
	flat_store_short_d16_hi v[4:5], v9 offset:128 glc slc
	flat_store_short_d16_hi v[4:5], v19 offset:256 glc slc
	;; [unrolled: 1-line block ×7, first 2 shown]
.LBB12_802:                             ;   in Loop: Header=BB12_303 Depth=3
	s_or_b64 exec, exec, s[30:31]
	v_lshlrev_b32_e32 v0, 10, v13
	v_cmp_ne_u32_e32 vcc, v55, v0
	s_and_saveexec_b64 s[58:59], vcc
	s_cbranch_execz .LBB12_828
; %bb.803:                              ;   in Loop: Header=BB12_303 Depth=3
	v_lshlrev_b32_e32 v4, 6, v14
	v_sub_u32_e32 v4, v12, v4
	v_ashrrev_i32_e32 v5, 31, v4
	v_lshrrev_b32_e32 v5, 26, v5
	v_add_u32_e32 v5, v4, v5
	v_and_b32_e32 v6, 0x7fffffc0, v5
	v_sub_u32_e32 v4, v4, v6
	v_lshlrev_b32_e32 v5, 1, v5
	v_and_b32_e32 v5, 0xffffff80, v5
	v_lshlrev_b32_e32 v4, 1, v4
	v_add3_u32 v0, v5, v4, v0
	v_add_u32_e32 v6, v0, v11
	v_ashrrev_i32_e32 v7, 31, v6
	v_add_co_u32_e32 v4, vcc, v6, v2
	v_sub_u32_e32 v8, v55, v0
	v_addc_co_u32_e32 v5, vcc, v7, v3, vcc
	v_cmp_lt_i32_e32 vcc, 1, v8
	s_mov_b64 s[28:29], 0
	s_and_saveexec_b64 s[60:61], vcc
	s_cbranch_execz .LBB12_822
; %bb.804:                              ;   in Loop: Header=BB12_303 Depth=3
	s_trap 2
	ds_read_b128 v[12:15], v0
	v_cmp_eq_u16_sdwa s[28:29], v10, v42 src0_sel:BYTE_0 src1_sel:DWORD
	s_mov_b64 s[66:67], 0
	s_mov_b64 s[62:63], 0
                                        ; implicit-def: $sgpr64_sgpr65
	s_waitcnt lgkmcnt(0)
	v_add_co_u32_e32 v0, vcc, v12, v6
	v_addc_co_u32_e32 v9, vcc, v13, v7, vcc
	v_add_co_u32_e32 v2, vcc, v14, v6
	v_addc_co_u32_e32 v3, vcc, v15, v7, vcc
	s_branch .LBB12_806
.LBB12_805:                             ;   in Loop: Header=BB12_806 Depth=4
	s_or_b64 exec, exec, s[30:31]
	v_lshrrev_b32_e32 v7, 16, v8
	v_accvgpr_read_b32 v12, a50
	buffer_store_short v7, off, s[0:3], s33 offset:192
	flat_store_short v[4:5], v7 glc slc
	v_accvgpr_read_b32 v13, a51
	v_add_co_u32_e32 v7, vcc, v0, v12
	v_addc_co_u32_e32 v8, vcc, v9, v13, vcc
	v_add_co_u32_e32 v11, vcc, v2, v12
	v_accvgpr_read_b32 v14, a52
	v_mov_b32_e32 v15, 0x80
	v_addc_co_u32_e32 v12, vcc, v3, v13, vcc
	v_accvgpr_read_b32 v13, a53
	v_cndmask_b32_e64 v14, v15, v14, s[66:67]
	v_cndmask_b32_e64 v0, v0, v7, s[66:67]
	v_accvgpr_read_b32 v7, a49
	v_cndmask_b32_e64 v13, 0, v13, s[66:67]
	v_add_co_u32_e32 v4, vcc, v4, v14
	v_cndmask_b32_e64 v7, 0, v7, s[66:67]
	v_addc_co_u32_e32 v5, vcc, v5, v13, vcc
	v_cndmask_b32_e64 v9, v9, v8, s[66:67]
	v_sub_u32_e32 v8, v6, v7
	v_cmp_gt_i32_e32 vcc, 2, v8
	s_or_b64 s[62:63], vcc, s[62:63]
	s_andn2_b64 vcc, s[64:65], exec
	s_and_b64 s[30:31], s[66:67], exec
	v_cndmask_b32_e64 v3, v3, v12, s[66:67]
	v_cndmask_b32_e64 v2, v2, v11, s[66:67]
	s_or_b64 s[64:65], vcc, s[30:31]
	s_andn2_b64 exec, exec, s[62:63]
	s_cbranch_execz .LBB12_821
.LBB12_806:                             ;   Parent Loop BB12_47 Depth=1
                                        ;     Parent Loop BB12_300 Depth=2
                                        ;       Parent Loop BB12_303 Depth=3
                                        ; =>      This Loop Header: Depth=4
                                        ;           Child Loop BB12_807 Depth 5
                                        ;           Child Loop BB12_816 Depth 5
	v_lshrrev_b32_e64 v6, 6, s33
	v_add_u32_e32 v6, 0xc0, v6
	s_mov_b64 s[68:69], -1
	s_mov_b64 s[70:71], 0
.LBB12_807:                             ;   Parent Loop BB12_47 Depth=1
                                        ;     Parent Loop BB12_300 Depth=2
                                        ;       Parent Loop BB12_303 Depth=3
                                        ;         Parent Loop BB12_806 Depth=4
                                        ; =>        This Inner Loop Header: Depth=5
	s_cmp_eq_u32 s70, 1
	s_cselect_b64 s[30:31], -1, 0
	v_cndmask_b32_e64 v13, v9, v3, s[30:31]
	v_cndmask_b32_e64 v12, v0, v2, s[30:31]
	flat_load_ushort v7, v[12:13] glc slc
	v_add_co_u32_e32 v11, vcc, 0x80, v12
	s_cmp_eq_u32 s70, 0
	v_addc_co_u32_e32 v12, vcc, 0, v13, vcc
	s_cselect_b64 vcc, -1, 0
	s_and_b64 s[34:35], exec, s[68:69]
	s_mov_b64 s[70:71], 1
	v_cndmask_b32_e64 v2, v2, v11, s[30:31]
	s_mov_b64 s[68:69], 0
	v_cndmask_b32_e64 v3, v3, v12, s[30:31]
	v_cndmask_b32_e32 v9, v9, v12, vcc
	v_cndmask_b32_e32 v0, v0, v11, vcc
	s_mov_b64 vcc, s[34:35]
	s_waitcnt vmcnt(0) lgkmcnt(0)
	buffer_store_short v7, v6, s[0:3], 0 offen
	v_lshrrev_b32_e64 v6, 6, s33
	v_add_u32_e32 v6, 0xe0, v6
	s_cbranch_vccnz .LBB12_807
; %bb.808:                              ;   in Loop: Header=BB12_806 Depth=4
	s_and_saveexec_b64 s[30:31], s[66:67]
	s_cbranch_execz .LBB12_814
; %bb.809:                              ;   in Loop: Header=BB12_806 Depth=4
	buffer_load_ushort v6, off, s[0:3], s33 offset:184
	buffer_load_ushort v7, off, s[0:3], s33 offset:186
	s_waitcnt vmcnt(1)
	v_lshlrev_b32_e32 v6, 16, v6
	s_waitcnt vmcnt(0)
	v_lshlrev_b32_e32 v7, 16, v7
	v_max_f32_e32 v7, v7, v7
	v_max_f32_e32 v6, v6, v6
	v_min_f32_e32 v11, v6, v7
	v_max_f32_e32 v6, v6, v7
	v_cndmask_b32_e64 v6, v6, v11, s[28:29]
	v_and_b32_e32 v7, 0x7f800000, v6
	v_cmp_ne_u32_e32 vcc, s92, v7
                                        ; implicit-def: $vgpr7
	s_and_saveexec_b64 s[34:35], vcc
	s_xor_b64 vcc, exec, s[34:35]
; %bb.810:                              ;   in Loop: Header=BB12_806 Depth=4
	v_bfe_u32 v7, v6, 16, 1
	v_add3_u32 v7, v6, v7, s93
                                        ; implicit-def: $vgpr6
; %bb.811:                              ;   in Loop: Header=BB12_806 Depth=4
	s_andn2_saveexec_b64 s[34:35], vcc
; %bb.812:                              ;   in Loop: Header=BB12_806 Depth=4
	v_or_b32_e32 v7, 0x10000, v6
	v_cmp_eq_u32_sdwa vcc, v6, v42 src0_sel:WORD_0 src1_sel:DWORD
	v_cndmask_b32_e32 v7, v7, v6, vcc
; %bb.813:                              ;   in Loop: Header=BB12_806 Depth=4
	s_or_b64 exec, exec, s[34:35]
	v_lshrrev_b32_e32 v6, 16, v7
	buffer_store_short v6, off, s[0:3], s33 offset:184
	flat_store_short v[4:5], v6 glc slc
	v_accvgpr_read_b32 v6, a52
	v_add_co_u32_e32 v4, vcc, v4, v6
	v_accvgpr_read_b32 v6, a53
	v_addc_co_u32_e32 v5, vcc, v5, v6, vcc
.LBB12_814:                             ;   in Loop: Header=BB12_806 Depth=4
	s_or_b64 exec, exec, s[30:31]
	v_accvgpr_read_b32 v6, a50
	v_accvgpr_read_b32 v7, a51
	v_add_co_u32_e32 v0, vcc, v0, v6
	v_addc_co_u32_e32 v9, vcc, v9, v7, vcc
	v_add_co_u32_e32 v2, vcc, v2, v6
	v_accvgpr_read_b32 v6, a49
	v_sub_u32_e32 v6, v8, v6
	v_addc_co_u32_e32 v3, vcc, v3, v7, vcc
	v_cmp_lt_i32_e64 s[66:67], 1, v6
	s_and_saveexec_b64 s[68:69], s[66:67]
	s_cbranch_execz .LBB12_817
; %bb.815:                              ;   in Loop: Header=BB12_806 Depth=4
	v_lshrrev_b32_e64 v7, 6, s33
	v_add_u32_e32 v7, 0xb8, v7
	s_mov_b64 s[72:73], 0
	s_mov_b64 s[70:71], -1
.LBB12_816:                             ;   Parent Loop BB12_47 Depth=1
                                        ;     Parent Loop BB12_300 Depth=2
                                        ;       Parent Loop BB12_303 Depth=3
                                        ;         Parent Loop BB12_806 Depth=4
                                        ; =>        This Inner Loop Header: Depth=5
	s_cmp_eq_u32 s72, 1
	s_cselect_b64 s[30:31], -1, 0
	v_cndmask_b32_e64 v13, v9, v3, s[30:31]
	v_cndmask_b32_e64 v12, v0, v2, s[30:31]
	flat_load_ushort v8, v[12:13] glc slc
	v_add_co_u32_e32 v11, vcc, 0x80, v12
	s_cmp_eq_u32 s72, 0
	v_addc_co_u32_e32 v12, vcc, 0, v13, vcc
	s_cselect_b64 vcc, -1, 0
	s_and_b64 s[34:35], exec, s[70:71]
	s_mov_b64 s[72:73], 1
	v_cndmask_b32_e64 v2, v2, v11, s[30:31]
	s_mov_b64 s[70:71], 0
	v_cndmask_b32_e32 v9, v9, v12, vcc
	v_cndmask_b32_e32 v0, v0, v11, vcc
	v_cndmask_b32_e64 v3, v3, v12, s[30:31]
	s_mov_b64 vcc, s[34:35]
	s_waitcnt vmcnt(0) lgkmcnt(0)
	buffer_store_short v8, v7, s[0:3], 0 offen
	v_lshrrev_b32_e64 v7, 6, s33
	v_add_u32_e32 v7, 0xba, v7
	s_cbranch_vccnz .LBB12_816
.LBB12_817:                             ;   in Loop: Header=BB12_806 Depth=4
	s_or_b64 exec, exec, s[68:69]
	buffer_load_ushort v7, off, s[0:3], s33 offset:192
	buffer_load_ushort v8, off, s[0:3], s33 offset:224
	s_waitcnt vmcnt(0)
	v_lshlrev_b32_e32 v7, 16, v7
	v_lshlrev_b32_e32 v8, 16, v8
	v_max_f32_e32 v8, v8, v8
	v_max_f32_e32 v7, v7, v7
	v_min_f32_e32 v11, v7, v8
	v_max_f32_e32 v7, v7, v8
	v_cndmask_b32_e64 v7, v7, v11, s[28:29]
	v_and_b32_e32 v8, 0x7f800000, v7
	v_cmp_ne_u32_e32 vcc, s92, v8
                                        ; implicit-def: $vgpr8
	s_and_saveexec_b64 s[30:31], vcc
	s_xor_b64 vcc, exec, s[30:31]
; %bb.818:                              ;   in Loop: Header=BB12_806 Depth=4
	v_bfe_u32 v8, v7, 16, 1
	v_add3_u32 v8, v7, v8, s93
                                        ; implicit-def: $vgpr7
; %bb.819:                              ;   in Loop: Header=BB12_806 Depth=4
	s_andn2_saveexec_b64 s[30:31], vcc
	s_cbranch_execz .LBB12_805
; %bb.820:                              ;   in Loop: Header=BB12_806 Depth=4
	v_or_b32_e32 v8, 0x10000, v7
	v_cmp_eq_u32_sdwa vcc, v7, v42 src0_sel:WORD_0 src1_sel:DWORD
	v_cndmask_b32_e32 v8, v8, v7, vcc
	s_branch .LBB12_805
.LBB12_821:                             ;   in Loop: Header=BB12_303 Depth=3
	s_or_b64 exec, exec, s[62:63]
	s_and_b64 s[28:29], s[64:65], exec
.LBB12_822:                             ;   in Loop: Header=BB12_303 Depth=3
	s_or_b64 exec, exec, s[60:61]
	s_and_b64 exec, exec, s[28:29]
	s_cbranch_execz .LBB12_828
; %bb.823:                              ;   in Loop: Header=BB12_303 Depth=3
	buffer_load_ushort v0, off, s[0:3], s33 offset:184
	buffer_load_ushort v2, off, s[0:3], s33 offset:186
	v_cmp_eq_u16_sdwa vcc, v10, v42 src0_sel:BYTE_0 src1_sel:DWORD
	s_waitcnt vmcnt(0)
	v_lshlrev_b32_e32 v0, 16, v0
	v_lshlrev_b32_e32 v2, 16, v2
	v_max_f32_e32 v2, v2, v2
	v_max_f32_e32 v0, v0, v0
	v_min_f32_e32 v3, v0, v2
	v_max_f32_e32 v0, v0, v2
	v_cndmask_b32_e32 v0, v0, v3, vcc
	v_and_b32_e32 v2, 0x7f800000, v0
	v_cmp_ne_u32_e32 vcc, s92, v2
                                        ; implicit-def: $vgpr2
	s_and_saveexec_b64 s[28:29], vcc
	s_xor_b64 s[28:29], exec, s[28:29]
; %bb.824:                              ;   in Loop: Header=BB12_303 Depth=3
	v_bfe_u32 v2, v0, 16, 1
	v_add3_u32 v2, v0, v2, s93
                                        ; implicit-def: $vgpr0
; %bb.825:                              ;   in Loop: Header=BB12_303 Depth=3
	s_andn2_saveexec_b64 s[28:29], s[28:29]
; %bb.826:                              ;   in Loop: Header=BB12_303 Depth=3
	v_or_b32_e32 v2, 0x10000, v0
	v_cmp_eq_u32_sdwa vcc, v0, v42 src0_sel:WORD_0 src1_sel:DWORD
	v_cndmask_b32_e32 v2, v2, v0, vcc
; %bb.827:                              ;   in Loop: Header=BB12_303 Depth=3
	s_or_b64 exec, exec, s[28:29]
	flat_store_short_d16_hi v[4:5], v2 glc slc
.LBB12_828:                             ;   in Loop: Header=BB12_303 Depth=3
	s_or_b64 exec, exec, s[58:59]
.LBB12_829:                             ;   in Loop: Header=BB12_303 Depth=3
	s_or_b64 exec, exec, s[36:37]
.LBB12_830:                             ;   in Loop: Header=BB12_303 Depth=3
	s_and_saveexec_b64 s[28:29], s[10:11]
	s_cbranch_execz .LBB12_849
; %bb.831:                              ;   in Loop: Header=BB12_303 Depth=3
	s_and_saveexec_b64 vcc, s[44:45]
	s_xor_b64 s[30:31], exec, vcc
	s_cbranch_execz .LBB12_846
; %bb.832:                              ;   in Loop: Header=BB12_303 Depth=3
	s_and_saveexec_b64 s[34:35], s[16:17]
	s_cbranch_execz .LBB12_845
; %bb.833:                              ;   in Loop: Header=BB12_303 Depth=3
	s_mov_b64 s[58:59], exec
	v_mbcnt_lo_u32_b32 v0, s58, 0
	v_mbcnt_hi_u32_b32 v0, s59, v0
	v_cmp_eq_u32_e32 vcc, 0, v0
	s_waitcnt vmcnt(0) lgkmcnt(0)
	buffer_wbinvl1_vol
	s_and_saveexec_b64 s[36:37], vcc
	s_cbranch_execz .LBB12_835
; %bb.834:                              ;   in Loop: Header=BB12_303 Depth=3
	s_bcnt1_i32_b64 vcc_lo, s[58:59]
	v_mov_b32_e32 v2, vcc_lo
	v_mov_b32_e32 v3, v42
	ds_add_u64 v0, v[2:3]
	s_trap 2
.LBB12_835:                             ;   in Loop: Header=BB12_303 Depth=3
	s_or_b64 exec, exec, s[36:37]
	s_trap 2
	ds_read_b64 v[2:3], v0
	v_accvgpr_read_b32 v4, a14
	v_accvgpr_read_b32 v0, a22
	;; [unrolled: 1-line block ×3, first 2 shown]
	v_add_co_u32_e32 v4, vcc, v4, v0
	v_addc_co_u32_e32 v5, vcc, 0, v5, vcc
	v_accvgpr_write_b32 a15, v5
	v_accvgpr_write_b32 a14, v4
	s_waitcnt lgkmcnt(0)
	v_cmp_lt_u64_e32 vcc, v[2:3], v[4:5]
	s_and_saveexec_b64 s[36:37], vcc
	s_cbranch_execz .LBB12_844
; %bb.836:                              ;   in Loop: Header=BB12_303 Depth=3
	s_mov_b32 s68, 0
	s_mov_b64 s[58:59], 0
                                        ; implicit-def: $sgpr60_sgpr61
                                        ; implicit-def: $sgpr62_sgpr63
	s_branch .LBB12_838
.LBB12_837:                             ;   in Loop: Header=BB12_838 Depth=4
	s_or_b64 exec, exec, s[66:67]
	s_and_b64 vcc, exec, vcc
	s_or_b64 s[58:59], vcc, s[58:59]
	s_andn2_b64 vcc, s[60:61], exec
	s_and_b64 s[60:61], s[62:63], exec
	s_or_b64 s[60:61], vcc, s[60:61]
	s_andn2_b64 exec, exec, s[58:59]
	s_cbranch_execz .LBB12_842
.LBB12_838:                             ;   Parent Loop BB12_47 Depth=1
                                        ;     Parent Loop BB12_300 Depth=2
                                        ;       Parent Loop BB12_303 Depth=3
                                        ; =>      This Inner Loop Header: Depth=4
	s_add_i32 s68, s68, 1
	s_cmpk_lg_i32 s68, 0x2710
	s_cselect_b64 s[64:65], -1, 0
	s_and_b64 vcc, exec, s[64:65]
                                        ; implicit-def: $sgpr66_sgpr67
	s_cbranch_vccnz .LBB12_840
; %bb.839:                              ;   in Loop: Header=BB12_838 Depth=4
	s_trap 2
	ds_read_b64 v[2:3], v0
	s_andn2_b64 s[64:65], s[64:65], exec
	s_mov_b32 s68, 0
	s_mov_b64 s[66:67], -1
	s_waitcnt lgkmcnt(0)
	flat_load_dword v0, v[2:3] glc
	s_waitcnt vmcnt(0) lgkmcnt(0)
	buffer_invl2
	buffer_wbinvl1_vol
	v_cmp_eq_u32_e32 vcc, 0, v0
	s_and_b64 vcc, vcc, exec
	s_or_b64 s[64:65], s[64:65], vcc
.LBB12_840:                             ;   in Loop: Header=BB12_838 Depth=4
	s_andn2_b64 s[62:63], s[62:63], exec
	s_and_b64 s[66:67], s[66:67], exec
	s_mov_b64 vcc, -1
	s_or_b64 s[62:63], s[62:63], s[66:67]
	s_and_saveexec_b64 s[66:67], s[64:65]
	s_cbranch_execz .LBB12_837
; %bb.841:                              ;   in Loop: Header=BB12_838 Depth=4
	s_sleep 1
	s_trap 2
	ds_read_b64 v[2:3], v0
	v_accvgpr_read_b32 v4, a14
	v_accvgpr_read_b32 v5, a15
	s_andn2_b64 s[62:63], s[62:63], exec
	s_waitcnt lgkmcnt(0)
	v_cmp_ge_u64_e32 vcc, v[2:3], v[4:5]
	s_orn2_b64 vcc, vcc, exec
	s_branch .LBB12_837
.LBB12_842:                             ;   in Loop: Header=BB12_303 Depth=3
	s_or_b64 exec, exec, s[58:59]
	s_and_saveexec_b64 vcc, s[60:61]
	s_xor_b64 vcc, exec, vcc
	s_cbranch_execz .LBB12_844
; %bb.843:                              ;   in Loop: Header=BB12_303 Depth=3
	v_mov_b32_e32 v0, 1
	ds_write_b32 v0, v0
	s_trap 2
.LBB12_844:                             ;   in Loop: Header=BB12_303 Depth=3
	s_or_b64 exec, exec, s[36:37]
	;;#ASMSTART
	s_wakeup
	;;#ASMEND
.LBB12_845:                             ;   in Loop: Header=BB12_303 Depth=3
	s_or_b64 exec, exec, s[34:35]
.LBB12_846:                             ;   in Loop: Header=BB12_303 Depth=3
	s_andn2_saveexec_b64 vcc, s[30:31]
	s_cbranch_execz .LBB12_848
; %bb.847:                              ;   in Loop: Header=BB12_303 Depth=3
	s_waitcnt vmcnt(0) lgkmcnt(0)
	buffer_wbinvl1_vol
	s_barrier
.LBB12_848:                             ;   in Loop: Header=BB12_303 Depth=3
	s_or_b64 exec, exec, vcc
.LBB12_849:                             ;   in Loop: Header=BB12_303 Depth=3
	s_or_b64 exec, exec, s[28:29]
	v_and_b32_e32 v0, 16, v29
	s_and_saveexec_b64 s[28:29], s[24:25]
	s_xor_b64 s[30:31], exec, s[28:29]
	s_cbranch_execz .LBB12_853
; %bb.850:                              ;   in Loop: Header=BB12_303 Depth=3
	v_and_b32_e32 v2, 16, v29
	v_cmp_lt_i32_e32 vcc, 0, v53
	v_cmp_ne_u32_e64 s[28:29], 0, v2
	v_and_b32_e32 v0, 16, v29
	s_and_b64 vcc, s[28:29], vcc
	s_and_saveexec_b64 s[28:29], vcc
	s_cbranch_execz .LBB12_852
; %bb.851:                              ;   in Loop: Header=BB12_303 Depth=3
	v_mov_b32_e32 v0, 1
	s_waitcnt vmcnt(0) lgkmcnt(0)
	buffer_wbinvl1_vol
.LBB12_852:                             ;   in Loop: Header=BB12_303 Depth=3
	s_or_b64 exec, exec, s[28:29]
.LBB12_853:                             ;   in Loop: Header=BB12_303 Depth=3
	s_andn2_saveexec_b64 s[28:29], s[30:31]
	s_cbranch_execz .LBB12_872
; %bb.854:                              ;   in Loop: Header=BB12_303 Depth=3
	s_and_saveexec_b64 vcc, s[44:45]
	s_xor_b64 s[30:31], exec, vcc
	s_cbranch_execz .LBB12_869
; %bb.855:                              ;   in Loop: Header=BB12_303 Depth=3
	s_and_saveexec_b64 s[34:35], s[16:17]
	s_cbranch_execz .LBB12_868
; %bb.856:                              ;   in Loop: Header=BB12_303 Depth=3
	s_mov_b64 s[58:59], exec
	v_mbcnt_lo_u32_b32 v2, s58, 0
	v_mbcnt_hi_u32_b32 v2, s59, v2
	v_cmp_eq_u32_e32 vcc, 0, v2
	;;#ASMSTART
	s_waitcnt lgkmcnt(0) vmcnt(0)
	;;#ASMEND
	s_and_saveexec_b64 s[36:37], vcc
	s_cbranch_execz .LBB12_858
; %bb.857:                              ;   in Loop: Header=BB12_303 Depth=3
	s_bcnt1_i32_b64 vcc_lo, s[58:59]
	v_mov_b32_e32 v2, vcc_lo
	v_mov_b32_e32 v3, v42
	ds_add_u64 v0, v[2:3]
	s_trap 2
.LBB12_858:                             ;   in Loop: Header=BB12_303 Depth=3
	s_or_b64 exec, exec, s[36:37]
	s_trap 2
	ds_read_b64 v[2:3], v0
	v_accvgpr_read_b32 v4, a14
	v_accvgpr_read_b32 v6, a22
	;; [unrolled: 1-line block ×3, first 2 shown]
	v_add_co_u32_e32 v4, vcc, v4, v6
	v_addc_co_u32_e32 v5, vcc, 0, v5, vcc
	v_accvgpr_write_b32 a15, v5
	v_accvgpr_write_b32 a14, v4
	s_waitcnt lgkmcnt(0)
	v_cmp_lt_u64_e32 vcc, v[2:3], v[4:5]
	s_and_saveexec_b64 s[36:37], vcc
	s_cbranch_execz .LBB12_867
; %bb.859:                              ;   in Loop: Header=BB12_303 Depth=3
	s_mov_b32 s68, 0
	s_mov_b64 s[58:59], 0
                                        ; implicit-def: $sgpr60_sgpr61
                                        ; implicit-def: $sgpr62_sgpr63
	s_branch .LBB12_861
.LBB12_860:                             ;   in Loop: Header=BB12_861 Depth=4
	s_or_b64 exec, exec, s[66:67]
	s_and_b64 vcc, exec, vcc
	s_or_b64 s[58:59], vcc, s[58:59]
	s_andn2_b64 vcc, s[60:61], exec
	s_and_b64 s[60:61], s[62:63], exec
	s_or_b64 s[60:61], vcc, s[60:61]
	s_andn2_b64 exec, exec, s[58:59]
	s_cbranch_execz .LBB12_865
.LBB12_861:                             ;   Parent Loop BB12_47 Depth=1
                                        ;     Parent Loop BB12_300 Depth=2
                                        ;       Parent Loop BB12_303 Depth=3
                                        ; =>      This Inner Loop Header: Depth=4
	s_add_i32 s68, s68, 1
	s_cmpk_lg_i32 s68, 0x2710
	s_cselect_b64 s[64:65], -1, 0
	s_and_b64 vcc, exec, s[64:65]
                                        ; implicit-def: $sgpr66_sgpr67
	s_cbranch_vccnz .LBB12_863
; %bb.862:                              ;   in Loop: Header=BB12_861 Depth=4
	s_trap 2
	ds_read_b64 v[2:3], v0
	s_andn2_b64 s[64:65], s[64:65], exec
	s_mov_b32 s68, 0
	s_mov_b64 s[66:67], -1
	s_waitcnt vmcnt(0) lgkmcnt(0)
	flat_load_dword v2, v[2:3] glc
	s_waitcnt vmcnt(0) lgkmcnt(0)
	buffer_invl2
	buffer_wbinvl1_vol
	v_cmp_eq_u32_e32 vcc, 0, v2
	s_and_b64 vcc, vcc, exec
	s_or_b64 s[64:65], s[64:65], vcc
.LBB12_863:                             ;   in Loop: Header=BB12_861 Depth=4
	s_andn2_b64 s[62:63], s[62:63], exec
	s_and_b64 s[66:67], s[66:67], exec
	s_mov_b64 vcc, -1
	s_or_b64 s[62:63], s[62:63], s[66:67]
	s_and_saveexec_b64 s[66:67], s[64:65]
	s_cbranch_execz .LBB12_860
; %bb.864:                              ;   in Loop: Header=BB12_861 Depth=4
	s_sleep 1
	s_trap 2
	ds_read_b64 v[2:3], v0
	v_accvgpr_read_b32 v4, a14
	v_accvgpr_read_b32 v5, a15
	s_andn2_b64 s[62:63], s[62:63], exec
	s_waitcnt lgkmcnt(0)
	v_cmp_ge_u64_e32 vcc, v[2:3], v[4:5]
	s_orn2_b64 vcc, vcc, exec
	s_branch .LBB12_860
.LBB12_865:                             ;   in Loop: Header=BB12_303 Depth=3
	s_or_b64 exec, exec, s[58:59]
	s_and_saveexec_b64 vcc, s[60:61]
	s_xor_b64 vcc, exec, vcc
	s_cbranch_execz .LBB12_867
; %bb.866:                              ;   in Loop: Header=BB12_303 Depth=3
	v_mov_b32_e32 v2, 1
	ds_write_b32 v0, v2
	s_trap 2
.LBB12_867:                             ;   in Loop: Header=BB12_303 Depth=3
	s_or_b64 exec, exec, s[36:37]
	;;#ASMSTART
	s_wakeup
	;;#ASMEND
.LBB12_868:                             ;   in Loop: Header=BB12_303 Depth=3
	s_or_b64 exec, exec, s[34:35]
.LBB12_869:                             ;   in Loop: Header=BB12_303 Depth=3
	s_andn2_saveexec_b64 vcc, s[30:31]
	s_cbranch_execz .LBB12_871
; %bb.870:                              ;   in Loop: Header=BB12_303 Depth=3
	;;#ASMSTART
	s_waitcnt lgkmcnt(0) vmcnt(0)
	;;#ASMEND
	s_barrier
.LBB12_871:                             ;   in Loop: Header=BB12_303 Depth=3
	s_or_b64 exec, exec, vcc
.LBB12_872:                             ;   in Loop: Header=BB12_303 Depth=3
	s_or_b64 exec, exec, s[28:29]
	v_cmp_ne_u32_e32 vcc, 0, v0
	s_xor_b64 s[28:29], s[12:13], -1
	s_and_b64 vcc, vcc, s[28:29]
	s_and_saveexec_b64 s[28:29], vcc
	s_cbranch_execz .LBB12_874
; %bb.873:                              ;   in Loop: Header=BB12_303 Depth=3
	v_accvgpr_read_b32 v2, a20
	v_accvgpr_read_b32 v3, a21
	v_mov_b32_e32 v0, 1
	flat_store_dword v[2:3], v0
.LBB12_874:                             ;   in Loop: Header=BB12_303 Depth=3
	s_or_b64 exec, exec, s[28:29]
	v_and_b32_e32 v0, 48, v29
	v_cmp_ne_u32_e32 vcc, 0, v0
	s_and_saveexec_b64 s[28:29], vcc
	s_cbranch_execz .LBB12_302
; %bb.875:                              ;   in Loop: Header=BB12_303 Depth=3
	v_add_co_u32_e32 v44, vcc, 2, v44
	v_addc_co_u32_e32 v45, vcc, 0, v45, vcc
	flat_store_dwordx2 v[46:47], v[44:45]
	s_branch .LBB12_302
.LBB12_876:                             ;   in Loop: Header=BB12_300 Depth=2
	s_or_b64 exec, exec, s[54:55]
.LBB12_877:                             ;   in Loop: Header=BB12_300 Depth=2
	s_or_b64 exec, exec, s[52:53]
	v_cmp_gt_i32_e32 vcc, 2, v0
	s_and_saveexec_b64 s[30:31], vcc
	s_cbranch_execz .LBB12_299
; %bb.878:                              ;   in Loop: Header=BB12_300 Depth=2
	v_cmp_eq_u32_e64 s[28:29], 0, v0
	s_mov_b64 s[34:35], 0
	s_branch .LBB12_880
.LBB12_879:                             ;   in Loop: Header=BB12_880 Depth=3
	s_or_b64 exec, exec, s[28:29]
	v_add_u32_e32 v54, v52, v54
	s_mov_b64 s[28:29], 0
	s_andn2_b64 exec, exec, s[34:35]
	s_cbranch_execz .LBB12_298
.LBB12_880:                             ;   Parent Loop BB12_47 Depth=1
                                        ;     Parent Loop BB12_300 Depth=2
                                        ; =>    This Loop Header: Depth=3
                                        ;         Child Loop BB12_886 Depth 4
                                        ;         Child Loop BB12_926 Depth 4
	;; [unrolled: 1-line block ×3, first 2 shown]
	v_and_b32_e32 v0, 12, v29
	s_mov_b64 s[52:53], -1
	v_cmp_ne_u32_e32 vcc, 0, v0
	s_and_saveexec_b64 s[36:37], vcc
	s_cbranch_execz .LBB12_892
; %bb.881:                              ;   in Loop: Header=BB12_880 Depth=3
	v_and_b32_e32 v0, 8, v29
	v_add_co_u32_e32 v4, vcc, v60, v0
	v_addc_co_u32_e32 v5, vcc, 0, v61, vcc
	v_add_co_u32_e32 v2, vcc, 2, v44
	v_addc_co_u32_e32 v3, vcc, 0, v45, vcc
	v_cmp_lt_u64_e32 vcc, v[4:5], v[2:3]
	v_mov_b32_e32 v4, 1
	s_and_saveexec_b64 s[52:53], vcc
	s_cbranch_execz .LBB12_891
; %bb.882:                              ;   in Loop: Header=BB12_880 Depth=3
	s_mov_b64 s[54:55], 0
	v_mov_b32_e32 v4, 0
                                        ; implicit-def: $sgpr56_sgpr57
	s_branch .LBB12_886
.LBB12_883:                             ;   in Loop: Header=BB12_886 Depth=4
	s_or_b64 exec, exec, s[64:65]
	v_mov_b32_e32 v5, 0
	s_orn2_b64 s[62:63], s[62:63], exec
.LBB12_884:                             ;   in Loop: Header=BB12_886 Depth=4
	s_or_b64 exec, exec, s[60:61]
	s_andn2_b64 vcc, s[56:57], exec
	s_and_b64 s[56:57], s[62:63], exec
	s_or_b64 s[56:57], vcc, s[56:57]
	v_mov_b32_e32 v4, v5
.LBB12_885:                             ;   in Loop: Header=BB12_886 Depth=4
	s_or_b64 exec, exec, s[58:59]
	s_waitcnt vmcnt(0) lgkmcnt(0)
	v_add_co_u32_e32 v6, vcc, v60, v0
	v_addc_co_u32_e32 v7, vcc, 0, v61, vcc
	v_cmp_ge_u64_e32 vcc, v[6:7], v[2:3]
	s_xor_b64 s[58:59], s[56:57], -1
	s_or_b64 vcc, s[58:59], vcc
	s_and_b64 vcc, exec, vcc
	s_or_b64 s[54:55], vcc, s[54:55]
	s_andn2_b64 exec, exec, s[54:55]
	s_cbranch_execz .LBB12_890
.LBB12_886:                             ;   Parent Loop BB12_47 Depth=1
                                        ;     Parent Loop BB12_300 Depth=2
                                        ;       Parent Loop BB12_880 Depth=3
                                        ; =>      This Inner Loop Header: Depth=4
	s_sleep 1
	flat_load_dwordx2 v[60:61], v[46:47] glc
	v_and_b32_e32 v5, 64, v29
	v_cmp_eq_u32_e32 vcc, 0, v5
	s_andn2_b64 s[56:57], s[56:57], exec
	s_and_saveexec_b64 s[58:59], vcc
	s_cbranch_execz .LBB12_885
; %bb.887:                              ;   in Loop: Header=BB12_886 Depth=4
	v_add_u32_e32 v5, 1, v4
	v_cmp_lt_i32_e32 vcc, s90, v4
	s_mov_b64 s[62:63], -1
	s_and_saveexec_b64 s[60:61], vcc
	s_cbranch_execz .LBB12_884
; %bb.888:                              ;   in Loop: Header=BB12_886 Depth=4
	s_trap 2
	ds_read_b64 v[4:5], v0
	s_waitcnt vmcnt(0) lgkmcnt(0)
	flat_load_dword v4, v[4:5] glc
	s_waitcnt vmcnt(0) lgkmcnt(0)
	buffer_invl2
	buffer_wbinvl1_vol
	v_cmp_ne_u32_e32 vcc, 0, v4
	s_and_saveexec_b64 s[64:65], vcc
	s_cbranch_execz .LBB12_883
; %bb.889:                              ;   in Loop: Header=BB12_886 Depth=4
	v_or_b32_e32 v29, 64, v29
	s_xor_b64 s[62:63], exec, -1
	ds_write_b32 v0, v4
	s_trap 2
	s_branch .LBB12_883
.LBB12_890:                             ;   in Loop: Header=BB12_880 Depth=3
	s_or_b64 exec, exec, s[54:55]
	v_and_b32_e32 v4, 12, v29
.LBB12_891:                             ;   in Loop: Header=BB12_880 Depth=3
	s_or_b64 exec, exec, s[52:53]
	v_cmp_eq_u32_e32 vcc, 0, v4
	s_orn2_b64 s[52:53], vcc, exec
	;;#ASMSTART
	s_wakeup
	;;#ASMEND
.LBB12_892:                             ;   in Loop: Header=BB12_880 Depth=3
	s_or_b64 exec, exec, s[36:37]
	s_xor_b64 s[28:29], s[28:29], -1
	s_and_b64 s[28:29], exec, s[28:29]
	s_or_b64 s[34:35], s[28:29], s[34:35]
	v_sub_u32_e32 v0, v24, v54
	s_xor_b64 s[28:29], s[52:53], -1
	v_min_i32_e32 v52, v52, v0
	s_and_saveexec_b64 s[36:37], s[28:29]
	s_cbranch_execz .LBB12_918
; %bb.893:                              ;   in Loop: Header=BB12_880 Depth=3
	v_and_b32_e32 v0, 0x108, v29
	v_cmp_ne_u32_e32 vcc, s91, v0
	v_and_b32_e32 v0, 7, v44
	s_and_saveexec_b64 s[28:29], vcc
	s_xor_b64 s[28:29], exec, s[28:29]
                                        ; implicit-def: $vgpr2_vgpr3
; %bb.894:                              ;   in Loop: Header=BB12_880 Depth=3
	v_mov_b32_e32 v3, v42
; %bb.895:                              ;   in Loop: Header=BB12_880 Depth=3
	s_andn2_saveexec_b64 s[28:29], s[28:29]
	s_cbranch_execz .LBB12_897
; %bb.896:                              ;   in Loop: Header=BB12_880 Depth=3
	v_accvgpr_read_b32 v4, a12
	v_accvgpr_read_b32 v5, a13
	v_ashrrev_i32_e32 v53, 31, v52
	v_mov_b32_e32 v3, v42
	v_mad_u64_u32 v[4:5], vcc, v0, 24, v[4:5]
	v_lshlrev_b64 v[6:7], 1, v[52:53]
	flat_store_dwordx2 v[4:5], v[6:7] offset:8
.LBB12_897:                             ;   in Loop: Header=BB12_880 Depth=3
	s_or_b64 exec, exec, s[28:29]
	v_and_b32_e32 v2, 0x100, v29
	v_cmp_ne_u32_e32 vcc, 0, v2
	s_mov_b64 s[28:29], -1
                                        ; implicit-def: $vgpr4_vgpr5
	s_and_saveexec_b64 s[52:53], vcc
	s_cbranch_execz .LBB12_901
; %bb.898:                              ;   in Loop: Header=BB12_880 Depth=3
	v_accvgpr_read_b32 v4, a12
	v_accvgpr_read_b32 v5, a13
	v_mad_u64_u32 v[6:7], s[28:29], v0, 24, v[4:5]
	v_mov_b32_e32 v2, v7
	v_mad_u64_u32 v[4:5], s[28:29], v3, 24, v[2:3]
	v_mov_b32_e32 v7, v4
	flat_load_dword v2, v[6:7]
                                        ; implicit-def: $vgpr4_vgpr5
	s_waitcnt vmcnt(0) lgkmcnt(0)
	v_cmp_ne_u32_e32 vcc, 1, v2
	v_cmp_eq_u32_e64 s[28:29], 1, v2
	s_and_saveexec_b64 s[54:55], s[28:29]
	s_cbranch_execz .LBB12_900
; %bb.899:                              ;   in Loop: Header=BB12_880 Depth=3
	flat_load_dword v4, v[6:7] offset:4 glc
	s_waitcnt vmcnt(0) lgkmcnt(0)
	v_ashrrev_i32_e32 v5, 31, v4
	v_lshrrev_b64 v[4:5], 1, v[4:5]
.LBB12_900:                             ;   in Loop: Header=BB12_880 Depth=3
	s_or_b64 exec, exec, s[54:55]
	s_orn2_b64 s[28:29], vcc, exec
.LBB12_901:                             ;   in Loop: Header=BB12_880 Depth=3
	s_or_b64 exec, exec, s[52:53]
	s_and_saveexec_b64 vcc, s[28:29]
; %bb.902:                              ;   in Loop: Header=BB12_880 Depth=3
	v_accvgpr_read_b32 v4, a16
	v_mul_lo_u32 v2, v3, v4
	v_accvgpr_read_b32 v3, a3
	v_mul_lo_u32 v3, v0, v3
	v_mad_u64_u32 v[4:5], s[28:29], v0, v4, 0
	v_add3_u32 v5, v5, v3, v2
; %bb.903:                              ;   in Loop: Header=BB12_880 Depth=3
	s_or_b64 exec, exec, vcc
	v_lshlrev_b64 v[2:3], 1, v[4:5]
	v_accvgpr_read_b32 v4, a18
	v_accvgpr_read_b32 v5, a19
	v_add_co_u32_e32 v2, vcc, v4, v2
	v_addc_co_u32_e32 v3, vcc, v5, v3, vcc
	s_trap 2
	ds_write_b64 v0, v[2:3]
	v_and_b32_e32 v0, 0x2000, v29
	v_cmp_ne_u32_e32 vcc, 0, v0
	s_and_saveexec_b64 s[28:29], vcc
	s_cbranch_execz .LBB12_905
; %bb.904:                              ;   in Loop: Header=BB12_880 Depth=3
	ds_read_b64 v[2:3], v0 offset:584
	s_waitcnt lgkmcnt(0)
	v_add_co_u32_e32 v2, vcc, 1, v2
	v_addc_co_u32_e32 v3, vcc, 0, v3, vcc
	ds_write_b64 v0, v[2:3] offset:584
.LBB12_905:                             ;   in Loop: Header=BB12_880 Depth=3
	s_or_b64 exec, exec, s[28:29]
	v_add_co_u32_e32 v44, vcc, 2, v44
	v_addc_co_u32_e32 v45, vcc, 0, v45, vcc
	s_or_b64 exec, exec, s[36:37]
	s_and_saveexec_b64 s[28:29], s[10:11]
	s_cbranch_execnz .LBB12_919
.LBB12_906:                             ;   in Loop: Header=BB12_880 Depth=3
	s_or_b64 exec, exec, s[28:29]
                                        ; implicit-def: $vgpr0
	s_and_saveexec_b64 s[28:29], s[48:49]
	s_xor_b64 s[28:29], exec, s[28:29]
	s_cbranch_execz .LBB12_944
.LBB12_907:                             ;   in Loop: Header=BB12_880 Depth=3
	s_and_saveexec_b64 vcc, s[44:45]
	s_xor_b64 s[36:37], exec, vcc
	s_cbranch_execz .LBB12_934
; %bb.908:                              ;   in Loop: Header=BB12_880 Depth=3
	s_and_saveexec_b64 s[52:53], s[16:17]
	s_cbranch_execz .LBB12_933
; %bb.909:                              ;   in Loop: Header=BB12_880 Depth=3
	s_mov_b64 s[56:57], exec
	v_mbcnt_lo_u32_b32 v0, s56, 0
	v_mbcnt_hi_u32_b32 v0, s57, v0
	v_cmp_eq_u32_e32 vcc, 0, v0
	;;#ASMSTART
	s_waitcnt lgkmcnt(0) vmcnt(0)
	;;#ASMEND
	s_and_saveexec_b64 s[54:55], vcc
	s_cbranch_execz .LBB12_911
; %bb.910:                              ;   in Loop: Header=BB12_880 Depth=3
	s_bcnt1_i32_b64 vcc_lo, s[56:57]
	v_mov_b32_e32 v2, vcc_lo
	v_mov_b32_e32 v3, v42
	ds_add_u64 v0, v[2:3]
	s_trap 2
.LBB12_911:                             ;   in Loop: Header=BB12_880 Depth=3
	s_or_b64 exec, exec, s[54:55]
	s_trap 2
	ds_read_b64 v[2:3], v0
	v_accvgpr_read_b32 v4, a14
	v_accvgpr_read_b32 v0, a22
	;; [unrolled: 1-line block ×3, first 2 shown]
	v_add_co_u32_e32 v4, vcc, v4, v0
	v_addc_co_u32_e32 v5, vcc, 0, v5, vcc
	v_accvgpr_write_b32 a15, v5
	v_accvgpr_write_b32 a14, v4
	s_waitcnt lgkmcnt(0)
	v_cmp_lt_u64_e32 vcc, v[2:3], v[4:5]
	s_and_saveexec_b64 s[54:55], vcc
	s_cbranch_execz .LBB12_932
; %bb.912:                              ;   in Loop: Header=BB12_880 Depth=3
	s_mov_b32 s66, 0
	s_mov_b64 s[56:57], 0
                                        ; implicit-def: $sgpr58_sgpr59
                                        ; implicit-def: $sgpr60_sgpr61
	s_branch .LBB12_914
.LBB12_913:                             ;   in Loop: Header=BB12_914 Depth=4
	s_or_b64 exec, exec, s[64:65]
	s_and_b64 vcc, exec, vcc
	s_or_b64 s[56:57], vcc, s[56:57]
	s_andn2_b64 vcc, s[58:59], exec
	s_and_b64 s[58:59], s[60:61], exec
	s_or_b64 s[58:59], vcc, s[58:59]
	s_andn2_b64 exec, exec, s[56:57]
	s_cbranch_execz .LBB12_930
.LBB12_914:                             ;   Parent Loop BB12_47 Depth=1
                                        ;     Parent Loop BB12_300 Depth=2
                                        ;       Parent Loop BB12_880 Depth=3
                                        ; =>      This Inner Loop Header: Depth=4
	s_add_i32 s66, s66, 1
	s_cmpk_lg_i32 s66, 0x2710
	s_cselect_b64 s[62:63], -1, 0
	s_and_b64 vcc, exec, s[62:63]
                                        ; implicit-def: $sgpr64_sgpr65
	s_cbranch_vccnz .LBB12_916
; %bb.915:                              ;   in Loop: Header=BB12_914 Depth=4
	s_trap 2
	ds_read_b64 v[2:3], v0
	s_andn2_b64 s[62:63], s[62:63], exec
	s_mov_b32 s66, 0
	s_mov_b64 s[64:65], -1
	s_waitcnt vmcnt(0) lgkmcnt(0)
	flat_load_dword v0, v[2:3] glc
	s_waitcnt vmcnt(0) lgkmcnt(0)
	buffer_invl2
	buffer_wbinvl1_vol
	v_cmp_eq_u32_e32 vcc, 0, v0
	s_and_b64 vcc, vcc, exec
	s_or_b64 s[62:63], s[62:63], vcc
.LBB12_916:                             ;   in Loop: Header=BB12_914 Depth=4
	s_andn2_b64 s[60:61], s[60:61], exec
	s_and_b64 s[64:65], s[64:65], exec
	s_mov_b64 vcc, -1
	s_or_b64 s[60:61], s[60:61], s[64:65]
	s_and_saveexec_b64 s[64:65], s[62:63]
	s_cbranch_execz .LBB12_913
; %bb.917:                              ;   in Loop: Header=BB12_914 Depth=4
	s_sleep 1
	s_trap 2
	ds_read_b64 v[2:3], v0
	v_accvgpr_read_b32 v4, a14
	v_accvgpr_read_b32 v5, a15
	s_andn2_b64 s[60:61], s[60:61], exec
	s_waitcnt lgkmcnt(0)
	v_cmp_ge_u64_e32 vcc, v[2:3], v[4:5]
	s_orn2_b64 vcc, vcc, exec
	s_branch .LBB12_913
.LBB12_918:                             ;   in Loop: Header=BB12_880 Depth=3
	s_or_b64 exec, exec, s[36:37]
	s_and_saveexec_b64 s[28:29], s[10:11]
	s_cbranch_execz .LBB12_906
.LBB12_919:                             ;   in Loop: Header=BB12_880 Depth=3
	s_and_saveexec_b64 vcc, s[44:45]
	s_xor_b64 s[36:37], exec, vcc
	s_cbranch_execz .LBB12_941
; %bb.920:                              ;   in Loop: Header=BB12_880 Depth=3
	s_and_saveexec_b64 s[52:53], s[16:17]
	s_cbranch_execz .LBB12_940
; %bb.921:                              ;   in Loop: Header=BB12_880 Depth=3
	s_mov_b64 s[56:57], exec
	v_mbcnt_lo_u32_b32 v0, s56, 0
	v_mbcnt_hi_u32_b32 v0, s57, v0
	v_cmp_eq_u32_e32 vcc, 0, v0
	s_waitcnt vmcnt(0) lgkmcnt(0)
	buffer_wbinvl1_vol
	s_and_saveexec_b64 s[54:55], vcc
	s_cbranch_execz .LBB12_923
; %bb.922:                              ;   in Loop: Header=BB12_880 Depth=3
	s_bcnt1_i32_b64 vcc_lo, s[56:57]
	v_mov_b32_e32 v2, vcc_lo
	v_mov_b32_e32 v3, v42
	ds_add_u64 v0, v[2:3]
	s_trap 2
.LBB12_923:                             ;   in Loop: Header=BB12_880 Depth=3
	s_or_b64 exec, exec, s[54:55]
	s_trap 2
	ds_read_b64 v[2:3], v0
	v_accvgpr_read_b32 v4, a14
	v_accvgpr_read_b32 v0, a22
	;; [unrolled: 1-line block ×3, first 2 shown]
	v_add_co_u32_e32 v4, vcc, v4, v0
	v_addc_co_u32_e32 v5, vcc, 0, v5, vcc
	v_accvgpr_write_b32 a15, v5
	v_accvgpr_write_b32 a14, v4
	s_waitcnt lgkmcnt(0)
	v_cmp_lt_u64_e32 vcc, v[2:3], v[4:5]
	s_and_saveexec_b64 s[54:55], vcc
	s_cbranch_execz .LBB12_939
; %bb.924:                              ;   in Loop: Header=BB12_880 Depth=3
	s_mov_b32 s66, 0
	s_mov_b64 s[56:57], 0
                                        ; implicit-def: $sgpr58_sgpr59
                                        ; implicit-def: $sgpr60_sgpr61
	s_branch .LBB12_926
.LBB12_925:                             ;   in Loop: Header=BB12_926 Depth=4
	s_or_b64 exec, exec, s[64:65]
	s_and_b64 vcc, exec, vcc
	s_or_b64 s[56:57], vcc, s[56:57]
	s_andn2_b64 vcc, s[58:59], exec
	s_and_b64 s[58:59], s[60:61], exec
	s_or_b64 s[58:59], vcc, s[58:59]
	s_andn2_b64 exec, exec, s[56:57]
	s_cbranch_execz .LBB12_937
.LBB12_926:                             ;   Parent Loop BB12_47 Depth=1
                                        ;     Parent Loop BB12_300 Depth=2
                                        ;       Parent Loop BB12_880 Depth=3
                                        ; =>      This Inner Loop Header: Depth=4
	s_add_i32 s66, s66, 1
	s_cmpk_lg_i32 s66, 0x2710
	s_cselect_b64 s[62:63], -1, 0
	s_and_b64 vcc, exec, s[62:63]
                                        ; implicit-def: $sgpr64_sgpr65
	s_cbranch_vccnz .LBB12_928
; %bb.927:                              ;   in Loop: Header=BB12_926 Depth=4
	s_trap 2
	ds_read_b64 v[2:3], v0
	s_andn2_b64 s[62:63], s[62:63], exec
	s_mov_b32 s66, 0
	s_mov_b64 s[64:65], -1
	s_waitcnt lgkmcnt(0)
	flat_load_dword v0, v[2:3] glc
	s_waitcnt vmcnt(0) lgkmcnt(0)
	buffer_invl2
	buffer_wbinvl1_vol
	v_cmp_eq_u32_e32 vcc, 0, v0
	s_and_b64 vcc, vcc, exec
	s_or_b64 s[62:63], s[62:63], vcc
.LBB12_928:                             ;   in Loop: Header=BB12_926 Depth=4
	s_andn2_b64 s[60:61], s[60:61], exec
	s_and_b64 s[64:65], s[64:65], exec
	s_mov_b64 vcc, -1
	s_or_b64 s[60:61], s[60:61], s[64:65]
	s_and_saveexec_b64 s[64:65], s[62:63]
	s_cbranch_execz .LBB12_925
; %bb.929:                              ;   in Loop: Header=BB12_926 Depth=4
	s_sleep 1
	s_trap 2
	ds_read_b64 v[2:3], v0
	v_accvgpr_read_b32 v4, a14
	v_accvgpr_read_b32 v5, a15
	s_andn2_b64 s[60:61], s[60:61], exec
	s_waitcnt lgkmcnt(0)
	v_cmp_ge_u64_e32 vcc, v[2:3], v[4:5]
	s_orn2_b64 vcc, vcc, exec
	s_branch .LBB12_925
.LBB12_930:                             ;   in Loop: Header=BB12_880 Depth=3
	s_or_b64 exec, exec, s[56:57]
	s_and_saveexec_b64 vcc, s[58:59]
	s_xor_b64 vcc, exec, vcc
	s_cbranch_execz .LBB12_932
; %bb.931:                              ;   in Loop: Header=BB12_880 Depth=3
	v_mov_b32_e32 v0, 1
	ds_write_b32 v0, v0
	s_trap 2
.LBB12_932:                             ;   in Loop: Header=BB12_880 Depth=3
	s_or_b64 exec, exec, s[54:55]
	;;#ASMSTART
	s_wakeup
	;;#ASMEND
.LBB12_933:                             ;   in Loop: Header=BB12_880 Depth=3
	s_or_b64 exec, exec, s[52:53]
.LBB12_934:                             ;   in Loop: Header=BB12_880 Depth=3
	s_andn2_saveexec_b64 vcc, s[36:37]
	s_cbranch_execz .LBB12_936
; %bb.935:                              ;   in Loop: Header=BB12_880 Depth=3
	;;#ASMSTART
	s_waitcnt lgkmcnt(0) vmcnt(0)
	;;#ASMEND
	s_barrier
.LBB12_936:                             ;   in Loop: Header=BB12_880 Depth=3
	s_or_b64 exec, exec, vcc
	v_and_b32_e32 v0, 16, v29
	s_andn2_saveexec_b64 s[28:29], s[28:29]
	s_cbranch_execz .LBB12_948
	s_branch .LBB12_945
.LBB12_937:                             ;   in Loop: Header=BB12_880 Depth=3
	s_or_b64 exec, exec, s[56:57]
	s_and_saveexec_b64 vcc, s[58:59]
	s_xor_b64 vcc, exec, vcc
	s_cbranch_execz .LBB12_939
; %bb.938:                              ;   in Loop: Header=BB12_880 Depth=3
	v_mov_b32_e32 v0, 1
	ds_write_b32 v0, v0
	s_trap 2
.LBB12_939:                             ;   in Loop: Header=BB12_880 Depth=3
	s_or_b64 exec, exec, s[54:55]
	;;#ASMSTART
	s_wakeup
	;;#ASMEND
.LBB12_940:                             ;   in Loop: Header=BB12_880 Depth=3
	s_or_b64 exec, exec, s[52:53]
.LBB12_941:                             ;   in Loop: Header=BB12_880 Depth=3
	s_andn2_saveexec_b64 vcc, s[36:37]
	s_cbranch_execz .LBB12_943
; %bb.942:                              ;   in Loop: Header=BB12_880 Depth=3
	s_waitcnt vmcnt(0) lgkmcnt(0)
	buffer_wbinvl1_vol
	s_barrier
.LBB12_943:                             ;   in Loop: Header=BB12_880 Depth=3
	s_or_b64 exec, exec, vcc
	s_or_b64 exec, exec, s[28:29]
                                        ; implicit-def: $vgpr0
	s_and_saveexec_b64 s[28:29], s[48:49]
	s_xor_b64 s[28:29], exec, s[28:29]
	s_cbranch_execnz .LBB12_907
.LBB12_944:                             ;   in Loop: Header=BB12_880 Depth=3
	s_andn2_saveexec_b64 s[28:29], s[28:29]
	s_cbranch_execz .LBB12_948
.LBB12_945:                             ;   in Loop: Header=BB12_880 Depth=3
	s_trap 2
	ds_read_b32 v2, v0
	v_cmp_lt_i32_e32 vcc, 0, v52
	v_and_b32_e32 v3, 16, v29
	v_and_b32_e32 v0, 16, v29
	s_waitcnt lgkmcnt(0)
	v_readfirstlane_b32 s36, v2
	s_cmp_eq_u32 s36, 0
	s_cselect_b64 s[36:37], -1, 0
	s_and_b64 s[36:37], vcc, s[36:37]
	v_cmp_ne_u32_e32 vcc, 0, v3
	s_and_b64 s[36:37], vcc, s[36:37]
	s_and_saveexec_b64 vcc, s[36:37]
	s_cbranch_execz .LBB12_947
; %bb.946:                              ;   in Loop: Header=BB12_880 Depth=3
	v_mov_b32_e32 v0, 1
	s_waitcnt vmcnt(0)
	buffer_wbinvl1_vol
.LBB12_947:                             ;   in Loop: Header=BB12_880 Depth=3
	s_or_b64 exec, exec, vcc
.LBB12_948:                             ;   in Loop: Header=BB12_880 Depth=3
	s_or_b64 exec, exec, s[28:29]
	v_cmp_ne_u32_e32 vcc, 0, v0
	s_xor_b64 s[28:29], s[12:13], -1
	s_and_b64 vcc, vcc, s[28:29]
	s_and_saveexec_b64 s[28:29], vcc
	s_cbranch_execz .LBB12_950
; %bb.949:                              ;   in Loop: Header=BB12_880 Depth=3
	v_accvgpr_read_b32 v2, a20
	v_accvgpr_read_b32 v3, a21
	v_mov_b32_e32 v0, 1
	flat_store_dword v[2:3], v0
.LBB12_950:                             ;   in Loop: Header=BB12_880 Depth=3
	s_or_b64 exec, exec, s[28:29]
	v_and_b32_e32 v0, 48, v29
	v_cmp_ne_u32_e32 vcc, 0, v0
	s_and_saveexec_b64 s[28:29], vcc
	s_cbranch_execz .LBB12_879
; %bb.951:                              ;   in Loop: Header=BB12_880 Depth=3
	v_add_co_u32_e32 v44, vcc, 2, v44
	v_addc_co_u32_e32 v45, vcc, 0, v45, vcc
	flat_store_dwordx2 v[46:47], v[44:45]
	s_branch .LBB12_879
.LBB12_952:                             ;   in Loop: Header=BB12_47 Depth=1
	v_accvgpr_read_b32 v6, a56
	v_accvgpr_read_b32 v7, a57
	v_mul_lo_u32 v0, v7, s76
	v_mul_lo_u32 v4, v6, s77
	v_mad_u64_u32 v[2:3], s[28:29], v6, s76, 0
	v_add3_u32 v3, v3, v4, v0
	v_accvgpr_read_b32 v4, a58
	v_accvgpr_read_b32 v5, a59
	v_sub_co_u32_e32 v4, vcc, v4, v2
	v_subb_co_u32_e32 v5, vcc, v5, v3, vcc
	v_cmp_lt_i64_e32 vcc, v[6:7], v[4:5]
	v_cndmask_b32_e32 v0, v4, v6, vcc
	v_max_i32_e32 v48, 0, v0
	v_add_u32_e32 v4, 31, v48
	v_lshrrev_b32_e32 v4, 1, v4
	v_and_b32_e32 v4, 0x3ffffff0, v4
	v_max_i32_e32 v4, s86, v4
	v_cmp_lt_i32_e32 vcc, 0, v0
	v_accvgpr_write_b32 a8, v4
	s_and_b64 s[28:29], s[50:51], vcc
	v_mov_b32_e32 v0, 0
	v_mov_b32_e32 v56, 0
	s_and_saveexec_b64 s[52:53], s[28:29]
	s_cbranch_execz .LBB12_2006
; %bb.953:                              ;   in Loop: Header=BB12_47 Depth=1
	v_accvgpr_read_b32 v4, a60
	v_accvgpr_read_b32 v5, a61
	v_add_co_u32_e32 v2, vcc, v2, v4
	v_addc_co_u32_e32 v3, vcc, v3, v5, vcc
	v_lshlrev_b64 v[2:3], 1, v[2:3]
	v_accvgpr_write_b32 a11, v3
	s_mov_b32 s95, 1
	s_mov_b64 s[56:57], -1
	s_mov_b64 s[54:55], 0
	v_mov_b32_e32 v56, 0
	v_accvgpr_write_b32 a10, v2
	v_accvgpr_write_b32 a62, v48
	s_branch .LBB12_955
.LBB12_954:                             ;   in Loop: Header=BB12_955 Depth=2
	s_or_b64 exec, exec, s[28:29]
	v_accvgpr_read_b32 v0, a8
	v_mov_b32_e32 v2, v56
	v_add_u32_e32 v2, v0, v2
	v_cmp_ge_i32_e32 vcc, v2, v48
	s_xor_b64 s[28:29], s[56:57], -1
	s_or_b64 s[28:29], s[28:29], vcc
	s_and_b64 s[28:29], exec, s[28:29]
	v_mov_b32_e32 v56, v2
	s_or_b64 s[54:55], s[28:29], s[54:55]
	s_mov_b64 s[56:57], 0
	v_mov_b32_e32 v0, s95
	s_mov_b32 s95, 2
	s_andn2_b64 exec, exec, s[54:55]
	s_cbranch_execz .LBB12_2081
.LBB12_955:                             ;   Parent Loop BB12_47 Depth=1
                                        ; =>  This Loop Header: Depth=2
                                        ;       Child Loop BB12_963 Depth 3
                                        ;       Child Loop BB12_991 Depth 3
                                        ;       Child Loop BB12_1010 Depth 3
                                        ;       Child Loop BB12_1509 Depth 3
                                        ;       Child Loop BB12_1714 Depth 3
                                        ;         Child Loop BB12_1715 Depth 4
                                        ;         Child Loop BB12_1752 Depth 4
                                        ;       Child Loop BB12_1829 Depth 3
                                        ;       Child Loop BB12_1936 Depth 3
                                        ;         Child Loop BB12_1937 Depth 4
                                        ;         Child Loop BB12_1946 Depth 4
                                        ;       Child Loop BB12_1032 Depth 3
                                        ;       Child Loop BB12_1240 Depth 3
                                        ;         Child Loop BB12_1241 Depth 4
                                        ;         Child Loop BB12_1276 Depth 4
	;; [unrolled: 1-line block ×4, first 2 shown]
                                        ;       Child Loop BB12_1352 Depth 3
                                        ;       Child Loop BB12_1360 Depth 3
	;; [unrolled: 1-line block ×3, first 2 shown]
                                        ;         Child Loop BB12_1470 Depth 4
                                        ;         Child Loop BB12_1477 Depth 4
	;; [unrolled: 1-line block ×4, first 2 shown]
                                        ;       Child Loop BB12_1497 Depth 3
                                        ;       Child Loop BB12_1968 Depth 3
	;; [unrolled: 1-line block ×3, first 2 shown]
	s_and_saveexec_b64 s[28:29], s[4:5]
	s_cbranch_execz .LBB12_957
; %bb.956:                              ;   in Loop: Header=BB12_955 Depth=2
	s_trap 2
	ds_read2_b64 v[2:5], v0 offset1:1
	ds_read_b64 v[6:7], v0
	v_accvgpr_read_b32 v10, a10
	v_accvgpr_read_b32 v11, a11
	s_waitcnt lgkmcnt(0)
	v_add_co_u32_e32 v0, vcc, v2, v10
	v_mov_b32_e32 v2, v56
	v_addc_co_u32_e32 v9, vcc, v3, v11, vcc
	v_ashrrev_i32_e32 v3, 31, v2
	v_lshlrev_b64 v[2:3], 1, v[2:3]
	v_add_co_u32_e32 v8, vcc, v0, v2
	v_addc_co_u32_e32 v9, vcc, v9, v3, vcc
	ds_write_b64 v0, v[8:9]
	v_add_co_u32_e32 v0, vcc, v4, v10
	v_addc_co_u32_e32 v5, vcc, v5, v11, vcc
	v_add_co_u32_e32 v4, vcc, v0, v2
	v_addc_co_u32_e32 v5, vcc, v5, v3, vcc
	ds_write_b64 v0, v[4:5]
	v_add_co_u32_e32 v0, vcc, v6, v10
	v_addc_co_u32_e32 v4, vcc, v7, v11, vcc
	v_add_co_u32_e32 v0, vcc, v0, v2
	v_addc_co_u32_e32 v2, vcc, v4, v3, vcc
	v_cmp_ne_u64_e32 vcc, 0, v[6:7]
	v_cndmask_b32_e32 v3, 0, v2, vcc
	v_cndmask_b32_e32 v2, 0, v0, vcc
	ds_write_b64 v0, v[2:3]
.LBB12_957:                             ;   in Loop: Header=BB12_955 Depth=2
	s_or_b64 exec, exec, s[28:29]
	v_and_b32_e32 v0, 12, v29
	v_cmp_ne_u32_e32 vcc, 0, v0
	s_mov_b64 s[30:31], -1
	s_and_saveexec_b64 s[28:29], vcc
	s_cbranch_execz .LBB12_969
; %bb.958:                              ;   in Loop: Header=BB12_955 Depth=2
	v_and_b32_e32 v0, 8, v29
	v_add_co_u32_e32 v4, vcc, v60, v0
	v_addc_co_u32_e32 v5, vcc, 0, v61, vcc
	v_add_co_u32_e32 v2, vcc, 2, v44
	v_addc_co_u32_e32 v3, vcc, 0, v45, vcc
	v_cmp_lt_u64_e32 vcc, v[4:5], v[2:3]
	v_mov_b32_e32 v4, 1
	s_and_saveexec_b64 s[30:31], vcc
	s_cbranch_execz .LBB12_968
; %bb.959:                              ;   in Loop: Header=BB12_955 Depth=2
	s_mov_b64 s[34:35], 0
	v_mov_b32_e32 v4, 0
                                        ; implicit-def: $sgpr36_sgpr37
	s_branch .LBB12_963
.LBB12_960:                             ;   in Loop: Header=BB12_963 Depth=3
	s_or_b64 exec, exec, s[64:65]
	v_mov_b32_e32 v5, 0
	s_orn2_b64 s[62:63], s[62:63], exec
.LBB12_961:                             ;   in Loop: Header=BB12_963 Depth=3
	s_or_b64 exec, exec, s[60:61]
	s_andn2_b64 vcc, s[36:37], exec
	s_and_b64 s[36:37], s[62:63], exec
	s_or_b64 s[36:37], vcc, s[36:37]
	v_mov_b32_e32 v4, v5
.LBB12_962:                             ;   in Loop: Header=BB12_963 Depth=3
	s_or_b64 exec, exec, s[58:59]
	s_waitcnt vmcnt(0) lgkmcnt(0)
	v_add_co_u32_e32 v6, vcc, v60, v0
	v_addc_co_u32_e32 v7, vcc, 0, v61, vcc
	v_cmp_ge_u64_e32 vcc, v[6:7], v[2:3]
	s_xor_b64 s[58:59], s[36:37], -1
	s_or_b64 vcc, s[58:59], vcc
	s_and_b64 vcc, exec, vcc
	s_or_b64 s[34:35], vcc, s[34:35]
	s_andn2_b64 exec, exec, s[34:35]
	s_cbranch_execz .LBB12_967
.LBB12_963:                             ;   Parent Loop BB12_47 Depth=1
                                        ;     Parent Loop BB12_955 Depth=2
                                        ; =>    This Inner Loop Header: Depth=3
	s_sleep 1
	flat_load_dwordx2 v[60:61], v[46:47] glc
	v_and_b32_e32 v5, 64, v29
	v_cmp_eq_u32_e32 vcc, 0, v5
	s_andn2_b64 s[36:37], s[36:37], exec
	s_and_saveexec_b64 s[58:59], vcc
	s_cbranch_execz .LBB12_962
; %bb.964:                              ;   in Loop: Header=BB12_963 Depth=3
	v_add_u32_e32 v5, 1, v4
	v_cmp_lt_i32_e32 vcc, s90, v4
	s_mov_b64 s[62:63], -1
	s_and_saveexec_b64 s[60:61], vcc
	s_cbranch_execz .LBB12_961
; %bb.965:                              ;   in Loop: Header=BB12_963 Depth=3
	s_trap 2
	ds_read_b64 v[4:5], v0
	s_waitcnt vmcnt(0) lgkmcnt(0)
	flat_load_dword v4, v[4:5] glc
	s_waitcnt vmcnt(0) lgkmcnt(0)
	buffer_invl2
	buffer_wbinvl1_vol
	v_cmp_ne_u32_e32 vcc, 0, v4
	s_and_saveexec_b64 s[64:65], vcc
	s_cbranch_execz .LBB12_960
; %bb.966:                              ;   in Loop: Header=BB12_963 Depth=3
	v_or_b32_e32 v29, 64, v29
	s_xor_b64 s[62:63], exec, -1
	ds_write_b32 v0, v4
	s_trap 2
	s_branch .LBB12_960
.LBB12_967:                             ;   in Loop: Header=BB12_955 Depth=2
	s_or_b64 exec, exec, s[34:35]
	v_and_b32_e32 v4, 12, v29
.LBB12_968:                             ;   in Loop: Header=BB12_955 Depth=2
	s_or_b64 exec, exec, s[30:31]
	v_cmp_eq_u32_e32 vcc, 0, v4
	s_orn2_b64 s[30:31], vcc, exec
	;;#ASMSTART
	s_wakeup
	;;#ASMEND
.LBB12_969:                             ;   in Loop: Header=BB12_955 Depth=2
	s_or_b64 exec, exec, s[28:29]
	v_mov_b32_e32 v0, v56
	v_sub_u32_e32 v0, v48, v0
	v_accvgpr_read_b32 v2, a8
	v_min_i32_e32 v2, v2, v0
	s_xor_b64 s[28:29], s[30:31], -1
	v_accvgpr_write_b32 a8, v2
	s_and_saveexec_b64 s[30:31], s[28:29]
	s_cbranch_execz .LBB12_983
; %bb.970:                              ;   in Loop: Header=BB12_955 Depth=2
	v_and_b32_e32 v0, 0x108, v29
	v_cmp_ne_u32_e32 vcc, s91, v0
	v_and_b32_e32 v0, 7, v44
	s_and_saveexec_b64 s[28:29], vcc
	s_xor_b64 s[28:29], exec, s[28:29]
                                        ; implicit-def: $vgpr2_vgpr3
; %bb.971:                              ;   in Loop: Header=BB12_955 Depth=2
	v_mov_b32_e32 v3, v42
; %bb.972:                              ;   in Loop: Header=BB12_955 Depth=2
	s_andn2_saveexec_b64 s[28:29], s[28:29]
	s_cbranch_execz .LBB12_974
; %bb.973:                              ;   in Loop: Header=BB12_955 Depth=2
	v_accvgpr_read_b32 v4, a12
	v_accvgpr_read_b32 v6, a8
	;; [unrolled: 1-line block ×3, first 2 shown]
	v_ashrrev_i32_e32 v7, 31, v6
	v_mov_b32_e32 v3, v42
	v_mad_u64_u32 v[4:5], vcc, v0, 24, v[4:5]
	v_lshlrev_b64 v[6:7], 1, v[6:7]
	flat_store_dwordx2 v[4:5], v[6:7] offset:8
.LBB12_974:                             ;   in Loop: Header=BB12_955 Depth=2
	s_or_b64 exec, exec, s[28:29]
	v_and_b32_e32 v2, 0x100, v29
	v_cmp_ne_u32_e32 vcc, 0, v2
	s_mov_b64 s[28:29], -1
                                        ; implicit-def: $vgpr4_vgpr5
	s_and_saveexec_b64 s[34:35], vcc
	s_cbranch_execz .LBB12_978
; %bb.975:                              ;   in Loop: Header=BB12_955 Depth=2
	v_accvgpr_read_b32 v4, a12
	v_accvgpr_read_b32 v5, a13
	v_mad_u64_u32 v[6:7], s[28:29], v0, 24, v[4:5]
	v_mov_b32_e32 v2, v7
	v_mad_u64_u32 v[4:5], s[28:29], v3, 24, v[2:3]
	v_mov_b32_e32 v7, v4
	flat_load_dword v2, v[6:7]
                                        ; implicit-def: $vgpr4_vgpr5
	s_waitcnt vmcnt(0) lgkmcnt(0)
	v_cmp_ne_u32_e32 vcc, 1, v2
	v_cmp_eq_u32_e64 s[28:29], 1, v2
	s_and_saveexec_b64 s[36:37], s[28:29]
	s_cbranch_execz .LBB12_977
; %bb.976:                              ;   in Loop: Header=BB12_955 Depth=2
	flat_load_dword v4, v[6:7] offset:4 glc
	s_waitcnt vmcnt(0) lgkmcnt(0)
	v_ashrrev_i32_e32 v5, 31, v4
	v_lshrrev_b64 v[4:5], 1, v[4:5]
.LBB12_977:                             ;   in Loop: Header=BB12_955 Depth=2
	s_or_b64 exec, exec, s[36:37]
	s_orn2_b64 s[28:29], vcc, exec
.LBB12_978:                             ;   in Loop: Header=BB12_955 Depth=2
	s_or_b64 exec, exec, s[34:35]
	s_and_saveexec_b64 vcc, s[28:29]
; %bb.979:                              ;   in Loop: Header=BB12_955 Depth=2
	v_accvgpr_read_b32 v4, a16
	v_mul_lo_u32 v2, v3, v4
	v_accvgpr_read_b32 v3, a3
	v_mul_lo_u32 v3, v0, v3
	v_mad_u64_u32 v[4:5], s[28:29], v0, v4, 0
	v_add3_u32 v5, v5, v3, v2
; %bb.980:                              ;   in Loop: Header=BB12_955 Depth=2
	s_or_b64 exec, exec, vcc
	v_lshlrev_b64 v[2:3], 1, v[4:5]
	v_accvgpr_read_b32 v4, a18
	v_accvgpr_read_b32 v5, a19
	v_add_co_u32_e32 v2, vcc, v4, v2
	v_addc_co_u32_e32 v3, vcc, v5, v3, vcc
	s_trap 2
	ds_write_b64 v0, v[2:3]
	v_and_b32_e32 v0, 0x2000, v29
	v_cmp_ne_u32_e32 vcc, 0, v0
	s_and_saveexec_b64 s[28:29], vcc
	s_cbranch_execz .LBB12_982
; %bb.981:                              ;   in Loop: Header=BB12_955 Depth=2
	ds_read_b64 v[2:3], v0 offset:584
	s_waitcnt lgkmcnt(0)
	v_add_co_u32_e32 v2, vcc, 1, v2
	v_addc_co_u32_e32 v3, vcc, 0, v3, vcc
	ds_write_b64 v0, v[2:3] offset:584
.LBB12_982:                             ;   in Loop: Header=BB12_955 Depth=2
	s_or_b64 exec, exec, s[28:29]
	v_add_co_u32_e32 v44, vcc, 2, v44
	v_addc_co_u32_e32 v45, vcc, 0, v45, vcc
.LBB12_983:                             ;   in Loop: Header=BB12_955 Depth=2
	s_or_b64 exec, exec, s[30:31]
	s_and_saveexec_b64 s[28:29], s[10:11]
	s_cbranch_execz .LBB12_1002
; %bb.984:                              ;   in Loop: Header=BB12_955 Depth=2
	s_and_saveexec_b64 vcc, s[44:45]
	s_xor_b64 s[30:31], exec, vcc
	s_cbranch_execz .LBB12_999
; %bb.985:                              ;   in Loop: Header=BB12_955 Depth=2
	s_and_saveexec_b64 s[34:35], s[16:17]
	s_cbranch_execz .LBB12_998
; %bb.986:                              ;   in Loop: Header=BB12_955 Depth=2
	s_mov_b64 s[58:59], exec
	v_mbcnt_lo_u32_b32 v0, s58, 0
	v_mbcnt_hi_u32_b32 v0, s59, v0
	v_cmp_eq_u32_e32 vcc, 0, v0
	s_waitcnt vmcnt(0) lgkmcnt(0)
	buffer_wbinvl1_vol
	s_and_saveexec_b64 s[36:37], vcc
	s_cbranch_execz .LBB12_988
; %bb.987:                              ;   in Loop: Header=BB12_955 Depth=2
	s_bcnt1_i32_b64 vcc_lo, s[58:59]
	v_mov_b32_e32 v2, vcc_lo
	v_mov_b32_e32 v3, v42
	ds_add_u64 v0, v[2:3]
	s_trap 2
.LBB12_988:                             ;   in Loop: Header=BB12_955 Depth=2
	s_or_b64 exec, exec, s[36:37]
	s_trap 2
	ds_read_b64 v[2:3], v0
	v_accvgpr_read_b32 v4, a14
	v_accvgpr_read_b32 v0, a22
	;; [unrolled: 1-line block ×3, first 2 shown]
	v_add_co_u32_e32 v4, vcc, v4, v0
	v_addc_co_u32_e32 v5, vcc, 0, v5, vcc
	v_accvgpr_write_b32 a15, v5
	v_accvgpr_write_b32 a14, v4
	s_waitcnt lgkmcnt(0)
	v_cmp_lt_u64_e32 vcc, v[2:3], v[4:5]
	s_and_saveexec_b64 s[36:37], vcc
	s_cbranch_execz .LBB12_997
; %bb.989:                              ;   in Loop: Header=BB12_955 Depth=2
	s_mov_b32 s68, 0
	s_mov_b64 s[58:59], 0
                                        ; implicit-def: $sgpr60_sgpr61
                                        ; implicit-def: $sgpr62_sgpr63
	s_branch .LBB12_991
.LBB12_990:                             ;   in Loop: Header=BB12_991 Depth=3
	s_or_b64 exec, exec, s[66:67]
	s_and_b64 vcc, exec, vcc
	s_or_b64 s[58:59], vcc, s[58:59]
	s_andn2_b64 vcc, s[60:61], exec
	s_and_b64 s[60:61], s[62:63], exec
	s_or_b64 s[60:61], vcc, s[60:61]
	s_andn2_b64 exec, exec, s[58:59]
	s_cbranch_execz .LBB12_995
.LBB12_991:                             ;   Parent Loop BB12_47 Depth=1
                                        ;     Parent Loop BB12_955 Depth=2
                                        ; =>    This Inner Loop Header: Depth=3
	s_add_i32 s68, s68, 1
	s_cmpk_lg_i32 s68, 0x2710
	s_cselect_b64 s[64:65], -1, 0
	s_and_b64 vcc, exec, s[64:65]
                                        ; implicit-def: $sgpr66_sgpr67
	s_cbranch_vccnz .LBB12_993
; %bb.992:                              ;   in Loop: Header=BB12_991 Depth=3
	s_trap 2
	ds_read_b64 v[2:3], v0
	s_andn2_b64 s[64:65], s[64:65], exec
	s_mov_b32 s68, 0
	s_mov_b64 s[66:67], -1
	s_waitcnt lgkmcnt(0)
	flat_load_dword v0, v[2:3] glc
	s_waitcnt vmcnt(0) lgkmcnt(0)
	buffer_invl2
	buffer_wbinvl1_vol
	v_cmp_eq_u32_e32 vcc, 0, v0
	s_and_b64 vcc, vcc, exec
	s_or_b64 s[64:65], s[64:65], vcc
.LBB12_993:                             ;   in Loop: Header=BB12_991 Depth=3
	s_andn2_b64 s[62:63], s[62:63], exec
	s_and_b64 s[66:67], s[66:67], exec
	s_mov_b64 vcc, -1
	s_or_b64 s[62:63], s[62:63], s[66:67]
	s_and_saveexec_b64 s[66:67], s[64:65]
	s_cbranch_execz .LBB12_990
; %bb.994:                              ;   in Loop: Header=BB12_991 Depth=3
	s_sleep 1
	s_trap 2
	ds_read_b64 v[2:3], v0
	v_accvgpr_read_b32 v4, a14
	v_accvgpr_read_b32 v5, a15
	s_andn2_b64 s[62:63], s[62:63], exec
	s_waitcnt lgkmcnt(0)
	v_cmp_ge_u64_e32 vcc, v[2:3], v[4:5]
	s_orn2_b64 vcc, vcc, exec
	s_branch .LBB12_990
.LBB12_995:                             ;   in Loop: Header=BB12_955 Depth=2
	s_or_b64 exec, exec, s[58:59]
	s_and_saveexec_b64 vcc, s[60:61]
	s_xor_b64 vcc, exec, vcc
	s_cbranch_execz .LBB12_997
; %bb.996:                              ;   in Loop: Header=BB12_955 Depth=2
	v_mov_b32_e32 v0, 1
	ds_write_b32 v0, v0
	s_trap 2
.LBB12_997:                             ;   in Loop: Header=BB12_955 Depth=2
	s_or_b64 exec, exec, s[36:37]
	;;#ASMSTART
	s_wakeup
	;;#ASMEND
.LBB12_998:                             ;   in Loop: Header=BB12_955 Depth=2
	s_or_b64 exec, exec, s[34:35]
.LBB12_999:                             ;   in Loop: Header=BB12_955 Depth=2
	s_andn2_saveexec_b64 vcc, s[30:31]
	s_cbranch_execz .LBB12_1001
; %bb.1000:                             ;   in Loop: Header=BB12_955 Depth=2
	s_waitcnt vmcnt(0) lgkmcnt(0)
	buffer_wbinvl1_vol
	s_barrier
.LBB12_1001:                            ;   in Loop: Header=BB12_955 Depth=2
	s_or_b64 exec, exec, vcc
.LBB12_1002:                            ;   in Loop: Header=BB12_955 Depth=2
	s_or_b64 exec, exec, s[28:29]
	s_trap 2
	ds_read_b32 v0, v0
	v_and_b32_e32 v2, 0x4000, v29
	v_cmp_ne_u32_e32 vcc, 0, v2
	s_xor_b64 s[28:29], s[6:7], -1
	s_and_b64 vcc, s[28:29], vcc
	s_and_saveexec_b64 s[28:29], vcc
	s_cbranch_execz .LBB12_1021
; %bb.1003:                             ;   in Loop: Header=BB12_955 Depth=2
	s_and_saveexec_b64 vcc, s[44:45]
	s_xor_b64 s[30:31], exec, vcc
	s_cbranch_execz .LBB12_1018
; %bb.1004:                             ;   in Loop: Header=BB12_955 Depth=2
	s_and_saveexec_b64 s[34:35], s[16:17]
	s_cbranch_execz .LBB12_1017
; %bb.1005:                             ;   in Loop: Header=BB12_955 Depth=2
	s_mov_b64 s[58:59], exec
	v_mbcnt_lo_u32_b32 v2, s58, 0
	v_mbcnt_hi_u32_b32 v2, s59, v2
	v_cmp_eq_u32_e32 vcc, 0, v2
	s_waitcnt vmcnt(0) lgkmcnt(0)
	buffer_wbinvl1_vol
	s_and_saveexec_b64 s[36:37], vcc
	s_cbranch_execz .LBB12_1007
; %bb.1006:                             ;   in Loop: Header=BB12_955 Depth=2
	s_bcnt1_i32_b64 vcc_lo, s[58:59]
	v_mov_b32_e32 v2, vcc_lo
	v_mov_b32_e32 v3, v42
	ds_add_u64 v0, v[2:3]
	s_trap 2
.LBB12_1007:                            ;   in Loop: Header=BB12_955 Depth=2
	s_or_b64 exec, exec, s[36:37]
	s_trap 2
	ds_read_b64 v[2:3], v0
	v_accvgpr_read_b32 v4, a14
	v_accvgpr_read_b32 v6, a22
	;; [unrolled: 1-line block ×3, first 2 shown]
	v_add_co_u32_e32 v4, vcc, v4, v6
	v_addc_co_u32_e32 v5, vcc, 0, v5, vcc
	v_accvgpr_write_b32 a15, v5
	v_accvgpr_write_b32 a14, v4
	s_waitcnt lgkmcnt(0)
	v_cmp_lt_u64_e32 vcc, v[2:3], v[4:5]
	s_and_saveexec_b64 s[36:37], vcc
	s_cbranch_execz .LBB12_1016
; %bb.1008:                             ;   in Loop: Header=BB12_955 Depth=2
	s_mov_b32 s68, 0
	s_mov_b64 s[58:59], 0
                                        ; implicit-def: $sgpr60_sgpr61
                                        ; implicit-def: $sgpr62_sgpr63
	s_branch .LBB12_1010
.LBB12_1009:                            ;   in Loop: Header=BB12_1010 Depth=3
	s_or_b64 exec, exec, s[66:67]
	s_and_b64 vcc, exec, vcc
	s_or_b64 s[58:59], vcc, s[58:59]
	s_andn2_b64 vcc, s[60:61], exec
	s_and_b64 s[60:61], s[62:63], exec
	s_or_b64 s[60:61], vcc, s[60:61]
	s_andn2_b64 exec, exec, s[58:59]
	s_cbranch_execz .LBB12_1014
.LBB12_1010:                            ;   Parent Loop BB12_47 Depth=1
                                        ;     Parent Loop BB12_955 Depth=2
                                        ; =>    This Inner Loop Header: Depth=3
	s_add_i32 s68, s68, 1
	s_cmpk_lg_i32 s68, 0x2710
	s_cselect_b64 s[64:65], -1, 0
	s_and_b64 vcc, exec, s[64:65]
                                        ; implicit-def: $sgpr66_sgpr67
	s_cbranch_vccnz .LBB12_1012
; %bb.1011:                             ;   in Loop: Header=BB12_1010 Depth=3
	s_trap 2
	ds_read_b64 v[2:3], v0
	s_andn2_b64 s[64:65], s[64:65], exec
	s_mov_b32 s68, 0
	s_mov_b64 s[66:67], -1
	s_waitcnt lgkmcnt(0)
	flat_load_dword v2, v[2:3] glc
	s_waitcnt vmcnt(0) lgkmcnt(0)
	buffer_invl2
	buffer_wbinvl1_vol
	v_cmp_eq_u32_e32 vcc, 0, v2
	s_and_b64 vcc, vcc, exec
	s_or_b64 s[64:65], s[64:65], vcc
.LBB12_1012:                            ;   in Loop: Header=BB12_1010 Depth=3
	s_andn2_b64 s[62:63], s[62:63], exec
	s_and_b64 s[66:67], s[66:67], exec
	s_mov_b64 vcc, -1
	s_or_b64 s[62:63], s[62:63], s[66:67]
	s_and_saveexec_b64 s[66:67], s[64:65]
	s_cbranch_execz .LBB12_1009
; %bb.1013:                             ;   in Loop: Header=BB12_1010 Depth=3
	s_sleep 1
	s_trap 2
	ds_read_b64 v[2:3], v0
	v_accvgpr_read_b32 v4, a14
	v_accvgpr_read_b32 v5, a15
	s_andn2_b64 s[62:63], s[62:63], exec
	s_waitcnt lgkmcnt(0)
	v_cmp_ge_u64_e32 vcc, v[2:3], v[4:5]
	s_orn2_b64 vcc, vcc, exec
	s_branch .LBB12_1009
.LBB12_1014:                            ;   in Loop: Header=BB12_955 Depth=2
	s_or_b64 exec, exec, s[58:59]
	s_and_saveexec_b64 vcc, s[60:61]
	s_xor_b64 vcc, exec, vcc
	s_cbranch_execz .LBB12_1016
; %bb.1015:                             ;   in Loop: Header=BB12_955 Depth=2
	v_mov_b32_e32 v2, 1
	ds_write_b32 v0, v2
	s_trap 2
.LBB12_1016:                            ;   in Loop: Header=BB12_955 Depth=2
	s_or_b64 exec, exec, s[36:37]
	;;#ASMSTART
	s_wakeup
	;;#ASMEND
.LBB12_1017:                            ;   in Loop: Header=BB12_955 Depth=2
	s_or_b64 exec, exec, s[34:35]
.LBB12_1018:                            ;   in Loop: Header=BB12_955 Depth=2
	s_andn2_saveexec_b64 vcc, s[30:31]
	s_cbranch_execz .LBB12_1020
; %bb.1019:                             ;   in Loop: Header=BB12_955 Depth=2
	s_waitcnt vmcnt(0) lgkmcnt(0)
	buffer_wbinvl1_vol
	s_barrier
.LBB12_1020:                            ;   in Loop: Header=BB12_955 Depth=2
	s_or_b64 exec, exec, vcc
.LBB12_1021:                            ;   in Loop: Header=BB12_955 Depth=2
	s_or_b64 exec, exec, s[28:29]
	s_trap 2
	s_waitcnt lgkmcnt(0)
	ds_read_b64 v[2:3], v0
	v_mov_b32_e32 v49, 0
	s_waitcnt lgkmcnt(0)
	v_readfirstlane_b32 s28, v2
	v_readfirstlane_b32 s29, v3
	s_cmp_eq_u64 s[28:29], 0
	s_cselect_b64 s[28:29], -1, 0
	s_or_b64 s[28:29], s[28:29], s[28:29]
	s_and_b64 vcc, exec, s[28:29]
	s_cbranch_vccnz .LBB12_1960
; %bb.1022:                             ;   in Loop: Header=BB12_955 Depth=2
	s_trap 2
	ds_read_b64 v[30:31], v0
	v_cmp_eq_u32_e32 vcc, 0, v0
	v_accvgpr_read_b32 v0, a8
	v_cndmask_b32_e32 v49, 0, v0, vcc
	v_lshlrev_b32_e32 v57, 1, v49
	s_waitcnt lgkmcnt(0)
	v_cmp_ne_u64_e32 vcc, 0, v[30:31]
	s_cbranch_vccz .LBB12_1166
; %bb.1023:                             ;   in Loop: Header=BB12_955 Depth=2
	s_mov_b64 s[30:31], -1
	s_and_saveexec_b64 s[28:29], s[22:23]
	s_cbranch_execz .LBB12_1025
; %bb.1024:                             ;   in Loop: Header=BB12_955 Depth=2
	ds_read_b32 v0, v0 offset:720
	s_waitcnt lgkmcnt(0)
	v_and_b32_e32 v0, 15, v0
	v_cmp_eq_u32_e32 vcc, 0, v0
	s_orn2_b64 s[30:31], vcc, exec
.LBB12_1025:                            ;   in Loop: Header=BB12_955 Depth=2
	s_or_b64 exec, exec, s[28:29]
	s_and_saveexec_b64 s[28:29], s[22:23]
	s_cbranch_execz .LBB12_1027
; %bb.1026:                             ;   in Loop: Header=BB12_955 Depth=2
	ds_read_b32 v0, v0 offset:784
	s_waitcnt lgkmcnt(0)
	v_and_b32_e32 v0, 15, v0
	v_cmp_eq_u32_e32 vcc, 0, v0
	s_and_b64 vcc, s[30:31], vcc
	s_andn2_b64 s[30:31], s[30:31], exec
	s_and_b64 vcc, vcc, exec
	s_or_b64 s[30:31], s[30:31], vcc
.LBB12_1027:                            ;   in Loop: Header=BB12_955 Depth=2
	s_or_b64 exec, exec, s[28:29]
	s_xor_b64 vcc, s[30:31], -1
	v_cndmask_b32_e64 v0, 0, 1, vcc
	s_mov_b64 s[28:29], -1
	;;#ASMSTART
	;;#ASMEND
	v_cmp_ne_u32_e32 vcc, 0, v0
	s_cbranch_vccz .LBB12_1167
; %bb.1028:                             ;   in Loop: Header=BB12_955 Depth=2
	v_and_b32_e32 v0, 1, v30
	v_accvgpr_write_b32 a1, v0
	s_mov_b64 s[58:59], -1
	s_mov_b32 s30, 0
	s_cbranch_execnz .LBB12_1168
.LBB12_1029:                            ;   in Loop: Header=BB12_955 Depth=2
	v_ashrrev_i32_e32 v0, 31, v57
	v_lshrrev_b32_e32 v0, 21, v0
	s_trap 2
	ds_read_b128 v[6:9], v0
	v_accvgpr_read_b32 v4, a44
	v_accvgpr_read_b32 v5, a45
	v_add_u32_e32 v0, v57, v0
	v_ashrrev_i32_e32 v28, 11, v0
	s_waitcnt lgkmcnt(0)
	v_add_co_u32_e32 v2, vcc, v6, v4
	v_addc_co_u32_e32 v3, vcc, v7, v5, vcc
	v_accvgpr_read_b32 v0, a31
	v_add_co_u32_e32 v4, vcc, v8, v4
	v_accvgpr_write_b32 a4, v6
	v_sub_u32_e32 v0, v28, v0
	v_accvgpr_write_b32 a5, v7
	v_accvgpr_write_b32 a6, v8
	;; [unrolled: 1-line block ×3, first 2 shown]
	v_addc_co_u32_e32 v5, vcc, v9, v5, vcc
	v_and_b32_e32 v6, 1, v30
	v_accvgpr_write_b32 a1, v6
	v_cmp_lt_i32_e32 vcc, 0, v0
	s_mov_b64 s[28:29], 0
                                        ; implicit-def: $vgpr24_vgpr25
                                        ; implicit-def: $vgpr16_vgpr17
                                        ; implicit-def: $vgpr20_vgpr21
                                        ; implicit-def: $vgpr12_vgpr13
	s_and_saveexec_b64 s[30:31], vcc
	s_cbranch_execz .LBB12_1170
; %bb.1030:                             ;   in Loop: Header=BB12_955 Depth=2
	s_trap 2
	ds_read_b128 v[6:9], v0
	v_accvgpr_read_b32 v10, a44
	v_accvgpr_write_b32 a0, v30
	v_accvgpr_read_b32 v11, a45
	v_accvgpr_write_b32 a63, v28
	s_waitcnt lgkmcnt(0)
	v_add_co_u32_e32 v30, vcc, v6, v10
	v_addc_co_u32_e32 v31, vcc, v7, v11, vcc
	v_add_co_u32_e32 v8, vcc, v8, v10
	v_accvgpr_read_b32 v6, a1
	v_accvgpr_write_b32 a9, v49
	v_addc_co_u32_e32 v9, vcc, v9, v11, vcc
	v_cmp_eq_u16_e64 s[28:29], 0, v6
	s_mov_b64 s[60:61], 0
	s_mov_b64 s[34:35], 0
                                        ; implicit-def: $sgpr36_sgpr37
                                        ; implicit-def: $vgpr24_vgpr25
                                        ; implicit-def: $vgpr16_vgpr17
                                        ; implicit-def: $vgpr20_vgpr21
                                        ; implicit-def: $vgpr12_vgpr13
	s_branch .LBB12_1032
.LBB12_1031:                            ;   in Loop: Header=BB12_1032 Depth=3
	s_or_b64 exec, exec, s[62:63]
	v_cmp_gt_i32_e32 vcc, 1, v0
	s_or_b64 s[34:35], vcc, s[34:35]
	s_andn2_b64 vcc, s[36:37], exec
	s_and_b64 s[36:37], s[60:61], exec
	s_or_b64 s[36:37], vcc, s[36:37]
	s_andn2_b64 exec, exec, s[34:35]
	s_cbranch_execz .LBB12_1169
.LBB12_1032:                            ;   Parent Loop BB12_47 Depth=1
                                        ;     Parent Loop BB12_955 Depth=2
                                        ; =>    This Inner Loop Header: Depth=3
	global_load_dwordx4 v[48:51], v[30:31], off glc slc
	global_load_dwordx4 v[32:35], v[30:31], off offset:1024 glc slc
	global_load_dwordx4 v[52:55], v[8:9], off glc slc
	global_load_dwordx4 v[36:39], v[8:9], off offset:1024 glc slc
	s_and_saveexec_b64 s[62:63], s[60:61]
	s_cbranch_execz .LBB12_1098
; %bb.1033:                             ;   in Loop: Header=BB12_1032 Depth=3
	v_lshlrev_b32_e32 v6, 16, v24
	v_lshlrev_b32_e32 v7, 16, v20
	v_max_f32_e32 v7, v7, v7
	v_max_f32_e32 v6, v6, v6
	v_min_f32_e32 v10, v6, v7
	v_max_f32_e32 v6, v6, v7
	v_cndmask_b32_e64 v6, v6, v10, s[28:29]
	v_and_b32_e32 v7, 0x7f800000, v6
	v_cmp_ne_u32_e32 vcc, s92, v7
                                        ; implicit-def: $vgpr7
	s_and_saveexec_b64 s[60:61], vcc
	s_xor_b64 vcc, exec, s[60:61]
; %bb.1034:                             ;   in Loop: Header=BB12_1032 Depth=3
	v_bfe_u32 v7, v6, 16, 1
	v_add3_u32 v7, v6, v7, s93
                                        ; implicit-def: $vgpr6
; %bb.1035:                             ;   in Loop: Header=BB12_1032 Depth=3
	s_andn2_saveexec_b64 s[60:61], vcc
; %bb.1036:                             ;   in Loop: Header=BB12_1032 Depth=3
	v_or_b32_e32 v7, 0x10000, v6
	v_cmp_eq_u32_sdwa vcc, v6, v42 src0_sel:WORD_0 src1_sel:DWORD
	v_cndmask_b32_e32 v7, v7, v6, vcc
; %bb.1037:                             ;   in Loop: Header=BB12_1032 Depth=3
	s_or_b64 exec, exec, s[60:61]
	v_and_b32_e32 v6, 0xffff0000, v24
	v_and_b32_e32 v10, 0xffff0000, v20
	v_max_f32_e32 v10, v10, v10
	v_max_f32_e32 v6, v6, v6
	v_min_f32_e32 v11, v6, v10
	v_max_f32_e32 v6, v6, v10
	v_cndmask_b32_e64 v6, v6, v11, s[28:29]
	v_and_b32_e32 v10, 0x7f800000, v6
	v_cmp_ne_u32_e32 vcc, s92, v10
                                        ; implicit-def: $vgpr10
	s_and_saveexec_b64 s[60:61], vcc
	s_xor_b64 vcc, exec, s[60:61]
; %bb.1038:                             ;   in Loop: Header=BB12_1032 Depth=3
	v_bfe_u32 v10, v6, 16, 1
	v_add3_u32 v10, v6, v10, s93
                                        ; implicit-def: $vgpr6
; %bb.1039:                             ;   in Loop: Header=BB12_1032 Depth=3
	s_andn2_saveexec_b64 s[60:61], vcc
; %bb.1040:                             ;   in Loop: Header=BB12_1032 Depth=3
	v_or_b32_e32 v10, 0x10000, v6
	v_cmp_eq_u32_sdwa vcc, v6, v42 src0_sel:WORD_0 src1_sel:DWORD
	v_cndmask_b32_e32 v10, v10, v6, vcc
; %bb.1041:                             ;   in Loop: Header=BB12_1032 Depth=3
	s_or_b64 exec, exec, s[60:61]
	v_lshlrev_b32_e32 v6, 16, v25
	v_lshlrev_b32_e32 v11, 16, v21
	v_max_f32_e32 v11, v11, v11
	v_max_f32_e32 v6, v6, v6
	v_min_f32_e32 v24, v6, v11
	v_max_f32_e32 v6, v6, v11
	v_cndmask_b32_e64 v6, v6, v24, s[28:29]
	v_and_b32_e32 v11, 0x7f800000, v6
	v_cmp_ne_u32_e32 vcc, s92, v11
                                        ; implicit-def: $vgpr11
	s_and_saveexec_b64 s[60:61], vcc
	s_xor_b64 vcc, exec, s[60:61]
; %bb.1042:                             ;   in Loop: Header=BB12_1032 Depth=3
	v_bfe_u32 v11, v6, 16, 1
	v_add3_u32 v11, v6, v11, s93
                                        ; implicit-def: $vgpr6
; %bb.1043:                             ;   in Loop: Header=BB12_1032 Depth=3
	s_andn2_saveexec_b64 s[60:61], vcc
; %bb.1044:                             ;   in Loop: Header=BB12_1032 Depth=3
	v_or_b32_e32 v11, 0x10000, v6
	v_cmp_eq_u32_sdwa vcc, v6, v42 src0_sel:WORD_0 src1_sel:DWORD
	v_cndmask_b32_e32 v11, v11, v6, vcc
; %bb.1045:                             ;   in Loop: Header=BB12_1032 Depth=3
	s_or_b64 exec, exec, s[60:61]
	v_and_b32_e32 v6, 0xffff0000, v25
	v_and_b32_e32 v24, 0xffff0000, v21
	v_max_f32_e32 v24, v24, v24
	v_max_f32_e32 v6, v6, v6
	v_min_f32_e32 v25, v6, v24
	v_max_f32_e32 v6, v6, v24
	v_cndmask_b32_e64 v6, v6, v25, s[28:29]
	v_and_b32_e32 v24, 0x7f800000, v6
	v_cmp_ne_u32_e32 vcc, s92, v24
                                        ; implicit-def: $vgpr24
	s_and_saveexec_b64 s[60:61], vcc
	s_xor_b64 vcc, exec, s[60:61]
; %bb.1046:                             ;   in Loop: Header=BB12_1032 Depth=3
	v_bfe_u32 v24, v6, 16, 1
	v_add3_u32 v24, v6, v24, s93
                                        ; implicit-def: $vgpr6
; %bb.1047:                             ;   in Loop: Header=BB12_1032 Depth=3
	s_andn2_saveexec_b64 s[60:61], vcc
; %bb.1048:                             ;   in Loop: Header=BB12_1032 Depth=3
	v_or_b32_e32 v24, 0x10000, v6
	v_cmp_eq_u32_sdwa vcc, v6, v42 src0_sel:WORD_0 src1_sel:DWORD
	v_cndmask_b32_e32 v24, v24, v6, vcc
; %bb.1049:                             ;   in Loop: Header=BB12_1032 Depth=3
	s_or_b64 exec, exec, s[60:61]
	v_lshlrev_b32_e32 v6, 16, v26
	v_lshlrev_b32_e32 v25, 16, v22
	v_max_f32_e32 v25, v25, v25
	v_max_f32_e32 v6, v6, v6
	v_min_f32_e32 v28, v6, v25
	v_max_f32_e32 v6, v6, v25
	v_cndmask_b32_e64 v6, v6, v28, s[28:29]
	v_and_b32_e32 v25, 0x7f800000, v6
	v_cmp_ne_u32_e32 vcc, s92, v25
                                        ; implicit-def: $vgpr43
	s_and_saveexec_b64 s[60:61], vcc
	s_xor_b64 vcc, exec, s[60:61]
; %bb.1050:                             ;   in Loop: Header=BB12_1032 Depth=3
	v_bfe_u32 v25, v6, 16, 1
	v_add3_u32 v43, v6, v25, s93
                                        ; implicit-def: $vgpr6
; %bb.1051:                             ;   in Loop: Header=BB12_1032 Depth=3
	s_andn2_saveexec_b64 s[60:61], vcc
; %bb.1052:                             ;   in Loop: Header=BB12_1032 Depth=3
	v_or_b32_e32 v25, 0x10000, v6
	v_cmp_eq_u32_sdwa vcc, v6, v42 src0_sel:WORD_0 src1_sel:DWORD
	v_cndmask_b32_e32 v43, v25, v6, vcc
; %bb.1053:                             ;   in Loop: Header=BB12_1032 Depth=3
	s_or_b64 exec, exec, s[60:61]
	v_and_b32_e32 v6, 0xffff0000, v26
	v_and_b32_e32 v25, 0xffff0000, v22
	v_max_f32_e32 v25, v25, v25
	v_max_f32_e32 v6, v6, v6
	v_min_f32_e32 v26, v6, v25
	v_max_f32_e32 v6, v6, v25
	v_cndmask_b32_e64 v6, v6, v26, s[28:29]
	v_and_b32_e32 v25, 0x7f800000, v6
	v_cmp_ne_u32_e32 vcc, s92, v25
                                        ; implicit-def: $vgpr26
	s_and_saveexec_b64 s[60:61], vcc
	s_xor_b64 vcc, exec, s[60:61]
; %bb.1054:                             ;   in Loop: Header=BB12_1032 Depth=3
	v_bfe_u32 v25, v6, 16, 1
	v_add3_u32 v26, v6, v25, s93
                                        ; implicit-def: $vgpr6
; %bb.1055:                             ;   in Loop: Header=BB12_1032 Depth=3
	s_andn2_saveexec_b64 s[60:61], vcc
; %bb.1056:                             ;   in Loop: Header=BB12_1032 Depth=3
	v_or_b32_e32 v25, 0x10000, v6
	v_cmp_eq_u32_sdwa vcc, v6, v42 src0_sel:WORD_0 src1_sel:DWORD
	v_cndmask_b32_e32 v26, v25, v6, vcc
; %bb.1057:                             ;   in Loop: Header=BB12_1032 Depth=3
	s_or_b64 exec, exec, s[60:61]
	v_lshlrev_b32_e32 v6, 16, v27
	v_lshlrev_b32_e32 v25, 16, v23
	v_max_f32_e32 v25, v25, v25
	v_max_f32_e32 v6, v6, v6
	v_min_f32_e32 v28, v6, v25
	v_max_f32_e32 v6, v6, v25
	v_cndmask_b32_e64 v6, v6, v28, s[28:29]
	v_and_b32_e32 v25, 0x7f800000, v6
	v_cmp_ne_u32_e32 vcc, s92, v25
                                        ; implicit-def: $vgpr58
	s_and_saveexec_b64 s[60:61], vcc
	s_xor_b64 vcc, exec, s[60:61]
; %bb.1058:                             ;   in Loop: Header=BB12_1032 Depth=3
	v_bfe_u32 v25, v6, 16, 1
	v_add3_u32 v58, v6, v25, s93
                                        ; implicit-def: $vgpr6
; %bb.1059:                             ;   in Loop: Header=BB12_1032 Depth=3
	s_andn2_saveexec_b64 s[60:61], vcc
; %bb.1060:                             ;   in Loop: Header=BB12_1032 Depth=3
	v_or_b32_e32 v25, 0x10000, v6
	v_cmp_eq_u32_sdwa vcc, v6, v42 src0_sel:WORD_0 src1_sel:DWORD
	v_cndmask_b32_e32 v58, v25, v6, vcc
; %bb.1061:                             ;   in Loop: Header=BB12_1032 Depth=3
	s_or_b64 exec, exec, s[60:61]
	v_and_b32_e32 v6, 0xffff0000, v27
	v_and_b32_e32 v25, 0xffff0000, v23
	v_max_f32_e32 v25, v25, v25
	v_max_f32_e32 v6, v6, v6
	v_min_f32_e32 v27, v6, v25
	v_max_f32_e32 v6, v6, v25
	v_cndmask_b32_e64 v6, v6, v27, s[28:29]
	v_and_b32_e32 v25, 0x7f800000, v6
	v_cmp_ne_u32_e32 vcc, s92, v25
                                        ; implicit-def: $vgpr27
	s_and_saveexec_b64 s[60:61], vcc
	s_xor_b64 vcc, exec, s[60:61]
; %bb.1062:                             ;   in Loop: Header=BB12_1032 Depth=3
	v_bfe_u32 v25, v6, 16, 1
	v_add3_u32 v27, v6, v25, s93
                                        ; implicit-def: $vgpr6
; %bb.1063:                             ;   in Loop: Header=BB12_1032 Depth=3
	s_andn2_saveexec_b64 s[60:61], vcc
; %bb.1064:                             ;   in Loop: Header=BB12_1032 Depth=3
	v_or_b32_e32 v25, 0x10000, v6
	v_cmp_eq_u32_sdwa vcc, v6, v42 src0_sel:WORD_0 src1_sel:DWORD
	v_cndmask_b32_e32 v27, v25, v6, vcc
; %bb.1065:                             ;   in Loop: Header=BB12_1032 Depth=3
	s_or_b64 exec, exec, s[60:61]
	v_lshlrev_b32_e32 v6, 16, v16
	v_lshlrev_b32_e32 v25, 16, v12
	v_max_f32_e32 v25, v25, v25
	v_max_f32_e32 v6, v6, v6
	v_min_f32_e32 v28, v6, v25
	v_max_f32_e32 v6, v6, v25
	v_cndmask_b32_e64 v6, v6, v28, s[28:29]
	v_and_b32_e32 v25, 0x7f800000, v6
	v_cmp_ne_u32_e32 vcc, s92, v25
                                        ; implicit-def: $vgpr59
	s_and_saveexec_b64 s[60:61], vcc
	s_xor_b64 vcc, exec, s[60:61]
; %bb.1066:                             ;   in Loop: Header=BB12_1032 Depth=3
	v_bfe_u32 v25, v6, 16, 1
	v_add3_u32 v59, v6, v25, s93
                                        ; implicit-def: $vgpr6
; %bb.1067:                             ;   in Loop: Header=BB12_1032 Depth=3
	s_andn2_saveexec_b64 s[60:61], vcc
; %bb.1068:                             ;   in Loop: Header=BB12_1032 Depth=3
	v_or_b32_e32 v25, 0x10000, v6
	v_cmp_eq_u32_sdwa vcc, v6, v42 src0_sel:WORD_0 src1_sel:DWORD
	v_cndmask_b32_e32 v59, v25, v6, vcc
; %bb.1069:                             ;   in Loop: Header=BB12_1032 Depth=3
	s_or_b64 exec, exec, s[60:61]
	v_and_b32_e32 v6, 0xffff0000, v16
	v_and_b32_e32 v16, 0xffff0000, v12
	v_max_f32_e32 v16, v16, v16
	v_max_f32_e32 v6, v6, v6
	v_min_f32_e32 v25, v6, v16
	v_max_f32_e32 v6, v6, v16
	v_cndmask_b32_e64 v6, v6, v25, s[28:29]
	v_and_b32_e32 v16, 0x7f800000, v6
	v_cmp_ne_u32_e32 vcc, s92, v16
                                        ; implicit-def: $vgpr16
	s_and_saveexec_b64 s[60:61], vcc
	s_xor_b64 vcc, exec, s[60:61]
; %bb.1070:                             ;   in Loop: Header=BB12_1032 Depth=3
	v_bfe_u32 v16, v6, 16, 1
	v_add3_u32 v16, v6, v16, s93
                                        ; implicit-def: $vgpr6
; %bb.1071:                             ;   in Loop: Header=BB12_1032 Depth=3
	s_andn2_saveexec_b64 s[60:61], vcc
; %bb.1072:                             ;   in Loop: Header=BB12_1032 Depth=3
	v_or_b32_e32 v16, 0x10000, v6
	v_cmp_eq_u32_sdwa vcc, v6, v42 src0_sel:WORD_0 src1_sel:DWORD
	v_cndmask_b32_e32 v16, v16, v6, vcc
; %bb.1073:                             ;   in Loop: Header=BB12_1032 Depth=3
	s_or_b64 exec, exec, s[60:61]
	v_lshlrev_b32_e32 v6, 16, v17
	v_lshlrev_b32_e32 v25, 16, v13
	v_max_f32_e32 v25, v25, v25
	v_max_f32_e32 v6, v6, v6
	v_min_f32_e32 v28, v6, v25
	v_max_f32_e32 v6, v6, v25
	v_cndmask_b32_e64 v25, v6, v28, s[28:29]
	v_and_b32_e32 v6, 0x7f800000, v25
	v_cmp_ne_u32_e32 vcc, s92, v6
                                        ; implicit-def: $vgpr6
	s_and_saveexec_b64 s[60:61], vcc
	s_xor_b64 vcc, exec, s[60:61]
; %bb.1074:                             ;   in Loop: Header=BB12_1032 Depth=3
	v_bfe_u32 v6, v25, 16, 1
	v_add3_u32 v6, v25, v6, s93
                                        ; implicit-def: $vgpr25
; %bb.1075:                             ;   in Loop: Header=BB12_1032 Depth=3
	s_andn2_saveexec_b64 s[60:61], vcc
; %bb.1076:                             ;   in Loop: Header=BB12_1032 Depth=3
	v_or_b32_e32 v6, 0x10000, v25
	v_cmp_eq_u32_sdwa vcc, v25, v42 src0_sel:WORD_0 src1_sel:DWORD
	v_cndmask_b32_e32 v6, v6, v25, vcc
; %bb.1077:                             ;   in Loop: Header=BB12_1032 Depth=3
	s_or_b64 exec, exec, s[60:61]
	v_and_b32_e32 v17, 0xffff0000, v17
	v_and_b32_e32 v25, 0xffff0000, v13
	v_max_f32_e32 v25, v25, v25
	v_max_f32_e32 v17, v17, v17
	v_min_f32_e32 v28, v17, v25
	v_max_f32_e32 v17, v17, v25
	v_cndmask_b32_e64 v25, v17, v28, s[28:29]
	v_and_b32_e32 v17, 0x7f800000, v25
	v_cmp_ne_u32_e32 vcc, s92, v17
                                        ; implicit-def: $vgpr17
	s_and_saveexec_b64 s[60:61], vcc
	s_xor_b64 vcc, exec, s[60:61]
; %bb.1078:                             ;   in Loop: Header=BB12_1032 Depth=3
	v_bfe_u32 v17, v25, 16, 1
	v_add3_u32 v17, v25, v17, s93
                                        ; implicit-def: $vgpr25
; %bb.1079:                             ;   in Loop: Header=BB12_1032 Depth=3
	s_andn2_saveexec_b64 s[60:61], vcc
; %bb.1080:                             ;   in Loop: Header=BB12_1032 Depth=3
	v_or_b32_e32 v17, 0x10000, v25
	v_cmp_eq_u32_sdwa vcc, v25, v42 src0_sel:WORD_0 src1_sel:DWORD
	v_cndmask_b32_e32 v17, v17, v25, vcc
; %bb.1081:                             ;   in Loop: Header=BB12_1032 Depth=3
	s_or_b64 exec, exec, s[60:61]
	v_lshlrev_b32_e32 v25, 16, v18
	v_lshlrev_b32_e32 v28, 16, v14
	v_max_f32_e32 v28, v28, v28
	v_max_f32_e32 v25, v25, v25
	v_min_f32_e32 v40, v25, v28
	v_max_f32_e32 v25, v25, v28
	v_cndmask_b32_e64 v25, v25, v40, s[28:29]
	v_and_b32_e32 v28, 0x7f800000, v25
	v_cmp_ne_u32_e32 vcc, s92, v28
                                        ; implicit-def: $vgpr41
	s_and_saveexec_b64 s[60:61], vcc
	s_xor_b64 vcc, exec, s[60:61]
; %bb.1082:                             ;   in Loop: Header=BB12_1032 Depth=3
	v_bfe_u32 v28, v25, 16, 1
	v_add3_u32 v41, v25, v28, s93
                                        ; implicit-def: $vgpr25
; %bb.1083:                             ;   in Loop: Header=BB12_1032 Depth=3
	s_andn2_saveexec_b64 s[60:61], vcc
; %bb.1084:                             ;   in Loop: Header=BB12_1032 Depth=3
	v_or_b32_e32 v28, 0x10000, v25
	v_cmp_eq_u32_sdwa vcc, v25, v42 src0_sel:WORD_0 src1_sel:DWORD
	v_cndmask_b32_e32 v41, v28, v25, vcc
; %bb.1085:                             ;   in Loop: Header=BB12_1032 Depth=3
	s_or_b64 exec, exec, s[60:61]
	v_and_b32_e32 v18, 0xffff0000, v18
	v_and_b32_e32 v25, 0xffff0000, v14
	v_max_f32_e32 v25, v25, v25
	v_max_f32_e32 v18, v18, v18
	v_min_f32_e32 v28, v18, v25
	v_max_f32_e32 v18, v18, v25
	v_cndmask_b32_e64 v25, v18, v28, s[28:29]
	v_and_b32_e32 v18, 0x7f800000, v25
	v_cmp_ne_u32_e32 vcc, s92, v18
                                        ; implicit-def: $vgpr18
	s_and_saveexec_b64 s[60:61], vcc
	s_xor_b64 vcc, exec, s[60:61]
; %bb.1086:                             ;   in Loop: Header=BB12_1032 Depth=3
	v_bfe_u32 v18, v25, 16, 1
	v_add3_u32 v18, v25, v18, s93
                                        ; implicit-def: $vgpr25
; %bb.1087:                             ;   in Loop: Header=BB12_1032 Depth=3
	s_andn2_saveexec_b64 s[60:61], vcc
; %bb.1088:                             ;   in Loop: Header=BB12_1032 Depth=3
	v_or_b32_e32 v18, 0x10000, v25
	v_cmp_eq_u32_sdwa vcc, v25, v42 src0_sel:WORD_0 src1_sel:DWORD
	v_cndmask_b32_e32 v18, v18, v25, vcc
; %bb.1089:                             ;   in Loop: Header=BB12_1032 Depth=3
	s_or_b64 exec, exec, s[60:61]
	v_lshlrev_b32_e32 v25, 16, v19
	v_lshlrev_b32_e32 v28, 16, v15
	v_max_f32_e32 v28, v28, v28
	v_max_f32_e32 v25, v25, v25
	v_min_f32_e32 v40, v25, v28
	v_max_f32_e32 v25, v25, v28
	v_cndmask_b32_e64 v25, v25, v40, s[28:29]
	v_and_b32_e32 v28, 0x7f800000, v25
	v_cmp_ne_u32_e32 vcc, s92, v28
                                        ; implicit-def: $vgpr28
	s_and_saveexec_b64 s[60:61], vcc
	s_xor_b64 vcc, exec, s[60:61]
; %bb.1090:                             ;   in Loop: Header=BB12_1032 Depth=3
	v_bfe_u32 v28, v25, 16, 1
	v_add3_u32 v28, v25, v28, s93
                                        ; implicit-def: $vgpr25
; %bb.1091:                             ;   in Loop: Header=BB12_1032 Depth=3
	s_andn2_saveexec_b64 s[60:61], vcc
; %bb.1092:                             ;   in Loop: Header=BB12_1032 Depth=3
	v_or_b32_e32 v28, 0x10000, v25
	v_cmp_eq_u32_sdwa vcc, v25, v42 src0_sel:WORD_0 src1_sel:DWORD
	v_cndmask_b32_e32 v28, v28, v25, vcc
; %bb.1093:                             ;   in Loop: Header=BB12_1032 Depth=3
	s_or_b64 exec, exec, s[60:61]
	v_and_b32_e32 v19, 0xffff0000, v19
	v_and_b32_e32 v25, 0xffff0000, v15
	v_max_f32_e32 v25, v25, v25
	v_max_f32_e32 v19, v19, v19
	v_min_f32_e32 v40, v19, v25
	v_max_f32_e32 v19, v19, v25
	v_cndmask_b32_e64 v25, v19, v40, s[28:29]
	v_and_b32_e32 v19, 0x7f800000, v25
	v_cmp_ne_u32_e32 vcc, s92, v19
                                        ; implicit-def: $vgpr19
	s_and_saveexec_b64 s[60:61], vcc
	s_xor_b64 vcc, exec, s[60:61]
; %bb.1094:                             ;   in Loop: Header=BB12_1032 Depth=3
	v_bfe_u32 v19, v25, 16, 1
	v_add3_u32 v19, v25, v19, s93
                                        ; implicit-def: $vgpr25
; %bb.1095:                             ;   in Loop: Header=BB12_1032 Depth=3
	s_andn2_saveexec_b64 s[60:61], vcc
; %bb.1096:                             ;   in Loop: Header=BB12_1032 Depth=3
	v_or_b32_e32 v19, 0x10000, v25
	v_cmp_eq_u32_sdwa vcc, v25, v42 src0_sel:WORD_0 src1_sel:DWORD
	v_cndmask_b32_e32 v19, v19, v25, vcc
; %bb.1097:                             ;   in Loop: Header=BB12_1032 Depth=3
	s_or_b64 exec, exec, s[60:61]
	v_lshrrev_b32_e32 v6, 16, v6
	v_lshrrev_b32_e32 v11, 16, v11
	;; [unrolled: 1-line block ×3, first 2 shown]
	v_and_or_b32 v17, v17, s94, v6
	v_lshrrev_b32_e32 v6, 16, v59
	v_and_or_b32 v25, v24, s94, v11
	v_and_or_b32 v24, v10, s94, v7
	v_lshrrev_b32_e32 v7, 16, v43
	v_and_or_b32 v16, v16, s94, v6
	v_lshrrev_b32_e32 v6, 16, v41
	;; [unrolled: 2-line block ×4, first 2 shown]
	v_and_or_b32 v27, v27, s94, v7
	v_and_or_b32 v19, v19, s94, v6
	v_accvgpr_read_b32 v6, a36
	global_store_dwordx4 v[2:3], v[24:27], off glc slc
	global_store_dwordx4 v[2:3], v[16:19], off offset:1024 glc slc
	global_store_dwordx4 v[4:5], v[24:27], off glc slc
	global_store_dwordx4 v[4:5], v[16:19], off offset:1024 glc slc
	v_add_co_u32_e32 v2, vcc, v2, v6
	v_accvgpr_read_b32 v7, a37
	v_addc_co_u32_e32 v3, vcc, v3, v7, vcc
	v_add_co_u32_e32 v4, vcc, v4, v6
	v_addc_co_u32_e32 v5, vcc, v5, v7, vcc
.LBB12_1098:                            ;   in Loop: Header=BB12_1032 Depth=3
	s_or_b64 exec, exec, s[62:63]
	v_accvgpr_read_b32 v6, a36
	v_add_co_u32_e32 v30, vcc, v30, v6
	v_accvgpr_read_b32 v7, a37
	v_addc_co_u32_e32 v31, vcc, v31, v7, vcc
	v_add_co_u32_e32 v8, vcc, v8, v6
	v_accvgpr_read_b32 v6, a22
	v_sub_u32_e32 v0, v0, v6
	v_addc_co_u32_e32 v9, vcc, v9, v7, vcc
	v_cmp_lt_i32_e64 s[60:61], 0, v0
	s_and_saveexec_b64 s[62:63], s[60:61]
	s_cbranch_execz .LBB12_1100
; %bb.1099:                             ;   in Loop: Header=BB12_1032 Depth=3
	global_load_dwordx4 v[24:27], v[30:31], off glc slc
	global_load_dwordx4 v[16:19], v[30:31], off offset:1024 glc slc
	global_load_dwordx4 v[20:23], v[8:9], off glc slc
	global_load_dwordx4 v[12:15], v[8:9], off offset:1024 glc slc
	v_add_co_u32_e32 v30, vcc, s80, v30
	v_addc_co_u32_e32 v31, vcc, 0, v31, vcc
	v_add_co_u32_e32 v8, vcc, 0x800, v8
	v_addc_co_u32_e32 v9, vcc, 0, v9, vcc
.LBB12_1100:                            ;   in Loop: Header=BB12_1032 Depth=3
	s_or_b64 exec, exec, s[62:63]
	s_waitcnt vmcnt(0)
	v_lshlrev_b32_e32 v6, 16, v48
	v_lshlrev_b32_e32 v7, 16, v52
	v_max_f32_e32 v7, v7, v7
	v_max_f32_e32 v6, v6, v6
	v_min_f32_e32 v10, v6, v7
	v_max_f32_e32 v6, v6, v7
	v_cndmask_b32_e64 v6, v6, v10, s[28:29]
	v_and_b32_e32 v7, 0x7f800000, v6
	v_cmp_ne_u32_e32 vcc, s92, v7
                                        ; implicit-def: $vgpr7
	s_and_saveexec_b64 s[62:63], vcc
	s_xor_b64 vcc, exec, s[62:63]
; %bb.1101:                             ;   in Loop: Header=BB12_1032 Depth=3
	v_bfe_u32 v7, v6, 16, 1
	v_add3_u32 v7, v6, v7, s93
                                        ; implicit-def: $vgpr6
; %bb.1102:                             ;   in Loop: Header=BB12_1032 Depth=3
	s_andn2_saveexec_b64 s[62:63], vcc
; %bb.1103:                             ;   in Loop: Header=BB12_1032 Depth=3
	v_or_b32_e32 v7, 0x10000, v6
	v_cmp_eq_u32_sdwa vcc, v6, v42 src0_sel:WORD_0 src1_sel:DWORD
	v_cndmask_b32_e32 v7, v7, v6, vcc
; %bb.1104:                             ;   in Loop: Header=BB12_1032 Depth=3
	s_or_b64 exec, exec, s[62:63]
	v_and_b32_e32 v6, 0xffff0000, v48
	v_and_b32_e32 v10, 0xffff0000, v52
	v_max_f32_e32 v10, v10, v10
	v_max_f32_e32 v6, v6, v6
	v_min_f32_e32 v11, v6, v10
	v_max_f32_e32 v6, v6, v10
	v_cndmask_b32_e64 v6, v6, v11, s[28:29]
	v_and_b32_e32 v10, 0x7f800000, v6
	v_cmp_ne_u32_e32 vcc, s92, v10
                                        ; implicit-def: $vgpr10
	s_and_saveexec_b64 s[62:63], vcc
	s_xor_b64 vcc, exec, s[62:63]
; %bb.1105:                             ;   in Loop: Header=BB12_1032 Depth=3
	v_bfe_u32 v10, v6, 16, 1
	v_add3_u32 v10, v6, v10, s93
                                        ; implicit-def: $vgpr6
; %bb.1106:                             ;   in Loop: Header=BB12_1032 Depth=3
	s_andn2_saveexec_b64 s[62:63], vcc
; %bb.1107:                             ;   in Loop: Header=BB12_1032 Depth=3
	v_or_b32_e32 v10, 0x10000, v6
	v_cmp_eq_u32_sdwa vcc, v6, v42 src0_sel:WORD_0 src1_sel:DWORD
	v_cndmask_b32_e32 v10, v10, v6, vcc
; %bb.1108:                             ;   in Loop: Header=BB12_1032 Depth=3
	s_or_b64 exec, exec, s[62:63]
	v_lshlrev_b32_e32 v6, 16, v49
	v_lshlrev_b32_e32 v11, 16, v53
	v_max_f32_e32 v11, v11, v11
	v_max_f32_e32 v6, v6, v6
	v_min_f32_e32 v28, v6, v11
	v_max_f32_e32 v6, v6, v11
	v_cndmask_b32_e64 v6, v6, v28, s[28:29]
	v_and_b32_e32 v11, 0x7f800000, v6
	v_cmp_ne_u32_e32 vcc, s92, v11
                                        ; implicit-def: $vgpr11
	s_and_saveexec_b64 s[62:63], vcc
	s_xor_b64 vcc, exec, s[62:63]
; %bb.1109:                             ;   in Loop: Header=BB12_1032 Depth=3
	v_bfe_u32 v11, v6, 16, 1
	v_add3_u32 v11, v6, v11, s93
                                        ; implicit-def: $vgpr6
; %bb.1110:                             ;   in Loop: Header=BB12_1032 Depth=3
	s_andn2_saveexec_b64 s[62:63], vcc
; %bb.1111:                             ;   in Loop: Header=BB12_1032 Depth=3
	v_or_b32_e32 v11, 0x10000, v6
	v_cmp_eq_u32_sdwa vcc, v6, v42 src0_sel:WORD_0 src1_sel:DWORD
	v_cndmask_b32_e32 v11, v11, v6, vcc
; %bb.1112:                             ;   in Loop: Header=BB12_1032 Depth=3
	s_or_b64 exec, exec, s[62:63]
	v_and_b32_e32 v6, 0xffff0000, v49
	v_and_b32_e32 v28, 0xffff0000, v53
	v_max_f32_e32 v28, v28, v28
	v_max_f32_e32 v6, v6, v6
	v_min_f32_e32 v48, v6, v28
	v_max_f32_e32 v6, v6, v28
	v_cndmask_b32_e64 v6, v6, v48, s[28:29]
	v_and_b32_e32 v28, 0x7f800000, v6
	v_cmp_ne_u32_e32 vcc, s92, v28
                                        ; implicit-def: $vgpr48
	s_and_saveexec_b64 s[62:63], vcc
	s_xor_b64 vcc, exec, s[62:63]
; %bb.1113:                             ;   in Loop: Header=BB12_1032 Depth=3
	v_bfe_u32 v28, v6, 16, 1
	v_add3_u32 v48, v6, v28, s93
                                        ; implicit-def: $vgpr6
; %bb.1114:                             ;   in Loop: Header=BB12_1032 Depth=3
	s_andn2_saveexec_b64 s[62:63], vcc
; %bb.1115:                             ;   in Loop: Header=BB12_1032 Depth=3
	v_or_b32_e32 v28, 0x10000, v6
	v_cmp_eq_u32_sdwa vcc, v6, v42 src0_sel:WORD_0 src1_sel:DWORD
	v_cndmask_b32_e32 v48, v28, v6, vcc
; %bb.1116:                             ;   in Loop: Header=BB12_1032 Depth=3
	s_or_b64 exec, exec, s[62:63]
	v_lshlrev_b32_e32 v6, 16, v50
	v_lshlrev_b32_e32 v28, 16, v54
	v_max_f32_e32 v28, v28, v28
	v_max_f32_e32 v6, v6, v6
	v_min_f32_e32 v49, v6, v28
	v_max_f32_e32 v6, v6, v28
	v_cndmask_b32_e64 v6, v6, v49, s[28:29]
	v_and_b32_e32 v28, 0x7f800000, v6
	v_cmp_ne_u32_e32 vcc, s92, v28
                                        ; implicit-def: $vgpr49
	s_and_saveexec_b64 s[62:63], vcc
	s_xor_b64 vcc, exec, s[62:63]
; %bb.1117:                             ;   in Loop: Header=BB12_1032 Depth=3
	v_bfe_u32 v28, v6, 16, 1
	v_add3_u32 v49, v6, v28, s93
                                        ; implicit-def: $vgpr6
; %bb.1118:                             ;   in Loop: Header=BB12_1032 Depth=3
	s_andn2_saveexec_b64 s[62:63], vcc
; %bb.1119:                             ;   in Loop: Header=BB12_1032 Depth=3
	v_or_b32_e32 v28, 0x10000, v6
	v_cmp_eq_u32_sdwa vcc, v6, v42 src0_sel:WORD_0 src1_sel:DWORD
	v_cndmask_b32_e32 v49, v28, v6, vcc
; %bb.1120:                             ;   in Loop: Header=BB12_1032 Depth=3
	s_or_b64 exec, exec, s[62:63]
	v_and_b32_e32 v6, 0xffff0000, v50
	v_and_b32_e32 v28, 0xffff0000, v54
	v_max_f32_e32 v28, v28, v28
	v_max_f32_e32 v6, v6, v6
	v_min_f32_e32 v50, v6, v28
	v_max_f32_e32 v6, v6, v28
	v_cndmask_b32_e64 v6, v6, v50, s[28:29]
	v_and_b32_e32 v28, 0x7f800000, v6
	v_cmp_ne_u32_e32 vcc, s92, v28
                                        ; implicit-def: $vgpr50
	s_and_saveexec_b64 s[62:63], vcc
	s_xor_b64 vcc, exec, s[62:63]
; %bb.1121:                             ;   in Loop: Header=BB12_1032 Depth=3
	v_bfe_u32 v28, v6, 16, 1
	v_add3_u32 v50, v6, v28, s93
                                        ; implicit-def: $vgpr6
; %bb.1122:                             ;   in Loop: Header=BB12_1032 Depth=3
	s_andn2_saveexec_b64 s[62:63], vcc
; %bb.1123:                             ;   in Loop: Header=BB12_1032 Depth=3
	v_or_b32_e32 v28, 0x10000, v6
	v_cmp_eq_u32_sdwa vcc, v6, v42 src0_sel:WORD_0 src1_sel:DWORD
	v_cndmask_b32_e32 v50, v28, v6, vcc
; %bb.1124:                             ;   in Loop: Header=BB12_1032 Depth=3
	s_or_b64 exec, exec, s[62:63]
	v_lshlrev_b32_e32 v6, 16, v51
	v_lshlrev_b32_e32 v28, 16, v55
	v_max_f32_e32 v28, v28, v28
	v_max_f32_e32 v6, v6, v6
	v_min_f32_e32 v52, v6, v28
	v_max_f32_e32 v6, v6, v28
	v_cndmask_b32_e64 v6, v6, v52, s[28:29]
	v_and_b32_e32 v28, 0x7f800000, v6
	v_cmp_ne_u32_e32 vcc, s92, v28
                                        ; implicit-def: $vgpr52
	s_and_saveexec_b64 s[62:63], vcc
	s_xor_b64 vcc, exec, s[62:63]
; %bb.1125:                             ;   in Loop: Header=BB12_1032 Depth=3
	v_bfe_u32 v28, v6, 16, 1
	v_add3_u32 v52, v6, v28, s93
                                        ; implicit-def: $vgpr6
; %bb.1126:                             ;   in Loop: Header=BB12_1032 Depth=3
	s_andn2_saveexec_b64 s[62:63], vcc
; %bb.1127:                             ;   in Loop: Header=BB12_1032 Depth=3
	v_or_b32_e32 v28, 0x10000, v6
	v_cmp_eq_u32_sdwa vcc, v6, v42 src0_sel:WORD_0 src1_sel:DWORD
	v_cndmask_b32_e32 v52, v28, v6, vcc
; %bb.1128:                             ;   in Loop: Header=BB12_1032 Depth=3
	s_or_b64 exec, exec, s[62:63]
	v_and_b32_e32 v6, 0xffff0000, v51
	v_and_b32_e32 v28, 0xffff0000, v55
	v_max_f32_e32 v28, v28, v28
	v_max_f32_e32 v6, v6, v6
	v_min_f32_e32 v51, v6, v28
	v_max_f32_e32 v6, v6, v28
	v_cndmask_b32_e64 v6, v6, v51, s[28:29]
	v_and_b32_e32 v28, 0x7f800000, v6
	v_cmp_ne_u32_e32 vcc, s92, v28
                                        ; implicit-def: $vgpr51
	s_and_saveexec_b64 s[62:63], vcc
	s_xor_b64 vcc, exec, s[62:63]
; %bb.1129:                             ;   in Loop: Header=BB12_1032 Depth=3
	v_bfe_u32 v28, v6, 16, 1
	v_add3_u32 v51, v6, v28, s93
                                        ; implicit-def: $vgpr6
; %bb.1130:                             ;   in Loop: Header=BB12_1032 Depth=3
	s_andn2_saveexec_b64 s[62:63], vcc
; %bb.1131:                             ;   in Loop: Header=BB12_1032 Depth=3
	v_or_b32_e32 v28, 0x10000, v6
	v_cmp_eq_u32_sdwa vcc, v6, v42 src0_sel:WORD_0 src1_sel:DWORD
	v_cndmask_b32_e32 v51, v28, v6, vcc
; %bb.1132:                             ;   in Loop: Header=BB12_1032 Depth=3
	s_or_b64 exec, exec, s[62:63]
	v_lshlrev_b32_e32 v6, 16, v32
	v_lshlrev_b32_e32 v28, 16, v36
	v_max_f32_e32 v28, v28, v28
	v_max_f32_e32 v6, v6, v6
	v_min_f32_e32 v53, v6, v28
	v_max_f32_e32 v6, v6, v28
	v_cndmask_b32_e64 v6, v6, v53, s[28:29]
	v_and_b32_e32 v28, 0x7f800000, v6
	v_cmp_ne_u32_e32 vcc, s92, v28
                                        ; implicit-def: $vgpr53
	s_and_saveexec_b64 s[62:63], vcc
	s_xor_b64 vcc, exec, s[62:63]
; %bb.1133:                             ;   in Loop: Header=BB12_1032 Depth=3
	v_bfe_u32 v28, v6, 16, 1
	v_add3_u32 v53, v6, v28, s93
                                        ; implicit-def: $vgpr6
; %bb.1134:                             ;   in Loop: Header=BB12_1032 Depth=3
	s_andn2_saveexec_b64 s[62:63], vcc
; %bb.1135:                             ;   in Loop: Header=BB12_1032 Depth=3
	v_or_b32_e32 v28, 0x10000, v6
	v_cmp_eq_u32_sdwa vcc, v6, v42 src0_sel:WORD_0 src1_sel:DWORD
	v_cndmask_b32_e32 v53, v28, v6, vcc
; %bb.1136:                             ;   in Loop: Header=BB12_1032 Depth=3
	s_or_b64 exec, exec, s[62:63]
	v_and_b32_e32 v6, 0xffff0000, v32
	v_and_b32_e32 v28, 0xffff0000, v36
	v_max_f32_e32 v28, v28, v28
	v_max_f32_e32 v6, v6, v6
	v_min_f32_e32 v32, v6, v28
	v_max_f32_e32 v6, v6, v28
	v_cndmask_b32_e64 v6, v6, v32, s[28:29]
	v_and_b32_e32 v28, 0x7f800000, v6
	v_cmp_ne_u32_e32 vcc, s92, v28
                                        ; implicit-def: $vgpr32
	s_and_saveexec_b64 s[62:63], vcc
	s_xor_b64 vcc, exec, s[62:63]
; %bb.1137:                             ;   in Loop: Header=BB12_1032 Depth=3
	v_bfe_u32 v28, v6, 16, 1
	v_add3_u32 v32, v6, v28, s93
                                        ; implicit-def: $vgpr6
; %bb.1138:                             ;   in Loop: Header=BB12_1032 Depth=3
	s_andn2_saveexec_b64 s[62:63], vcc
; %bb.1139:                             ;   in Loop: Header=BB12_1032 Depth=3
	v_or_b32_e32 v28, 0x10000, v6
	v_cmp_eq_u32_sdwa vcc, v6, v42 src0_sel:WORD_0 src1_sel:DWORD
	v_cndmask_b32_e32 v32, v28, v6, vcc
; %bb.1140:                             ;   in Loop: Header=BB12_1032 Depth=3
	s_or_b64 exec, exec, s[62:63]
	v_lshlrev_b32_e32 v6, 16, v33
	v_lshlrev_b32_e32 v28, 16, v37
	v_max_f32_e32 v28, v28, v28
	v_max_f32_e32 v6, v6, v6
	v_min_f32_e32 v36, v6, v28
	v_max_f32_e32 v6, v6, v28
	v_cndmask_b32_e64 v28, v6, v36, s[28:29]
	v_and_b32_e32 v6, 0x7f800000, v28
	v_cmp_ne_u32_e32 vcc, s92, v6
                                        ; implicit-def: $vgpr6
	s_and_saveexec_b64 s[62:63], vcc
	s_xor_b64 vcc, exec, s[62:63]
; %bb.1141:                             ;   in Loop: Header=BB12_1032 Depth=3
	v_bfe_u32 v6, v28, 16, 1
	v_add3_u32 v6, v28, v6, s93
                                        ; implicit-def: $vgpr28
; %bb.1142:                             ;   in Loop: Header=BB12_1032 Depth=3
	s_andn2_saveexec_b64 s[62:63], vcc
; %bb.1143:                             ;   in Loop: Header=BB12_1032 Depth=3
	v_or_b32_e32 v6, 0x10000, v28
	v_cmp_eq_u32_sdwa vcc, v28, v42 src0_sel:WORD_0 src1_sel:DWORD
	v_cndmask_b32_e32 v6, v6, v28, vcc
; %bb.1144:                             ;   in Loop: Header=BB12_1032 Depth=3
	s_or_b64 exec, exec, s[62:63]
	v_and_b32_e32 v28, 0xffff0000, v33
	v_and_b32_e32 v33, 0xffff0000, v37
	v_max_f32_e32 v33, v33, v33
	v_max_f32_e32 v28, v28, v28
	v_min_f32_e32 v36, v28, v33
	v_max_f32_e32 v28, v28, v33
	v_cndmask_b32_e64 v28, v28, v36, s[28:29]
	v_and_b32_e32 v33, 0x7f800000, v28
	v_cmp_ne_u32_e32 vcc, s92, v33
                                        ; implicit-def: $vgpr33
	s_and_saveexec_b64 s[62:63], vcc
	s_xor_b64 vcc, exec, s[62:63]
; %bb.1145:                             ;   in Loop: Header=BB12_1032 Depth=3
	v_bfe_u32 v33, v28, 16, 1
	v_add3_u32 v33, v28, v33, s93
                                        ; implicit-def: $vgpr28
; %bb.1146:                             ;   in Loop: Header=BB12_1032 Depth=3
	s_andn2_saveexec_b64 s[62:63], vcc
; %bb.1147:                             ;   in Loop: Header=BB12_1032 Depth=3
	v_or_b32_e32 v33, 0x10000, v28
	v_cmp_eq_u32_sdwa vcc, v28, v42 src0_sel:WORD_0 src1_sel:DWORD
	v_cndmask_b32_e32 v33, v33, v28, vcc
; %bb.1148:                             ;   in Loop: Header=BB12_1032 Depth=3
	s_or_b64 exec, exec, s[62:63]
	v_lshlrev_b32_e32 v28, 16, v34
	v_lshlrev_b32_e32 v36, 16, v38
	v_max_f32_e32 v36, v36, v36
	v_max_f32_e32 v28, v28, v28
	v_min_f32_e32 v37, v28, v36
	v_max_f32_e32 v28, v28, v36
	v_cndmask_b32_e64 v28, v28, v37, s[28:29]
	v_and_b32_e32 v36, 0x7f800000, v28
	v_cmp_ne_u32_e32 vcc, s92, v36
                                        ; implicit-def: $vgpr36
	s_and_saveexec_b64 s[62:63], vcc
	s_xor_b64 vcc, exec, s[62:63]
; %bb.1149:                             ;   in Loop: Header=BB12_1032 Depth=3
	v_bfe_u32 v36, v28, 16, 1
	v_add3_u32 v36, v28, v36, s93
                                        ; implicit-def: $vgpr28
; %bb.1150:                             ;   in Loop: Header=BB12_1032 Depth=3
	s_andn2_saveexec_b64 s[62:63], vcc
; %bb.1151:                             ;   in Loop: Header=BB12_1032 Depth=3
	v_or_b32_e32 v36, 0x10000, v28
	v_cmp_eq_u32_sdwa vcc, v28, v42 src0_sel:WORD_0 src1_sel:DWORD
	v_cndmask_b32_e32 v36, v36, v28, vcc
; %bb.1152:                             ;   in Loop: Header=BB12_1032 Depth=3
	s_or_b64 exec, exec, s[62:63]
	v_and_b32_e32 v28, 0xffff0000, v34
	v_and_b32_e32 v34, 0xffff0000, v38
	v_max_f32_e32 v34, v34, v34
	v_max_f32_e32 v28, v28, v28
	v_min_f32_e32 v37, v28, v34
	v_max_f32_e32 v28, v28, v34
	v_cndmask_b32_e64 v34, v28, v37, s[28:29]
	v_and_b32_e32 v28, 0x7f800000, v34
	v_cmp_ne_u32_e32 vcc, s92, v28
                                        ; implicit-def: $vgpr28
	s_and_saveexec_b64 s[62:63], vcc
	s_xor_b64 vcc, exec, s[62:63]
; %bb.1153:                             ;   in Loop: Header=BB12_1032 Depth=3
	v_bfe_u32 v28, v34, 16, 1
	v_add3_u32 v28, v34, v28, s93
                                        ; implicit-def: $vgpr34
; %bb.1154:                             ;   in Loop: Header=BB12_1032 Depth=3
	s_andn2_saveexec_b64 s[62:63], vcc
; %bb.1155:                             ;   in Loop: Header=BB12_1032 Depth=3
	v_or_b32_e32 v28, 0x10000, v34
	v_cmp_eq_u32_sdwa vcc, v34, v42 src0_sel:WORD_0 src1_sel:DWORD
	v_cndmask_b32_e32 v28, v28, v34, vcc
; %bb.1156:                             ;   in Loop: Header=BB12_1032 Depth=3
	s_or_b64 exec, exec, s[62:63]
	v_lshlrev_b32_e32 v34, 16, v35
	v_lshlrev_b32_e32 v37, 16, v39
	v_max_f32_e32 v37, v37, v37
	v_max_f32_e32 v34, v34, v34
	v_min_f32_e32 v38, v34, v37
	v_max_f32_e32 v34, v34, v37
	v_cndmask_b32_e64 v37, v34, v38, s[28:29]
	v_and_b32_e32 v34, 0x7f800000, v37
	v_cmp_ne_u32_e32 vcc, s92, v34
                                        ; implicit-def: $vgpr34
	s_and_saveexec_b64 s[62:63], vcc
	s_xor_b64 vcc, exec, s[62:63]
; %bb.1157:                             ;   in Loop: Header=BB12_1032 Depth=3
	v_bfe_u32 v34, v37, 16, 1
	v_add3_u32 v34, v37, v34, s93
                                        ; implicit-def: $vgpr37
; %bb.1158:                             ;   in Loop: Header=BB12_1032 Depth=3
	s_andn2_saveexec_b64 s[62:63], vcc
; %bb.1159:                             ;   in Loop: Header=BB12_1032 Depth=3
	v_or_b32_e32 v34, 0x10000, v37
	v_cmp_eq_u32_sdwa vcc, v37, v42 src0_sel:WORD_0 src1_sel:DWORD
	v_cndmask_b32_e32 v34, v34, v37, vcc
; %bb.1160:                             ;   in Loop: Header=BB12_1032 Depth=3
	s_or_b64 exec, exec, s[62:63]
	v_and_b32_e32 v35, 0xffff0000, v35
	v_and_b32_e32 v37, 0xffff0000, v39
	v_max_f32_e32 v37, v37, v37
	v_max_f32_e32 v35, v35, v35
	v_min_f32_e32 v38, v35, v37
	v_max_f32_e32 v35, v35, v37
	v_cndmask_b32_e64 v37, v35, v38, s[28:29]
	v_and_b32_e32 v35, 0x7f800000, v37
	v_cmp_ne_u32_e32 vcc, s92, v35
                                        ; implicit-def: $vgpr35
	s_and_saveexec_b64 s[62:63], vcc
	s_xor_b64 vcc, exec, s[62:63]
; %bb.1161:                             ;   in Loop: Header=BB12_1032 Depth=3
	v_bfe_u32 v35, v37, 16, 1
	v_add3_u32 v35, v37, v35, s93
                                        ; implicit-def: $vgpr37
; %bb.1162:                             ;   in Loop: Header=BB12_1032 Depth=3
	s_andn2_saveexec_b64 s[62:63], vcc
; %bb.1163:                             ;   in Loop: Header=BB12_1032 Depth=3
	v_or_b32_e32 v35, 0x10000, v37
	v_cmp_eq_u32_sdwa vcc, v37, v42 src0_sel:WORD_0 src1_sel:DWORD
	v_cndmask_b32_e32 v35, v35, v37, vcc
; %bb.1164:                             ;   in Loop: Header=BB12_1032 Depth=3
	s_or_b64 exec, exec, s[62:63]
	v_lshrrev_b32_e32 v7, 16, v7
	v_lshrrev_b32_e32 v6, 16, v6
	;; [unrolled: 1-line block ×3, first 2 shown]
	v_and_or_b32 v38, v10, s94, v7
	v_lshrrev_b32_e32 v7, 16, v49
	v_and_or_b32 v49, v33, s94, v6
	v_lshrrev_b32_e32 v6, 16, v53
	v_and_or_b32 v39, v48, s94, v11
	v_and_or_b32 v40, v50, s94, v7
	v_lshrrev_b32_e32 v7, 16, v52
	v_and_or_b32 v48, v32, s94, v6
	v_lshrrev_b32_e32 v6, 16, v36
	v_and_or_b32 v41, v51, s94, v7
	v_and_or_b32 v50, v28, s94, v6
	v_lshrrev_b32_e32 v6, 16, v34
	v_and_or_b32 v51, v35, s94, v6
	global_store_dwordx4 v[2:3], v[38:41], off glc slc
	global_store_dwordx4 v[2:3], v[48:51], off offset:1024 glc slc
	v_add_co_u32_e32 v2, vcc, 0x800, v2
	v_addc_co_u32_e32 v3, vcc, 0, v3, vcc
	global_store_dwordx4 v[4:5], v[38:41], off glc slc
	global_store_dwordx4 v[4:5], v[48:51], off offset:1024 glc slc
	v_add_co_u32_e32 v4, vcc, 0x800, v4
	v_addc_co_u32_e32 v5, vcc, 0, v5, vcc
	s_and_saveexec_b64 s[62:63], s[60:61]
	s_cbranch_execz .LBB12_1031
; %bb.1165:                             ;   in Loop: Header=BB12_1032 Depth=3
	v_accvgpr_read_b32 v6, a28
	v_accvgpr_read_b32 v7, a29
	v_add_co_u32_e32 v2, vcc, v2, v6
	v_addc_co_u32_e32 v3, vcc, v3, v7, vcc
	v_add_co_u32_e32 v4, vcc, v4, v6
	v_addc_co_u32_e32 v5, vcc, v5, v7, vcc
	;; [unrolled: 2-line block ×3, first 2 shown]
	v_add_co_u32_e32 v8, vcc, v8, v6
	v_accvgpr_read_b32 v6, a22
	v_addc_co_u32_e32 v9, vcc, v9, v7, vcc
	v_sub_u32_e32 v0, v0, v6
	s_branch .LBB12_1031
.LBB12_1166:                            ;   in Loop: Header=BB12_955 Depth=2
	s_cbranch_execnz .LBB12_1500
	s_branch .LBB12_1960
.LBB12_1167:                            ;   in Loop: Header=BB12_955 Depth=2
	s_mov_b64 s[58:59], 0
                                        ; implicit-def: $sgpr30
                                        ; implicit-def: $agpr1
	s_andn2_b64 vcc, exec, s[28:29]
	s_cbranch_vccz .LBB12_1029
.LBB12_1168:                            ;   in Loop: Header=BB12_955 Depth=2
	v_mov_b32_e32 v6, s30
	v_mov_b32_e32 v16, v57
	v_accvgpr_read_b32 v18, a38
	v_accvgpr_read_b32 v2, a31
	s_and_saveexec_b64 s[36:37], s[58:59]
	s_cbranch_execnz .LBB12_1357
	s_branch .LBB12_1499
.LBB12_1169:                            ;   in Loop: Header=BB12_955 Depth=2
	s_or_b64 exec, exec, s[34:35]
	s_and_b64 s[28:29], s[36:37], exec
	v_accvgpr_read_b32 v48, a62
	v_accvgpr_read_b32 v49, a9
	;; [unrolled: 1-line block ×4, first 2 shown]
.LBB12_1170:                            ;   in Loop: Header=BB12_955 Depth=2
	s_or_b64 exec, exec, s[30:31]
	s_and_saveexec_b64 s[30:31], s[28:29]
	s_cbranch_execz .LBB12_1236
; %bb.1171:                             ;   in Loop: Header=BB12_955 Depth=2
	v_lshlrev_b32_e32 v6, 16, v24
	v_lshlrev_b32_e32 v7, 16, v20
	v_max_f32_e32 v7, v7, v7
	v_max_f32_e32 v6, v6, v6
	v_min_f32_e32 v8, v6, v7
	v_max_f32_e32 v6, v6, v7
	v_accvgpr_read_b32 v7, a1
	v_cmp_eq_u16_e32 vcc, 0, v7
	v_cndmask_b32_e32 v6, v6, v8, vcc
	v_and_b32_e32 v7, 0x7f800000, v6
	v_cmp_ne_u32_e64 s[28:29], s92, v7
                                        ; implicit-def: $vgpr7
	s_and_saveexec_b64 s[34:35], s[28:29]
	s_xor_b64 s[28:29], exec, s[34:35]
; %bb.1172:                             ;   in Loop: Header=BB12_955 Depth=2
	v_bfe_u32 v7, v6, 16, 1
	v_add3_u32 v7, v6, v7, s93
                                        ; implicit-def: $vgpr6
; %bb.1173:                             ;   in Loop: Header=BB12_955 Depth=2
	s_andn2_saveexec_b64 s[34:35], s[28:29]
; %bb.1174:                             ;   in Loop: Header=BB12_955 Depth=2
	v_or_b32_e32 v7, 0x10000, v6
	v_cmp_eq_u32_sdwa s[28:29], v6, v42 src0_sel:WORD_0 src1_sel:DWORD
	v_cndmask_b32_e64 v7, v7, v6, s[28:29]
; %bb.1175:                             ;   in Loop: Header=BB12_955 Depth=2
	s_or_b64 exec, exec, s[34:35]
	v_and_b32_e32 v6, 0xffff0000, v24
	v_and_b32_e32 v8, 0xffff0000, v20
	v_max_f32_e32 v8, v8, v8
	v_max_f32_e32 v6, v6, v6
	v_min_f32_e32 v9, v6, v8
	v_max_f32_e32 v6, v6, v8
	v_cndmask_b32_e32 v6, v6, v9, vcc
	v_and_b32_e32 v8, 0x7f800000, v6
	v_cmp_ne_u32_e64 s[28:29], s92, v8
                                        ; implicit-def: $vgpr8
	s_and_saveexec_b64 s[34:35], s[28:29]
	s_xor_b64 s[28:29], exec, s[34:35]
; %bb.1176:                             ;   in Loop: Header=BB12_955 Depth=2
	v_bfe_u32 v8, v6, 16, 1
	v_add3_u32 v8, v6, v8, s93
                                        ; implicit-def: $vgpr6
; %bb.1177:                             ;   in Loop: Header=BB12_955 Depth=2
	s_andn2_saveexec_b64 s[34:35], s[28:29]
; %bb.1178:                             ;   in Loop: Header=BB12_955 Depth=2
	v_or_b32_e32 v8, 0x10000, v6
	v_cmp_eq_u32_sdwa s[28:29], v6, v42 src0_sel:WORD_0 src1_sel:DWORD
	v_cndmask_b32_e64 v8, v8, v6, s[28:29]
; %bb.1179:                             ;   in Loop: Header=BB12_955 Depth=2
	s_or_b64 exec, exec, s[34:35]
	v_lshlrev_b32_e32 v6, 16, v25
	v_lshlrev_b32_e32 v9, 16, v21
	v_max_f32_e32 v9, v9, v9
	v_max_f32_e32 v6, v6, v6
	v_min_f32_e32 v10, v6, v9
	v_max_f32_e32 v6, v6, v9
	v_cndmask_b32_e32 v6, v6, v10, vcc
	v_and_b32_e32 v9, 0x7f800000, v6
	v_cmp_ne_u32_e64 s[28:29], s92, v9
                                        ; implicit-def: $vgpr9
	s_and_saveexec_b64 s[34:35], s[28:29]
	s_xor_b64 s[28:29], exec, s[34:35]
; %bb.1180:                             ;   in Loop: Header=BB12_955 Depth=2
	v_bfe_u32 v9, v6, 16, 1
	v_add3_u32 v9, v6, v9, s93
                                        ; implicit-def: $vgpr6
; %bb.1181:                             ;   in Loop: Header=BB12_955 Depth=2
	s_andn2_saveexec_b64 s[34:35], s[28:29]
; %bb.1182:                             ;   in Loop: Header=BB12_955 Depth=2
	v_or_b32_e32 v9, 0x10000, v6
	v_cmp_eq_u32_sdwa s[28:29], v6, v42 src0_sel:WORD_0 src1_sel:DWORD
	v_cndmask_b32_e64 v9, v9, v6, s[28:29]
; %bb.1183:                             ;   in Loop: Header=BB12_955 Depth=2
	s_or_b64 exec, exec, s[34:35]
	v_and_b32_e32 v6, 0xffff0000, v25
	v_and_b32_e32 v10, 0xffff0000, v21
	v_max_f32_e32 v10, v10, v10
	v_max_f32_e32 v6, v6, v6
	v_min_f32_e32 v11, v6, v10
	v_max_f32_e32 v6, v6, v10
	v_cndmask_b32_e32 v6, v6, v11, vcc
	v_and_b32_e32 v10, 0x7f800000, v6
	v_cmp_ne_u32_e64 s[28:29], s92, v10
                                        ; implicit-def: $vgpr10
	s_and_saveexec_b64 s[34:35], s[28:29]
	s_xor_b64 s[28:29], exec, s[34:35]
; %bb.1184:                             ;   in Loop: Header=BB12_955 Depth=2
	v_bfe_u32 v10, v6, 16, 1
	v_add3_u32 v10, v6, v10, s93
                                        ; implicit-def: $vgpr6
; %bb.1185:                             ;   in Loop: Header=BB12_955 Depth=2
	s_andn2_saveexec_b64 s[34:35], s[28:29]
; %bb.1186:                             ;   in Loop: Header=BB12_955 Depth=2
	v_or_b32_e32 v10, 0x10000, v6
	v_cmp_eq_u32_sdwa s[28:29], v6, v42 src0_sel:WORD_0 src1_sel:DWORD
	v_cndmask_b32_e64 v10, v10, v6, s[28:29]
; %bb.1187:                             ;   in Loop: Header=BB12_955 Depth=2
	s_or_b64 exec, exec, s[34:35]
	v_lshlrev_b32_e32 v6, 16, v26
	v_lshlrev_b32_e32 v11, 16, v22
	v_max_f32_e32 v11, v11, v11
	v_max_f32_e32 v6, v6, v6
	v_min_f32_e32 v20, v6, v11
	v_max_f32_e32 v6, v6, v11
	v_cndmask_b32_e32 v6, v6, v20, vcc
	v_and_b32_e32 v11, 0x7f800000, v6
	v_cmp_ne_u32_e64 s[28:29], s92, v11
                                        ; implicit-def: $vgpr11
	s_and_saveexec_b64 s[34:35], s[28:29]
	s_xor_b64 s[28:29], exec, s[34:35]
; %bb.1188:                             ;   in Loop: Header=BB12_955 Depth=2
	v_bfe_u32 v11, v6, 16, 1
	v_add3_u32 v11, v6, v11, s93
                                        ; implicit-def: $vgpr6
; %bb.1189:                             ;   in Loop: Header=BB12_955 Depth=2
	s_andn2_saveexec_b64 s[34:35], s[28:29]
; %bb.1190:                             ;   in Loop: Header=BB12_955 Depth=2
	v_or_b32_e32 v11, 0x10000, v6
	v_cmp_eq_u32_sdwa s[28:29], v6, v42 src0_sel:WORD_0 src1_sel:DWORD
	v_cndmask_b32_e64 v11, v11, v6, s[28:29]
; %bb.1191:                             ;   in Loop: Header=BB12_955 Depth=2
	s_or_b64 exec, exec, s[34:35]
	v_and_b32_e32 v6, 0xffff0000, v26
	v_and_b32_e32 v20, 0xffff0000, v22
	v_max_f32_e32 v20, v20, v20
	v_max_f32_e32 v6, v6, v6
	v_min_f32_e32 v21, v6, v20
	v_max_f32_e32 v6, v6, v20
	v_cndmask_b32_e32 v6, v6, v21, vcc
	v_and_b32_e32 v20, 0x7f800000, v6
	v_cmp_ne_u32_e64 s[28:29], s92, v20
                                        ; implicit-def: $vgpr20
	s_and_saveexec_b64 s[34:35], s[28:29]
	s_xor_b64 s[28:29], exec, s[34:35]
; %bb.1192:                             ;   in Loop: Header=BB12_955 Depth=2
	v_bfe_u32 v20, v6, 16, 1
	v_add3_u32 v20, v6, v20, s93
                                        ; implicit-def: $vgpr6
; %bb.1193:                             ;   in Loop: Header=BB12_955 Depth=2
	s_andn2_saveexec_b64 s[34:35], s[28:29]
; %bb.1194:                             ;   in Loop: Header=BB12_955 Depth=2
	v_or_b32_e32 v20, 0x10000, v6
	v_cmp_eq_u32_sdwa s[28:29], v6, v42 src0_sel:WORD_0 src1_sel:DWORD
	v_cndmask_b32_e64 v20, v20, v6, s[28:29]
; %bb.1195:                             ;   in Loop: Header=BB12_955 Depth=2
	s_or_b64 exec, exec, s[34:35]
	v_lshlrev_b32_e32 v6, 16, v27
	v_lshlrev_b32_e32 v21, 16, v23
	v_max_f32_e32 v21, v21, v21
	v_max_f32_e32 v6, v6, v6
	v_min_f32_e32 v22, v6, v21
	v_max_f32_e32 v6, v6, v21
	v_cndmask_b32_e32 v6, v6, v22, vcc
	v_and_b32_e32 v21, 0x7f800000, v6
	v_cmp_ne_u32_e64 s[28:29], s92, v21
                                        ; implicit-def: $vgpr21
	s_and_saveexec_b64 s[34:35], s[28:29]
	s_xor_b64 s[28:29], exec, s[34:35]
; %bb.1196:                             ;   in Loop: Header=BB12_955 Depth=2
	v_bfe_u32 v21, v6, 16, 1
	v_add3_u32 v21, v6, v21, s93
                                        ; implicit-def: $vgpr6
; %bb.1197:                             ;   in Loop: Header=BB12_955 Depth=2
	s_andn2_saveexec_b64 s[34:35], s[28:29]
; %bb.1198:                             ;   in Loop: Header=BB12_955 Depth=2
	v_or_b32_e32 v21, 0x10000, v6
	v_cmp_eq_u32_sdwa s[28:29], v6, v42 src0_sel:WORD_0 src1_sel:DWORD
	v_cndmask_b32_e64 v21, v21, v6, s[28:29]
; %bb.1199:                             ;   in Loop: Header=BB12_955 Depth=2
	s_or_b64 exec, exec, s[34:35]
	v_and_b32_e32 v6, 0xffff0000, v27
	v_and_b32_e32 v22, 0xffff0000, v23
	v_max_f32_e32 v22, v22, v22
	v_max_f32_e32 v6, v6, v6
	v_min_f32_e32 v23, v6, v22
	v_max_f32_e32 v6, v6, v22
	v_cndmask_b32_e32 v6, v6, v23, vcc
	v_and_b32_e32 v22, 0x7f800000, v6
	v_cmp_ne_u32_e64 s[28:29], s92, v22
                                        ; implicit-def: $vgpr22
	s_and_saveexec_b64 s[34:35], s[28:29]
	s_xor_b64 s[28:29], exec, s[34:35]
; %bb.1200:                             ;   in Loop: Header=BB12_955 Depth=2
	v_bfe_u32 v22, v6, 16, 1
	v_add3_u32 v22, v6, v22, s93
                                        ; implicit-def: $vgpr6
; %bb.1201:                             ;   in Loop: Header=BB12_955 Depth=2
	s_andn2_saveexec_b64 s[34:35], s[28:29]
; %bb.1202:                             ;   in Loop: Header=BB12_955 Depth=2
	v_or_b32_e32 v22, 0x10000, v6
	v_cmp_eq_u32_sdwa s[28:29], v6, v42 src0_sel:WORD_0 src1_sel:DWORD
	v_cndmask_b32_e64 v22, v22, v6, s[28:29]
; %bb.1203:                             ;   in Loop: Header=BB12_955 Depth=2
	s_or_b64 exec, exec, s[34:35]
	v_lshlrev_b32_e32 v6, 16, v16
	v_lshlrev_b32_e32 v23, 16, v12
	v_max_f32_e32 v23, v23, v23
	v_max_f32_e32 v6, v6, v6
	v_min_f32_e32 v24, v6, v23
	v_max_f32_e32 v6, v6, v23
	v_cndmask_b32_e32 v6, v6, v24, vcc
	v_and_b32_e32 v23, 0x7f800000, v6
	v_cmp_ne_u32_e64 s[28:29], s92, v23
                                        ; implicit-def: $vgpr23
	s_and_saveexec_b64 s[34:35], s[28:29]
	s_xor_b64 s[28:29], exec, s[34:35]
; %bb.1204:                             ;   in Loop: Header=BB12_955 Depth=2
	v_bfe_u32 v23, v6, 16, 1
	v_add3_u32 v23, v6, v23, s93
                                        ; implicit-def: $vgpr6
; %bb.1205:                             ;   in Loop: Header=BB12_955 Depth=2
	s_andn2_saveexec_b64 s[34:35], s[28:29]
; %bb.1206:                             ;   in Loop: Header=BB12_955 Depth=2
	v_or_b32_e32 v23, 0x10000, v6
	v_cmp_eq_u32_sdwa s[28:29], v6, v42 src0_sel:WORD_0 src1_sel:DWORD
	v_cndmask_b32_e64 v23, v23, v6, s[28:29]
; %bb.1207:                             ;   in Loop: Header=BB12_955 Depth=2
	s_or_b64 exec, exec, s[34:35]
	v_and_b32_e32 v6, 0xffff0000, v16
	v_and_b32_e32 v12, 0xffff0000, v12
	v_max_f32_e32 v12, v12, v12
	v_max_f32_e32 v6, v6, v6
	v_min_f32_e32 v16, v6, v12
	v_max_f32_e32 v6, v6, v12
	v_cndmask_b32_e32 v6, v6, v16, vcc
	v_and_b32_e32 v12, 0x7f800000, v6
	v_cmp_ne_u32_e64 s[28:29], s92, v12
                                        ; implicit-def: $vgpr12
	s_and_saveexec_b64 s[34:35], s[28:29]
	s_xor_b64 s[28:29], exec, s[34:35]
; %bb.1208:                             ;   in Loop: Header=BB12_955 Depth=2
	v_bfe_u32 v12, v6, 16, 1
	v_add3_u32 v12, v6, v12, s93
                                        ; implicit-def: $vgpr6
; %bb.1209:                             ;   in Loop: Header=BB12_955 Depth=2
	s_andn2_saveexec_b64 s[34:35], s[28:29]
; %bb.1210:                             ;   in Loop: Header=BB12_955 Depth=2
	v_or_b32_e32 v12, 0x10000, v6
	v_cmp_eq_u32_sdwa s[28:29], v6, v42 src0_sel:WORD_0 src1_sel:DWORD
	v_cndmask_b32_e64 v12, v12, v6, s[28:29]
; %bb.1211:                             ;   in Loop: Header=BB12_955 Depth=2
	s_or_b64 exec, exec, s[34:35]
	v_lshlrev_b32_e32 v6, 16, v17
	v_lshlrev_b32_e32 v16, 16, v13
	v_max_f32_e32 v16, v16, v16
	v_max_f32_e32 v6, v6, v6
	v_min_f32_e32 v24, v6, v16
	v_max_f32_e32 v6, v6, v16
	v_cndmask_b32_e32 v16, v6, v24, vcc
	v_and_b32_e32 v6, 0x7f800000, v16
	v_cmp_ne_u32_e64 s[28:29], s92, v6
                                        ; implicit-def: $vgpr6
	s_and_saveexec_b64 s[34:35], s[28:29]
	s_xor_b64 s[28:29], exec, s[34:35]
; %bb.1212:                             ;   in Loop: Header=BB12_955 Depth=2
	v_bfe_u32 v6, v16, 16, 1
	v_add3_u32 v6, v16, v6, s93
                                        ; implicit-def: $vgpr16
; %bb.1213:                             ;   in Loop: Header=BB12_955 Depth=2
	s_andn2_saveexec_b64 s[34:35], s[28:29]
; %bb.1214:                             ;   in Loop: Header=BB12_955 Depth=2
	v_or_b32_e32 v6, 0x10000, v16
	v_cmp_eq_u32_sdwa s[28:29], v16, v42 src0_sel:WORD_0 src1_sel:DWORD
	v_cndmask_b32_e64 v6, v6, v16, s[28:29]
; %bb.1215:                             ;   in Loop: Header=BB12_955 Depth=2
	s_or_b64 exec, exec, s[34:35]
	v_and_b32_e32 v16, 0xffff0000, v17
	v_and_b32_e32 v13, 0xffff0000, v13
	v_max_f32_e32 v13, v13, v13
	v_max_f32_e32 v16, v16, v16
	v_min_f32_e32 v17, v16, v13
	v_max_f32_e32 v13, v16, v13
	v_cndmask_b32_e32 v16, v13, v17, vcc
	v_and_b32_e32 v13, 0x7f800000, v16
	v_cmp_ne_u32_e64 s[28:29], s92, v13
                                        ; implicit-def: $vgpr13
	s_and_saveexec_b64 s[34:35], s[28:29]
	s_xor_b64 s[28:29], exec, s[34:35]
; %bb.1216:                             ;   in Loop: Header=BB12_955 Depth=2
	v_bfe_u32 v13, v16, 16, 1
	v_add3_u32 v13, v16, v13, s93
                                        ; implicit-def: $vgpr16
; %bb.1217:                             ;   in Loop: Header=BB12_955 Depth=2
	s_andn2_saveexec_b64 s[34:35], s[28:29]
; %bb.1218:                             ;   in Loop: Header=BB12_955 Depth=2
	v_or_b32_e32 v13, 0x10000, v16
	v_cmp_eq_u32_sdwa s[28:29], v16, v42 src0_sel:WORD_0 src1_sel:DWORD
	v_cndmask_b32_e64 v13, v13, v16, s[28:29]
; %bb.1219:                             ;   in Loop: Header=BB12_955 Depth=2
	s_or_b64 exec, exec, s[34:35]
	v_lshlrev_b32_e32 v16, 16, v18
	v_lshlrev_b32_e32 v17, 16, v14
	v_max_f32_e32 v17, v17, v17
	v_max_f32_e32 v16, v16, v16
	v_min_f32_e32 v24, v16, v17
	v_max_f32_e32 v16, v16, v17
	v_cndmask_b32_e32 v17, v16, v24, vcc
	v_and_b32_e32 v16, 0x7f800000, v17
	v_cmp_ne_u32_e64 s[28:29], s92, v16
                                        ; implicit-def: $vgpr16
	s_and_saveexec_b64 s[34:35], s[28:29]
	s_xor_b64 s[28:29], exec, s[34:35]
; %bb.1220:                             ;   in Loop: Header=BB12_955 Depth=2
	v_bfe_u32 v16, v17, 16, 1
	v_add3_u32 v16, v17, v16, s93
                                        ; implicit-def: $vgpr17
; %bb.1221:                             ;   in Loop: Header=BB12_955 Depth=2
	s_andn2_saveexec_b64 s[34:35], s[28:29]
; %bb.1222:                             ;   in Loop: Header=BB12_955 Depth=2
	v_or_b32_e32 v16, 0x10000, v17
	v_cmp_eq_u32_sdwa s[28:29], v17, v42 src0_sel:WORD_0 src1_sel:DWORD
	v_cndmask_b32_e64 v16, v16, v17, s[28:29]
; %bb.1223:                             ;   in Loop: Header=BB12_955 Depth=2
	s_or_b64 exec, exec, s[34:35]
	v_and_b32_e32 v17, 0xffff0000, v18
	v_and_b32_e32 v14, 0xffff0000, v14
	v_max_f32_e32 v14, v14, v14
	v_max_f32_e32 v17, v17, v17
	v_min_f32_e32 v18, v17, v14
	v_max_f32_e32 v14, v17, v14
	v_cndmask_b32_e32 v17, v14, v18, vcc
	v_and_b32_e32 v14, 0x7f800000, v17
	v_cmp_ne_u32_e64 s[28:29], s92, v14
                                        ; implicit-def: $vgpr14
	s_and_saveexec_b64 s[34:35], s[28:29]
	s_xor_b64 s[28:29], exec, s[34:35]
; %bb.1224:                             ;   in Loop: Header=BB12_955 Depth=2
	v_bfe_u32 v14, v17, 16, 1
	v_add3_u32 v14, v17, v14, s93
                                        ; implicit-def: $vgpr17
; %bb.1225:                             ;   in Loop: Header=BB12_955 Depth=2
	s_andn2_saveexec_b64 s[34:35], s[28:29]
; %bb.1226:                             ;   in Loop: Header=BB12_955 Depth=2
	v_or_b32_e32 v14, 0x10000, v17
	v_cmp_eq_u32_sdwa s[28:29], v17, v42 src0_sel:WORD_0 src1_sel:DWORD
	v_cndmask_b32_e64 v14, v14, v17, s[28:29]
; %bb.1227:                             ;   in Loop: Header=BB12_955 Depth=2
	s_or_b64 exec, exec, s[34:35]
	v_lshlrev_b32_e32 v17, 16, v19
	v_lshlrev_b32_e32 v18, 16, v15
	v_max_f32_e32 v18, v18, v18
	v_max_f32_e32 v17, v17, v17
	v_min_f32_e32 v24, v17, v18
	v_max_f32_e32 v17, v17, v18
	v_cndmask_b32_e32 v18, v17, v24, vcc
	v_and_b32_e32 v17, 0x7f800000, v18
	v_cmp_ne_u32_e64 s[28:29], s92, v17
                                        ; implicit-def: $vgpr17
	s_and_saveexec_b64 s[34:35], s[28:29]
	s_xor_b64 s[28:29], exec, s[34:35]
; %bb.1228:                             ;   in Loop: Header=BB12_955 Depth=2
	v_bfe_u32 v17, v18, 16, 1
	v_add3_u32 v17, v18, v17, s93
                                        ; implicit-def: $vgpr18
; %bb.1229:                             ;   in Loop: Header=BB12_955 Depth=2
	s_andn2_saveexec_b64 s[34:35], s[28:29]
; %bb.1230:                             ;   in Loop: Header=BB12_955 Depth=2
	v_or_b32_e32 v17, 0x10000, v18
	v_cmp_eq_u32_sdwa s[28:29], v18, v42 src0_sel:WORD_0 src1_sel:DWORD
	v_cndmask_b32_e64 v17, v17, v18, s[28:29]
; %bb.1231:                             ;   in Loop: Header=BB12_955 Depth=2
	s_or_b64 exec, exec, s[34:35]
	v_and_b32_e32 v18, 0xffff0000, v19
	v_and_b32_e32 v15, 0xffff0000, v15
	v_max_f32_e32 v15, v15, v15
	v_max_f32_e32 v18, v18, v18
	v_min_f32_e32 v19, v18, v15
	v_max_f32_e32 v15, v18, v15
	v_cndmask_b32_e32 v18, v15, v19, vcc
	v_and_b32_e32 v15, 0x7f800000, v18
	v_cmp_ne_u32_e32 vcc, s92, v15
                                        ; implicit-def: $vgpr15
	s_and_saveexec_b64 s[28:29], vcc
	s_xor_b64 s[28:29], exec, s[28:29]
; %bb.1232:                             ;   in Loop: Header=BB12_955 Depth=2
	v_bfe_u32 v15, v18, 16, 1
	v_add3_u32 v15, v18, v15, s93
                                        ; implicit-def: $vgpr18
; %bb.1233:                             ;   in Loop: Header=BB12_955 Depth=2
	s_andn2_saveexec_b64 s[28:29], s[28:29]
; %bb.1234:                             ;   in Loop: Header=BB12_955 Depth=2
	v_or_b32_e32 v15, 0x10000, v18
	v_cmp_eq_u32_sdwa vcc, v18, v42 src0_sel:WORD_0 src1_sel:DWORD
	v_cndmask_b32_e32 v15, v15, v18, vcc
; %bb.1235:                             ;   in Loop: Header=BB12_955 Depth=2
	s_or_b64 exec, exec, s[28:29]
	v_lshrrev_b32_e32 v7, 16, v7
	v_lshrrev_b32_e32 v6, 16, v6
	;; [unrolled: 1-line block ×3, first 2 shown]
	v_and_or_b32 v8, v8, s94, v7
	v_lshrrev_b32_e32 v7, 16, v11
	v_and_or_b32 v13, v13, s94, v6
	v_lshrrev_b32_e32 v6, 16, v23
	v_and_or_b32 v9, v10, s94, v9
	v_and_or_b32 v10, v20, s94, v7
	v_lshrrev_b32_e32 v7, 16, v21
	v_and_or_b32 v12, v12, s94, v6
	v_lshrrev_b32_e32 v6, 16, v16
	v_and_or_b32 v11, v22, s94, v7
	v_and_or_b32 v14, v14, s94, v6
	v_lshrrev_b32_e32 v6, 16, v17
	v_and_or_b32 v15, v15, s94, v6
	global_store_dwordx4 v[2:3], v[8:11], off glc slc
	global_store_dwordx4 v[2:3], v[12:15], off offset:1024 glc slc
	global_store_dwordx4 v[4:5], v[8:11], off glc slc
	global_store_dwordx4 v[4:5], v[12:15], off offset:1024 glc slc
.LBB12_1236:                            ;   in Loop: Header=BB12_955 Depth=2
	s_or_b64 exec, exec, s[30:31]
	v_lshlrev_b32_e32 v14, 11, v28
	v_cmp_ne_u32_e32 vcc, v57, v14
                                        ; implicit-def: $vgpr16
                                        ; implicit-def: $vgpr6
                                        ; implicit-def: $vgpr18
                                        ; implicit-def: $vgpr2
	s_and_saveexec_b64 s[60:61], vcc
	s_cbranch_execz .LBB12_1356
; %bb.1237:                             ;   in Loop: Header=BB12_955 Depth=2
	v_lshlrev_b32_e32 v0, 6, v0
	v_accvgpr_read_b32 v3, a38
	v_sub_u32_e32 v0, v3, v0
	v_ashrrev_i32_e32 v3, 31, v0
	v_lshrrev_b32_e32 v3, 26, v3
	v_add_u32_e32 v3, v0, v3
	v_ashrrev_i32_e32 v4, 6, v3
	v_and_b32_e32 v3, 0xffffffc0, v3
	v_sub_u32_e32 v17, v0, v3
	v_lshlrev_b32_e32 v0, 4, v17
	v_sub_u32_e32 v2, v57, v14
	v_lshl_add_u32 v0, v4, 10, v0
	v_add_u32_e32 v6, v0, v14
	v_sub_u32_e32 v16, v2, v0
	v_ashrrev_i32_e32 v0, 31, v2
	v_lshrrev_b32_e32 v0, 22, v0
	v_add_u32_e32 v0, v2, v0
	v_and_b32_e32 v19, 0xfffffc00, v0
	v_sub_u32_e32 v20, v2, v19
	v_ashrrev_i32_e32 v3, 10, v0
	v_cmp_lt_i32_e64 s[28:29], 15, v20
	v_addc_co_u32_e64 v0, vcc, 0, v3, s[28:29]
	v_sub_u32_e32 v21, v0, v4
	v_accvgpr_read_b32 v2, a4
	v_ashrrev_i32_e32 v7, 31, v6
	v_accvgpr_read_b32 v3, a5
	v_add_co_u32_e32 v0, vcc, v6, v2
	v_accvgpr_read_b32 v4, a6
	v_addc_co_u32_e32 v3, vcc, v7, v3, vcc
	v_accvgpr_read_b32 v5, a7
	v_add_co_u32_e32 v2, vcc, v6, v4
	v_addc_co_u32_e32 v9, vcc, v7, v5, vcc
	v_cmp_lt_i32_e32 vcc, 15, v16
	s_mov_b64 s[30:31], 0
	s_and_saveexec_b64 s[62:63], vcc
	s_cbranch_execz .LBB12_1318
; %bb.1238:                             ;   in Loop: Header=BB12_955 Depth=2
	s_trap 2
	ds_read_b128 v[10:13], v0
	s_mov_b64 s[68:69], 0
	s_mov_b64 s[64:65], 0
                                        ; implicit-def: $sgpr66_sgpr67
	s_waitcnt lgkmcnt(0)
	v_add_co_u32_e32 v4, vcc, v10, v6
	v_addc_co_u32_e32 v5, vcc, v11, v7, vcc
	v_add_co_u32_e32 v8, vcc, v12, v6
	v_accvgpr_read_b32 v6, a1
	v_addc_co_u32_e32 v15, vcc, v13, v7, vcc
	v_cmp_eq_u16_e64 s[30:31], 0, v6
	s_branch .LBB12_1240
.LBB12_1239:                            ;   in Loop: Header=BB12_1240 Depth=3
	s_or_b64 exec, exec, s[34:35]
	v_cmp_gt_i32_e32 vcc, 16, v16
	s_or_b64 s[64:65], vcc, s[64:65]
	s_andn2_b64 vcc, s[66:67], exec
	s_and_b64 s[34:35], s[68:69], exec
	s_or_b64 s[66:67], vcc, s[34:35]
	s_andn2_b64 exec, exec, s[64:65]
	s_cbranch_execz .LBB12_1317
.LBB12_1240:                            ;   Parent Loop BB12_47 Depth=1
                                        ;     Parent Loop BB12_955 Depth=2
                                        ; =>    This Loop Header: Depth=3
                                        ;         Child Loop BB12_1241 Depth 4
                                        ;         Child Loop BB12_1276 Depth 4
	;; [unrolled: 1-line block ×4, first 2 shown]
	v_lshrrev_b32_e64 v6, 6, s33
	v_add_u32_e32 v6, 0xc0, v6
	s_mov_b64 s[70:71], -1
	s_mov_b64 s[72:73], 0
	v_accvgpr_read_b32 v24, a46
.LBB12_1241:                            ;   Parent Loop BB12_47 Depth=1
                                        ;     Parent Loop BB12_955 Depth=2
                                        ;       Parent Loop BB12_1240 Depth=3
                                        ; =>      This Inner Loop Header: Depth=4
	s_cmp_eq_u32 s72, 1
	s_cselect_b64 s[34:35], -1, 0
	v_cndmask_b32_e64 v23, v5, v15, s[34:35]
	v_cndmask_b32_e64 v22, v4, v8, s[34:35]
	global_load_dwordx4 v[10:13], v[22:23], off glc slc
	v_add_co_u32_e32 v7, vcc, s79, v22
	s_cmp_eq_u32 s72, 0
	v_addc_co_u32_e32 v18, vcc, 0, v23, vcc
	s_cselect_b64 vcc, -1, 0
	s_and_b64 s[36:37], exec, s[70:71]
	s_mov_b64 s[72:73], 1
	v_cndmask_b32_e64 v8, v8, v7, s[34:35]
	s_mov_b64 s[70:71], 0
	v_cndmask_b32_e32 v5, v5, v18, vcc
	v_cndmask_b32_e32 v4, v4, v7, vcc
	v_cndmask_b32_e64 v15, v15, v18, s[34:35]
	s_mov_b64 vcc, s[36:37]
	s_waitcnt vmcnt(0)
	buffer_store_dword v11, v6, s[0:3], 0 offen offset:4
	buffer_store_dword v10, v6, s[0:3], 0 offen
	buffer_store_dword v13, v6, s[0:3], 0 offen offset:12
	buffer_store_dword v12, v6, s[0:3], 0 offen offset:8
	v_mov_b32_e32 v6, v24
	s_cbranch_vccnz .LBB12_1241
; %bb.1242:                             ;   in Loop: Header=BB12_1240 Depth=3
	s_and_saveexec_b64 s[70:71], s[68:69]
	s_cbranch_execz .LBB12_1278
; %bb.1243:                             ;   in Loop: Header=BB12_1240 Depth=3
	buffer_load_dword v11, off, s[0:3], s33 offset:224
	buffer_load_dword v12, off, s[0:3], s33 offset:240
	;; [unrolled: 1-line block ×8, first 2 shown]
	s_waitcnt vmcnt(7)
	v_lshlrev_b32_e32 v6, 16, v11
	s_waitcnt vmcnt(6)
	v_lshlrev_b32_e32 v24, 16, v12
	v_max_f32_e32 v24, v24, v24
	v_max_f32_e32 v6, v6, v6
	v_min_f32_e32 v25, v6, v24
	v_max_f32_e32 v6, v6, v24
	v_cndmask_b32_e64 v24, v6, v25, s[30:31]
	v_and_b32_e32 v6, 0x7f800000, v24
	v_cmp_ne_u32_e32 vcc, s92, v6
                                        ; implicit-def: $vgpr6
	s_and_saveexec_b64 s[34:35], vcc
	s_xor_b64 vcc, exec, s[34:35]
; %bb.1244:                             ;   in Loop: Header=BB12_1240 Depth=3
	v_bfe_u32 v6, v24, 16, 1
	v_add3_u32 v6, v24, v6, s93
                                        ; implicit-def: $vgpr24
; %bb.1245:                             ;   in Loop: Header=BB12_1240 Depth=3
	s_andn2_saveexec_b64 s[34:35], vcc
; %bb.1246:                             ;   in Loop: Header=BB12_1240 Depth=3
	v_or_b32_e32 v6, 0x10000, v24
	v_cmp_eq_u32_sdwa vcc, v24, v42 src0_sel:WORD_0 src1_sel:DWORD
	v_cndmask_b32_e32 v6, v6, v24, vcc
; %bb.1247:                             ;   in Loop: Header=BB12_1240 Depth=3
	s_or_b64 exec, exec, s[34:35]
	v_and_b32_e32 v11, 0xffff0000, v11
	v_and_b32_e32 v12, 0xffff0000, v12
	v_max_f32_e32 v12, v12, v12
	v_max_f32_e32 v11, v11, v11
	v_min_f32_e32 v24, v11, v12
	v_max_f32_e32 v11, v11, v12
	v_cndmask_b32_e64 v11, v11, v24, s[30:31]
	v_and_b32_e32 v12, 0x7f800000, v11
	v_cmp_ne_u32_e32 vcc, s92, v12
                                        ; implicit-def: $vgpr12
	s_and_saveexec_b64 s[34:35], vcc
	s_xor_b64 vcc, exec, s[34:35]
; %bb.1248:                             ;   in Loop: Header=BB12_1240 Depth=3
	v_bfe_u32 v12, v11, 16, 1
	v_add3_u32 v12, v11, v12, s93
                                        ; implicit-def: $vgpr11
; %bb.1249:                             ;   in Loop: Header=BB12_1240 Depth=3
	s_andn2_saveexec_b64 s[34:35], vcc
; %bb.1250:                             ;   in Loop: Header=BB12_1240 Depth=3
	v_or_b32_e32 v12, 0x10000, v11
	v_cmp_eq_u32_sdwa vcc, v11, v42 src0_sel:WORD_0 src1_sel:DWORD
	v_cndmask_b32_e32 v12, v12, v11, vcc
; %bb.1251:                             ;   in Loop: Header=BB12_1240 Depth=3
	s_or_b64 exec, exec, s[34:35]
	s_waitcnt vmcnt(5)
	v_lshlrev_b32_e32 v11, 16, v22
	s_waitcnt vmcnt(2)
	v_lshlrev_b32_e32 v24, 16, v23
	v_max_f32_e32 v24, v24, v24
	v_max_f32_e32 v11, v11, v11
	v_min_f32_e32 v25, v11, v24
	v_max_f32_e32 v11, v11, v24
	v_cndmask_b32_e64 v24, v11, v25, s[30:31]
	v_and_b32_e32 v11, 0x7f800000, v24
	v_cmp_ne_u32_e32 vcc, s92, v11
                                        ; implicit-def: $vgpr11
	s_and_saveexec_b64 s[34:35], vcc
	s_xor_b64 vcc, exec, s[34:35]
; %bb.1252:                             ;   in Loop: Header=BB12_1240 Depth=3
	v_bfe_u32 v11, v24, 16, 1
	v_add3_u32 v11, v24, v11, s93
                                        ; implicit-def: $vgpr24
; %bb.1253:                             ;   in Loop: Header=BB12_1240 Depth=3
	s_andn2_saveexec_b64 s[34:35], vcc
; %bb.1254:                             ;   in Loop: Header=BB12_1240 Depth=3
	v_or_b32_e32 v11, 0x10000, v24
	v_cmp_eq_u32_sdwa vcc, v24, v42 src0_sel:WORD_0 src1_sel:DWORD
	v_cndmask_b32_e32 v11, v11, v24, vcc
; %bb.1255:                             ;   in Loop: Header=BB12_1240 Depth=3
	s_or_b64 exec, exec, s[34:35]
	v_and_b32_e32 v22, 0xffff0000, v22
	v_and_b32_e32 v23, 0xffff0000, v23
	v_max_f32_e32 v23, v23, v23
	v_max_f32_e32 v22, v22, v22
	v_min_f32_e32 v24, v22, v23
	v_max_f32_e32 v22, v22, v23
	v_cndmask_b32_e64 v23, v22, v24, s[30:31]
	v_and_b32_e32 v22, 0x7f800000, v23
	v_cmp_ne_u32_e32 vcc, s92, v22
                                        ; implicit-def: $vgpr22
	s_and_saveexec_b64 s[34:35], vcc
	s_xor_b64 vcc, exec, s[34:35]
; %bb.1256:                             ;   in Loop: Header=BB12_1240 Depth=3
	v_bfe_u32 v22, v23, 16, 1
	v_add3_u32 v22, v23, v22, s93
                                        ; implicit-def: $vgpr23
; %bb.1257:                             ;   in Loop: Header=BB12_1240 Depth=3
	s_andn2_saveexec_b64 s[34:35], vcc
; %bb.1258:                             ;   in Loop: Header=BB12_1240 Depth=3
	v_or_b32_e32 v22, 0x10000, v23
	v_cmp_eq_u32_sdwa vcc, v23, v42 src0_sel:WORD_0 src1_sel:DWORD
	v_cndmask_b32_e32 v22, v22, v23, vcc
; %bb.1259:                             ;   in Loop: Header=BB12_1240 Depth=3
	s_or_b64 exec, exec, s[34:35]
	v_lshlrev_b32_e32 v23, 16, v13
	s_waitcnt vmcnt(1)
	v_lshlrev_b32_e32 v24, 16, v18
	v_max_f32_e32 v24, v24, v24
	v_max_f32_e32 v23, v23, v23
	v_min_f32_e32 v25, v23, v24
	v_max_f32_e32 v23, v23, v24
	v_cndmask_b32_e64 v24, v23, v25, s[30:31]
	v_and_b32_e32 v23, 0x7f800000, v24
	v_cmp_ne_u32_e32 vcc, s92, v23
                                        ; implicit-def: $vgpr23
	s_and_saveexec_b64 s[34:35], vcc
	s_xor_b64 vcc, exec, s[34:35]
; %bb.1260:                             ;   in Loop: Header=BB12_1240 Depth=3
	v_bfe_u32 v23, v24, 16, 1
	v_add3_u32 v23, v24, v23, s93
                                        ; implicit-def: $vgpr24
; %bb.1261:                             ;   in Loop: Header=BB12_1240 Depth=3
	s_andn2_saveexec_b64 s[34:35], vcc
; %bb.1262:                             ;   in Loop: Header=BB12_1240 Depth=3
	v_or_b32_e32 v23, 0x10000, v24
	v_cmp_eq_u32_sdwa vcc, v24, v42 src0_sel:WORD_0 src1_sel:DWORD
	v_cndmask_b32_e32 v23, v23, v24, vcc
; %bb.1263:                             ;   in Loop: Header=BB12_1240 Depth=3
	s_or_b64 exec, exec, s[34:35]
	v_and_b32_e32 v13, 0xffff0000, v13
	v_and_b32_e32 v18, 0xffff0000, v18
	v_max_f32_e32 v18, v18, v18
	v_max_f32_e32 v13, v13, v13
	v_min_f32_e32 v24, v13, v18
	v_max_f32_e32 v13, v13, v18
	v_cndmask_b32_e64 v18, v13, v24, s[30:31]
	v_and_b32_e32 v13, 0x7f800000, v18
	v_cmp_ne_u32_e32 vcc, s92, v13
                                        ; implicit-def: $vgpr13
	s_and_saveexec_b64 s[34:35], vcc
	s_xor_b64 vcc, exec, s[34:35]
; %bb.1264:                             ;   in Loop: Header=BB12_1240 Depth=3
	v_bfe_u32 v13, v18, 16, 1
	v_add3_u32 v13, v18, v13, s93
                                        ; implicit-def: $vgpr18
; %bb.1265:                             ;   in Loop: Header=BB12_1240 Depth=3
	s_andn2_saveexec_b64 s[34:35], vcc
; %bb.1266:                             ;   in Loop: Header=BB12_1240 Depth=3
	v_or_b32_e32 v13, 0x10000, v18
	v_cmp_eq_u32_sdwa vcc, v18, v42 src0_sel:WORD_0 src1_sel:DWORD
	v_cndmask_b32_e32 v13, v13, v18, vcc
; %bb.1267:                             ;   in Loop: Header=BB12_1240 Depth=3
	s_or_b64 exec, exec, s[34:35]
	v_lshlrev_b32_e32 v18, 16, v7
	s_waitcnt vmcnt(0)
	v_lshlrev_b32_e32 v24, 16, v10
	v_max_f32_e32 v24, v24, v24
	v_max_f32_e32 v18, v18, v18
	v_min_f32_e32 v25, v18, v24
	v_max_f32_e32 v18, v18, v24
	v_cndmask_b32_e64 v24, v18, v25, s[30:31]
	v_and_b32_e32 v18, 0x7f800000, v24
	v_cmp_ne_u32_e32 vcc, s92, v18
                                        ; implicit-def: $vgpr18
	s_and_saveexec_b64 s[34:35], vcc
	s_xor_b64 vcc, exec, s[34:35]
; %bb.1268:                             ;   in Loop: Header=BB12_1240 Depth=3
	v_bfe_u32 v18, v24, 16, 1
	v_add3_u32 v18, v24, v18, s93
                                        ; implicit-def: $vgpr24
; %bb.1269:                             ;   in Loop: Header=BB12_1240 Depth=3
	s_andn2_saveexec_b64 s[34:35], vcc
; %bb.1270:                             ;   in Loop: Header=BB12_1240 Depth=3
	v_or_b32_e32 v18, 0x10000, v24
	v_cmp_eq_u32_sdwa vcc, v24, v42 src0_sel:WORD_0 src1_sel:DWORD
	v_cndmask_b32_e32 v18, v18, v24, vcc
; %bb.1271:                             ;   in Loop: Header=BB12_1240 Depth=3
	s_or_b64 exec, exec, s[34:35]
	v_and_b32_e32 v7, 0xffff0000, v7
	v_and_b32_e32 v10, 0xffff0000, v10
	v_max_f32_e32 v10, v10, v10
	v_max_f32_e32 v7, v7, v7
	v_min_f32_e32 v24, v7, v10
	v_max_f32_e32 v7, v7, v10
	v_cndmask_b32_e64 v10, v7, v24, s[30:31]
	v_and_b32_e32 v7, 0x7f800000, v10
	v_cmp_ne_u32_e32 vcc, s92, v7
                                        ; implicit-def: $vgpr7
	s_and_saveexec_b64 s[34:35], vcc
	s_xor_b64 vcc, exec, s[34:35]
; %bb.1272:                             ;   in Loop: Header=BB12_1240 Depth=3
	v_bfe_u32 v7, v10, 16, 1
	v_add3_u32 v7, v10, v7, s93
                                        ; implicit-def: $vgpr10
; %bb.1273:                             ;   in Loop: Header=BB12_1240 Depth=3
	s_andn2_saveexec_b64 s[34:35], vcc
; %bb.1274:                             ;   in Loop: Header=BB12_1240 Depth=3
	v_or_b32_e32 v7, 0x10000, v10
	v_cmp_eq_u32_sdwa vcc, v10, v42 src0_sel:WORD_0 src1_sel:DWORD
	v_cndmask_b32_e32 v7, v7, v10, vcc
; %bb.1275:                             ;   in Loop: Header=BB12_1240 Depth=3
	s_or_b64 exec, exec, s[34:35]
	v_lshrrev_b32_e32 v10, 16, v11
	v_lshrrev_b32_e32 v6, 16, v6
	v_and_or_b32 v11, v22, s94, v10
	v_and_or_b32 v10, v12, s94, v6
	v_lshrrev_b32_e32 v6, 16, v23
	v_and_or_b32 v12, v13, s94, v6
	v_lshrrev_b32_e32 v6, 16, v18
	v_and_or_b32 v13, v7, s94, v6
	s_mov_b64 s[72:73], 0
	s_mov_b64 s[68:69], -1
	buffer_store_dword v11, off, s[0:3], s33 offset:228
	buffer_store_dword v10, off, s[0:3], s33 offset:224
	;; [unrolled: 1-line block ×4, first 2 shown]
.LBB12_1276:                            ;   Parent Loop BB12_47 Depth=1
                                        ;     Parent Loop BB12_955 Depth=2
                                        ;       Parent Loop BB12_1240 Depth=3
                                        ; =>      This Inner Loop Header: Depth=4
	s_cmp_eq_u32 s72, 1
	s_cselect_b64 s[34:35], -1, 0
	v_cndmask_b32_e64 v7, v3, v9, s[34:35]
	v_cndmask_b32_e64 v6, v0, v2, s[34:35]
	global_store_dwordx4 v[6:7], v[10:13], off glc slc
	v_add_co_u32_e32 v6, vcc, 0x400, v6
	s_cmp_eq_u32 s72, 0
	v_addc_co_u32_e32 v7, vcc, 0, v7, vcc
	s_cselect_b64 vcc, -1, 0
	s_and_b64 s[36:37], exec, s[68:69]
	s_mov_b64 s[72:73], 1
	v_cndmask_b32_e64 v2, v2, v6, s[34:35]
	s_mov_b64 s[68:69], 0
	v_cndmask_b32_e64 v9, v9, v7, s[34:35]
	v_cndmask_b32_e32 v3, v3, v7, vcc
	v_cndmask_b32_e32 v0, v0, v6, vcc
	s_mov_b64 vcc, s[36:37]
	s_cbranch_vccnz .LBB12_1276
; %bb.1277:                             ;   in Loop: Header=BB12_1240 Depth=3
	v_accvgpr_read_b32 v6, a32
	v_add_co_u32_e32 v0, vcc, v0, v6
	v_accvgpr_read_b32 v7, a35
	v_addc_co_u32_e32 v3, vcc, v3, v7, vcc
	v_add_co_u32_e32 v2, vcc, v2, v6
	v_addc_co_u32_e32 v9, vcc, v9, v7, vcc
.LBB12_1278:                            ;   in Loop: Header=BB12_1240 Depth=3
	s_or_b64 exec, exec, s[70:71]
	v_accvgpr_read_b32 v6, a32
	v_add_co_u32_e32 v4, vcc, v4, v6
	v_accvgpr_read_b32 v7, a35
	v_addc_co_u32_e32 v5, vcc, v5, v7, vcc
	v_add_co_u32_e32 v8, vcc, v8, v6
	v_accvgpr_read_b32 v6, a17
	v_sub_u32_e32 v16, v16, v6
	v_addc_co_u32_e32 v15, vcc, v15, v7, vcc
	v_cmp_lt_i32_e64 s[68:69], 15, v16
	s_and_saveexec_b64 s[70:71], s[68:69]
	s_cbranch_execz .LBB12_1281
; %bb.1279:                             ;   in Loop: Header=BB12_1240 Depth=3
	v_lshrrev_b32_e64 v6, 6, s33
	v_add_u32_e32 v6, 0xe0, v6
	s_mov_b64 s[74:75], 0
	s_mov_b64 s[72:73], -1
	v_accvgpr_read_b32 v24, a30
.LBB12_1280:                            ;   Parent Loop BB12_47 Depth=1
                                        ;     Parent Loop BB12_955 Depth=2
                                        ;       Parent Loop BB12_1240 Depth=3
                                        ; =>      This Inner Loop Header: Depth=4
	s_cmp_eq_u32 s74, 1
	s_cselect_b64 s[34:35], -1, 0
	v_cndmask_b32_e64 v23, v5, v15, s[34:35]
	v_cndmask_b32_e64 v22, v4, v8, s[34:35]
	global_load_dwordx4 v[10:13], v[22:23], off glc slc
	v_add_co_u32_e32 v7, vcc, s79, v22
	s_cmp_eq_u32 s74, 0
	v_addc_co_u32_e32 v18, vcc, 0, v23, vcc
	s_cselect_b64 vcc, -1, 0
	s_and_b64 s[36:37], exec, s[72:73]
	s_mov_b64 s[74:75], 1
	v_cndmask_b32_e64 v8, v8, v7, s[34:35]
	s_mov_b64 s[72:73], 0
	v_cndmask_b32_e32 v5, v5, v18, vcc
	v_cndmask_b32_e32 v4, v4, v7, vcc
	v_cndmask_b32_e64 v15, v15, v18, s[34:35]
	s_mov_b64 vcc, s[36:37]
	s_waitcnt vmcnt(0)
	buffer_store_dword v11, v6, s[0:3], 0 offen offset:4
	buffer_store_dword v10, v6, s[0:3], 0 offen
	buffer_store_dword v13, v6, s[0:3], 0 offen offset:12
	buffer_store_dword v12, v6, s[0:3], 0 offen offset:8
	v_mov_b32_e32 v6, v24
	s_cbranch_vccnz .LBB12_1280
.LBB12_1281:                            ;   in Loop: Header=BB12_1240 Depth=3
	s_or_b64 exec, exec, s[70:71]
	buffer_load_dword v11, off, s[0:3], s33 offset:192
	buffer_load_dword v12, off, s[0:3], s33 offset:208
	buffer_load_dword v22, off, s[0:3], s33 offset:196
	buffer_load_dword v13, off, s[0:3], s33 offset:200
	buffer_load_dword v7, off, s[0:3], s33 offset:204
	buffer_load_dword v23, off, s[0:3], s33 offset:212
	buffer_load_dword v18, off, s[0:3], s33 offset:216
	buffer_load_dword v10, off, s[0:3], s33 offset:220
	s_waitcnt vmcnt(7)
	v_lshlrev_b32_e32 v6, 16, v11
	s_waitcnt vmcnt(6)
	v_lshlrev_b32_e32 v24, 16, v12
	v_max_f32_e32 v24, v24, v24
	v_max_f32_e32 v6, v6, v6
	v_min_f32_e32 v25, v6, v24
	v_max_f32_e32 v6, v6, v24
	v_cndmask_b32_e64 v24, v6, v25, s[30:31]
	v_and_b32_e32 v6, 0x7f800000, v24
	v_cmp_ne_u32_e32 vcc, s92, v6
                                        ; implicit-def: $vgpr6
	s_and_saveexec_b64 s[34:35], vcc
	s_xor_b64 vcc, exec, s[34:35]
; %bb.1282:                             ;   in Loop: Header=BB12_1240 Depth=3
	v_bfe_u32 v6, v24, 16, 1
	v_add3_u32 v6, v24, v6, s93
                                        ; implicit-def: $vgpr24
; %bb.1283:                             ;   in Loop: Header=BB12_1240 Depth=3
	s_andn2_saveexec_b64 s[34:35], vcc
; %bb.1284:                             ;   in Loop: Header=BB12_1240 Depth=3
	v_or_b32_e32 v6, 0x10000, v24
	v_cmp_eq_u32_sdwa vcc, v24, v42 src0_sel:WORD_0 src1_sel:DWORD
	v_cndmask_b32_e32 v6, v6, v24, vcc
; %bb.1285:                             ;   in Loop: Header=BB12_1240 Depth=3
	s_or_b64 exec, exec, s[34:35]
	v_and_b32_e32 v11, 0xffff0000, v11
	v_and_b32_e32 v12, 0xffff0000, v12
	v_max_f32_e32 v12, v12, v12
	v_max_f32_e32 v11, v11, v11
	v_min_f32_e32 v24, v11, v12
	v_max_f32_e32 v11, v11, v12
	v_cndmask_b32_e64 v11, v11, v24, s[30:31]
	v_and_b32_e32 v12, 0x7f800000, v11
	v_cmp_ne_u32_e32 vcc, s92, v12
                                        ; implicit-def: $vgpr12
	s_and_saveexec_b64 s[34:35], vcc
	s_xor_b64 vcc, exec, s[34:35]
; %bb.1286:                             ;   in Loop: Header=BB12_1240 Depth=3
	v_bfe_u32 v12, v11, 16, 1
	v_add3_u32 v12, v11, v12, s93
                                        ; implicit-def: $vgpr11
; %bb.1287:                             ;   in Loop: Header=BB12_1240 Depth=3
	s_andn2_saveexec_b64 s[34:35], vcc
; %bb.1288:                             ;   in Loop: Header=BB12_1240 Depth=3
	v_or_b32_e32 v12, 0x10000, v11
	v_cmp_eq_u32_sdwa vcc, v11, v42 src0_sel:WORD_0 src1_sel:DWORD
	v_cndmask_b32_e32 v12, v12, v11, vcc
; %bb.1289:                             ;   in Loop: Header=BB12_1240 Depth=3
	s_or_b64 exec, exec, s[34:35]
	s_waitcnt vmcnt(5)
	v_lshlrev_b32_e32 v11, 16, v22
	s_waitcnt vmcnt(2)
	v_lshlrev_b32_e32 v24, 16, v23
	v_max_f32_e32 v24, v24, v24
	v_max_f32_e32 v11, v11, v11
	v_min_f32_e32 v25, v11, v24
	v_max_f32_e32 v11, v11, v24
	v_cndmask_b32_e64 v24, v11, v25, s[30:31]
	v_and_b32_e32 v11, 0x7f800000, v24
	v_cmp_ne_u32_e32 vcc, s92, v11
                                        ; implicit-def: $vgpr11
	s_and_saveexec_b64 s[34:35], vcc
	s_xor_b64 vcc, exec, s[34:35]
; %bb.1290:                             ;   in Loop: Header=BB12_1240 Depth=3
	v_bfe_u32 v11, v24, 16, 1
	v_add3_u32 v11, v24, v11, s93
                                        ; implicit-def: $vgpr24
; %bb.1291:                             ;   in Loop: Header=BB12_1240 Depth=3
	s_andn2_saveexec_b64 s[34:35], vcc
; %bb.1292:                             ;   in Loop: Header=BB12_1240 Depth=3
	v_or_b32_e32 v11, 0x10000, v24
	v_cmp_eq_u32_sdwa vcc, v24, v42 src0_sel:WORD_0 src1_sel:DWORD
	v_cndmask_b32_e32 v11, v11, v24, vcc
; %bb.1293:                             ;   in Loop: Header=BB12_1240 Depth=3
	s_or_b64 exec, exec, s[34:35]
	v_and_b32_e32 v22, 0xffff0000, v22
	v_and_b32_e32 v23, 0xffff0000, v23
	v_max_f32_e32 v23, v23, v23
	v_max_f32_e32 v22, v22, v22
	v_min_f32_e32 v24, v22, v23
	v_max_f32_e32 v22, v22, v23
	v_cndmask_b32_e64 v23, v22, v24, s[30:31]
	v_and_b32_e32 v22, 0x7f800000, v23
	v_cmp_ne_u32_e32 vcc, s92, v22
                                        ; implicit-def: $vgpr22
	s_and_saveexec_b64 s[34:35], vcc
	s_xor_b64 vcc, exec, s[34:35]
; %bb.1294:                             ;   in Loop: Header=BB12_1240 Depth=3
	v_bfe_u32 v22, v23, 16, 1
	v_add3_u32 v22, v23, v22, s93
                                        ; implicit-def: $vgpr23
; %bb.1295:                             ;   in Loop: Header=BB12_1240 Depth=3
	s_andn2_saveexec_b64 s[34:35], vcc
; %bb.1296:                             ;   in Loop: Header=BB12_1240 Depth=3
	v_or_b32_e32 v22, 0x10000, v23
	v_cmp_eq_u32_sdwa vcc, v23, v42 src0_sel:WORD_0 src1_sel:DWORD
	v_cndmask_b32_e32 v22, v22, v23, vcc
; %bb.1297:                             ;   in Loop: Header=BB12_1240 Depth=3
	s_or_b64 exec, exec, s[34:35]
	v_lshlrev_b32_e32 v23, 16, v13
	s_waitcnt vmcnt(1)
	v_lshlrev_b32_e32 v24, 16, v18
	v_max_f32_e32 v24, v24, v24
	v_max_f32_e32 v23, v23, v23
	v_min_f32_e32 v25, v23, v24
	v_max_f32_e32 v23, v23, v24
	v_cndmask_b32_e64 v24, v23, v25, s[30:31]
	v_and_b32_e32 v23, 0x7f800000, v24
	v_cmp_ne_u32_e32 vcc, s92, v23
                                        ; implicit-def: $vgpr23
	s_and_saveexec_b64 s[34:35], vcc
	s_xor_b64 vcc, exec, s[34:35]
; %bb.1298:                             ;   in Loop: Header=BB12_1240 Depth=3
	v_bfe_u32 v23, v24, 16, 1
	v_add3_u32 v23, v24, v23, s93
                                        ; implicit-def: $vgpr24
; %bb.1299:                             ;   in Loop: Header=BB12_1240 Depth=3
	s_andn2_saveexec_b64 s[34:35], vcc
; %bb.1300:                             ;   in Loop: Header=BB12_1240 Depth=3
	v_or_b32_e32 v23, 0x10000, v24
	v_cmp_eq_u32_sdwa vcc, v24, v42 src0_sel:WORD_0 src1_sel:DWORD
	v_cndmask_b32_e32 v23, v23, v24, vcc
; %bb.1301:                             ;   in Loop: Header=BB12_1240 Depth=3
	s_or_b64 exec, exec, s[34:35]
	v_and_b32_e32 v13, 0xffff0000, v13
	v_and_b32_e32 v18, 0xffff0000, v18
	v_max_f32_e32 v18, v18, v18
	v_max_f32_e32 v13, v13, v13
	v_min_f32_e32 v24, v13, v18
	v_max_f32_e32 v13, v13, v18
	v_cndmask_b32_e64 v18, v13, v24, s[30:31]
	v_and_b32_e32 v13, 0x7f800000, v18
	v_cmp_ne_u32_e32 vcc, s92, v13
                                        ; implicit-def: $vgpr13
	s_and_saveexec_b64 s[34:35], vcc
	s_xor_b64 vcc, exec, s[34:35]
; %bb.1302:                             ;   in Loop: Header=BB12_1240 Depth=3
	v_bfe_u32 v13, v18, 16, 1
	v_add3_u32 v13, v18, v13, s93
                                        ; implicit-def: $vgpr18
; %bb.1303:                             ;   in Loop: Header=BB12_1240 Depth=3
	s_andn2_saveexec_b64 s[34:35], vcc
; %bb.1304:                             ;   in Loop: Header=BB12_1240 Depth=3
	v_or_b32_e32 v13, 0x10000, v18
	v_cmp_eq_u32_sdwa vcc, v18, v42 src0_sel:WORD_0 src1_sel:DWORD
	v_cndmask_b32_e32 v13, v13, v18, vcc
; %bb.1305:                             ;   in Loop: Header=BB12_1240 Depth=3
	s_or_b64 exec, exec, s[34:35]
	v_lshlrev_b32_e32 v18, 16, v7
	s_waitcnt vmcnt(0)
	v_lshlrev_b32_e32 v24, 16, v10
	v_max_f32_e32 v24, v24, v24
	v_max_f32_e32 v18, v18, v18
	v_min_f32_e32 v25, v18, v24
	v_max_f32_e32 v18, v18, v24
	v_cndmask_b32_e64 v24, v18, v25, s[30:31]
	v_and_b32_e32 v18, 0x7f800000, v24
	v_cmp_ne_u32_e32 vcc, s92, v18
                                        ; implicit-def: $vgpr18
	s_and_saveexec_b64 s[34:35], vcc
	s_xor_b64 vcc, exec, s[34:35]
; %bb.1306:                             ;   in Loop: Header=BB12_1240 Depth=3
	v_bfe_u32 v18, v24, 16, 1
	v_add3_u32 v18, v24, v18, s93
                                        ; implicit-def: $vgpr24
; %bb.1307:                             ;   in Loop: Header=BB12_1240 Depth=3
	s_andn2_saveexec_b64 s[34:35], vcc
; %bb.1308:                             ;   in Loop: Header=BB12_1240 Depth=3
	v_or_b32_e32 v18, 0x10000, v24
	v_cmp_eq_u32_sdwa vcc, v24, v42 src0_sel:WORD_0 src1_sel:DWORD
	v_cndmask_b32_e32 v18, v18, v24, vcc
; %bb.1309:                             ;   in Loop: Header=BB12_1240 Depth=3
	s_or_b64 exec, exec, s[34:35]
	v_and_b32_e32 v7, 0xffff0000, v7
	v_and_b32_e32 v10, 0xffff0000, v10
	v_max_f32_e32 v10, v10, v10
	v_max_f32_e32 v7, v7, v7
	v_min_f32_e32 v24, v7, v10
	v_max_f32_e32 v7, v7, v10
	v_cndmask_b32_e64 v10, v7, v24, s[30:31]
	v_and_b32_e32 v7, 0x7f800000, v10
	v_cmp_ne_u32_e32 vcc, s92, v7
                                        ; implicit-def: $vgpr7
	s_and_saveexec_b64 s[34:35], vcc
	s_xor_b64 vcc, exec, s[34:35]
; %bb.1310:                             ;   in Loop: Header=BB12_1240 Depth=3
	v_bfe_u32 v7, v10, 16, 1
	v_add3_u32 v7, v10, v7, s93
                                        ; implicit-def: $vgpr10
; %bb.1311:                             ;   in Loop: Header=BB12_1240 Depth=3
	s_andn2_saveexec_b64 s[34:35], vcc
; %bb.1312:                             ;   in Loop: Header=BB12_1240 Depth=3
	v_or_b32_e32 v7, 0x10000, v10
	v_cmp_eq_u32_sdwa vcc, v10, v42 src0_sel:WORD_0 src1_sel:DWORD
	v_cndmask_b32_e32 v7, v7, v10, vcc
; %bb.1313:                             ;   in Loop: Header=BB12_1240 Depth=3
	s_or_b64 exec, exec, s[34:35]
	v_lshrrev_b32_e32 v10, 16, v11
	v_lshrrev_b32_e32 v6, 16, v6
	v_and_or_b32 v11, v22, s94, v10
	v_and_or_b32 v10, v12, s94, v6
	v_lshrrev_b32_e32 v6, 16, v23
	v_and_or_b32 v12, v13, s94, v6
	v_lshrrev_b32_e32 v6, 16, v18
	v_and_or_b32 v13, v7, s94, v6
	s_mov_b64 s[72:73], 0
	s_mov_b64 s[70:71], -1
	buffer_store_dword v11, off, s[0:3], s33 offset:196
	buffer_store_dword v10, off, s[0:3], s33 offset:192
	;; [unrolled: 1-line block ×4, first 2 shown]
.LBB12_1314:                            ;   Parent Loop BB12_47 Depth=1
                                        ;     Parent Loop BB12_955 Depth=2
                                        ;       Parent Loop BB12_1240 Depth=3
                                        ; =>      This Inner Loop Header: Depth=4
	s_cmp_eq_u32 s72, 1
	s_cselect_b64 s[34:35], -1, 0
	v_cndmask_b32_e64 v7, v3, v9, s[34:35]
	v_cndmask_b32_e64 v6, v0, v2, s[34:35]
	global_store_dwordx4 v[6:7], v[10:13], off glc slc
	v_add_co_u32_e32 v6, vcc, 0x400, v6
	s_cmp_eq_u32 s72, 0
	v_addc_co_u32_e32 v7, vcc, 0, v7, vcc
	s_cselect_b64 vcc, -1, 0
	s_and_b64 s[36:37], exec, s[70:71]
	s_mov_b64 s[72:73], 1
	v_cndmask_b32_e64 v2, v2, v6, s[34:35]
	s_mov_b64 s[70:71], 0
	v_cndmask_b32_e64 v9, v9, v7, s[34:35]
	v_cndmask_b32_e32 v3, v3, v7, vcc
	v_cndmask_b32_e32 v0, v0, v6, vcc
	s_mov_b64 vcc, s[36:37]
	s_cbranch_vccnz .LBB12_1314
; %bb.1315:                             ;   in Loop: Header=BB12_1240 Depth=3
	v_accvgpr_read_b32 v6, a22
	v_sub_u32_e32 v21, v21, v6
	s_and_saveexec_b64 s[34:35], s[68:69]
	s_cbranch_execz .LBB12_1239
; %bb.1316:                             ;   in Loop: Header=BB12_1240 Depth=3
	v_accvgpr_read_b32 v6, a32
	v_add_co_u32_e32 v0, vcc, v0, v6
	v_accvgpr_read_b32 v7, a35
	v_addc_co_u32_e32 v3, vcc, v3, v7, vcc
	v_add_co_u32_e32 v2, vcc, v2, v6
	v_addc_co_u32_e32 v9, vcc, v9, v7, vcc
	v_add_co_u32_e32 v4, vcc, v4, v6
	;; [unrolled: 2-line block ×3, first 2 shown]
	v_accvgpr_read_b32 v6, a17
	v_sub_u32_e32 v16, v16, v6
	v_accvgpr_read_b32 v6, a22
	v_addc_co_u32_e32 v15, vcc, v15, v7, vcc
	v_sub_u32_e32 v21, v21, v6
	s_branch .LBB12_1239
.LBB12_1317:                            ;   in Loop: Header=BB12_955 Depth=2
	s_or_b64 exec, exec, s[64:65]
	s_and_b64 s[30:31], s[66:67], exec
.LBB12_1318:                            ;   in Loop: Header=BB12_955 Depth=2
	s_or_b64 exec, exec, s[62:63]
	s_and_saveexec_b64 s[36:37], s[30:31]
	s_cbranch_execz .LBB12_1353
; %bb.1319:                             ;   in Loop: Header=BB12_955 Depth=2
	buffer_load_dword v7, off, s[0:3], s33 offset:224
	buffer_load_dword v8, off, s[0:3], s33 offset:240
	;; [unrolled: 1-line block ×8, first 2 shown]
	s_waitcnt vmcnt(0)
	v_lshlrev_b32_e32 v4, 16, v7
	v_lshlrev_b32_e32 v15, 16, v8
	v_max_f32_e32 v15, v15, v15
	v_max_f32_e32 v4, v4, v4
	v_min_f32_e32 v16, v4, v15
	v_max_f32_e32 v4, v4, v15
	v_accvgpr_read_b32 v15, a1
	v_cmp_eq_u16_e32 vcc, 0, v15
	v_cndmask_b32_e32 v15, v4, v16, vcc
	v_and_b32_e32 v4, 0x7f800000, v15
	v_cmp_ne_u32_e64 s[30:31], s92, v4
                                        ; implicit-def: $vgpr4
	s_and_saveexec_b64 s[34:35], s[30:31]
	s_xor_b64 s[30:31], exec, s[34:35]
; %bb.1320:                             ;   in Loop: Header=BB12_955 Depth=2
	v_bfe_u32 v4, v15, 16, 1
	v_add3_u32 v4, v15, v4, s93
                                        ; implicit-def: $vgpr15
; %bb.1321:                             ;   in Loop: Header=BB12_955 Depth=2
	s_andn2_saveexec_b64 s[34:35], s[30:31]
; %bb.1322:                             ;   in Loop: Header=BB12_955 Depth=2
	v_or_b32_e32 v4, 0x10000, v15
	v_cmp_eq_u32_sdwa s[30:31], v15, v42 src0_sel:WORD_0 src1_sel:DWORD
	v_cndmask_b32_e64 v4, v4, v15, s[30:31]
; %bb.1323:                             ;   in Loop: Header=BB12_955 Depth=2
	s_or_b64 exec, exec, s[34:35]
	v_and_b32_e32 v7, 0xffff0000, v7
	v_and_b32_e32 v8, 0xffff0000, v8
	v_max_f32_e32 v8, v8, v8
	v_max_f32_e32 v7, v7, v7
	v_min_f32_e32 v15, v7, v8
	v_max_f32_e32 v7, v7, v8
	v_cndmask_b32_e32 v8, v7, v15, vcc
	v_and_b32_e32 v7, 0x7f800000, v8
	v_cmp_ne_u32_e64 s[30:31], s92, v7
                                        ; implicit-def: $vgpr7
	s_and_saveexec_b64 s[34:35], s[30:31]
	s_xor_b64 s[30:31], exec, s[34:35]
; %bb.1324:                             ;   in Loop: Header=BB12_955 Depth=2
	v_bfe_u32 v7, v8, 16, 1
	v_add3_u32 v7, v8, v7, s93
                                        ; implicit-def: $vgpr8
; %bb.1325:                             ;   in Loop: Header=BB12_955 Depth=2
	s_andn2_saveexec_b64 s[34:35], s[30:31]
; %bb.1326:                             ;   in Loop: Header=BB12_955 Depth=2
	v_or_b32_e32 v7, 0x10000, v8
	v_cmp_eq_u32_sdwa s[30:31], v8, v42 src0_sel:WORD_0 src1_sel:DWORD
	v_cndmask_b32_e64 v7, v7, v8, s[30:31]
; %bb.1327:                             ;   in Loop: Header=BB12_955 Depth=2
	s_or_b64 exec, exec, s[34:35]
	v_lshlrev_b32_e32 v8, 16, v12
	v_lshlrev_b32_e32 v15, 16, v13
	v_max_f32_e32 v15, v15, v15
	v_max_f32_e32 v8, v8, v8
	v_min_f32_e32 v16, v8, v15
	v_max_f32_e32 v8, v8, v15
	v_cndmask_b32_e32 v15, v8, v16, vcc
	v_and_b32_e32 v8, 0x7f800000, v15
	v_cmp_ne_u32_e64 s[30:31], s92, v8
                                        ; implicit-def: $vgpr8
	s_and_saveexec_b64 s[34:35], s[30:31]
	s_xor_b64 s[30:31], exec, s[34:35]
; %bb.1328:                             ;   in Loop: Header=BB12_955 Depth=2
	v_bfe_u32 v8, v15, 16, 1
	v_add3_u32 v8, v15, v8, s93
                                        ; implicit-def: $vgpr15
; %bb.1329:                             ;   in Loop: Header=BB12_955 Depth=2
	s_andn2_saveexec_b64 s[34:35], s[30:31]
; %bb.1330:                             ;   in Loop: Header=BB12_955 Depth=2
	v_or_b32_e32 v8, 0x10000, v15
	v_cmp_eq_u32_sdwa s[30:31], v15, v42 src0_sel:WORD_0 src1_sel:DWORD
	v_cndmask_b32_e64 v8, v8, v15, s[30:31]
; %bb.1331:                             ;   in Loop: Header=BB12_955 Depth=2
	s_or_b64 exec, exec, s[34:35]
	v_and_b32_e32 v12, 0xffff0000, v12
	v_and_b32_e32 v13, 0xffff0000, v13
	v_max_f32_e32 v13, v13, v13
	v_max_f32_e32 v12, v12, v12
	v_min_f32_e32 v15, v12, v13
	v_max_f32_e32 v12, v12, v13
	v_cndmask_b32_e32 v13, v12, v15, vcc
	v_and_b32_e32 v12, 0x7f800000, v13
	v_cmp_ne_u32_e64 s[30:31], s92, v12
                                        ; implicit-def: $vgpr12
	s_and_saveexec_b64 s[34:35], s[30:31]
	s_xor_b64 s[30:31], exec, s[34:35]
; %bb.1332:                             ;   in Loop: Header=BB12_955 Depth=2
	v_bfe_u32 v12, v13, 16, 1
	v_add3_u32 v12, v13, v12, s93
                                        ; implicit-def: $vgpr13
; %bb.1333:                             ;   in Loop: Header=BB12_955 Depth=2
	s_andn2_saveexec_b64 s[34:35], s[30:31]
; %bb.1334:                             ;   in Loop: Header=BB12_955 Depth=2
	v_or_b32_e32 v12, 0x10000, v13
	v_cmp_eq_u32_sdwa s[30:31], v13, v42 src0_sel:WORD_0 src1_sel:DWORD
	v_cndmask_b32_e64 v12, v12, v13, s[30:31]
; %bb.1335:                             ;   in Loop: Header=BB12_955 Depth=2
	s_or_b64 exec, exec, s[34:35]
	v_lshlrev_b32_e32 v13, 16, v10
	v_lshlrev_b32_e32 v15, 16, v11
	v_max_f32_e32 v15, v15, v15
	v_max_f32_e32 v13, v13, v13
	v_min_f32_e32 v16, v13, v15
	v_max_f32_e32 v13, v13, v15
	v_cndmask_b32_e32 v15, v13, v16, vcc
	v_and_b32_e32 v13, 0x7f800000, v15
	v_cmp_ne_u32_e64 s[30:31], s92, v13
                                        ; implicit-def: $vgpr13
	s_and_saveexec_b64 s[34:35], s[30:31]
	s_xor_b64 s[30:31], exec, s[34:35]
; %bb.1336:                             ;   in Loop: Header=BB12_955 Depth=2
	v_bfe_u32 v13, v15, 16, 1
	v_add3_u32 v13, v15, v13, s93
                                        ; implicit-def: $vgpr15
; %bb.1337:                             ;   in Loop: Header=BB12_955 Depth=2
	s_andn2_saveexec_b64 s[34:35], s[30:31]
; %bb.1338:                             ;   in Loop: Header=BB12_955 Depth=2
	v_or_b32_e32 v13, 0x10000, v15
	v_cmp_eq_u32_sdwa s[30:31], v15, v42 src0_sel:WORD_0 src1_sel:DWORD
	v_cndmask_b32_e64 v13, v13, v15, s[30:31]
; %bb.1339:                             ;   in Loop: Header=BB12_955 Depth=2
	s_or_b64 exec, exec, s[34:35]
	v_and_b32_e32 v10, 0xffff0000, v10
	v_and_b32_e32 v11, 0xffff0000, v11
	v_max_f32_e32 v11, v11, v11
	v_max_f32_e32 v10, v10, v10
	v_min_f32_e32 v15, v10, v11
	v_max_f32_e32 v10, v10, v11
	v_cndmask_b32_e32 v10, v10, v15, vcc
	v_and_b32_e32 v11, 0x7f800000, v10
	v_cmp_ne_u32_e64 s[30:31], s92, v11
                                        ; implicit-def: $vgpr15
	s_and_saveexec_b64 s[34:35], s[30:31]
	s_xor_b64 s[30:31], exec, s[34:35]
; %bb.1340:                             ;   in Loop: Header=BB12_955 Depth=2
	v_bfe_u32 v11, v10, 16, 1
	v_add3_u32 v15, v10, v11, s93
                                        ; implicit-def: $vgpr10
; %bb.1341:                             ;   in Loop: Header=BB12_955 Depth=2
	s_andn2_saveexec_b64 s[34:35], s[30:31]
; %bb.1342:                             ;   in Loop: Header=BB12_955 Depth=2
	v_or_b32_e32 v11, 0x10000, v10
	v_cmp_eq_u32_sdwa s[30:31], v10, v42 src0_sel:WORD_0 src1_sel:DWORD
	v_cndmask_b32_e64 v15, v11, v10, s[30:31]
; %bb.1343:                             ;   in Loop: Header=BB12_955 Depth=2
	s_or_b64 exec, exec, s[34:35]
	v_lshlrev_b32_e32 v10, 16, v5
	v_lshlrev_b32_e32 v11, 16, v6
	v_max_f32_e32 v11, v11, v11
	v_max_f32_e32 v10, v10, v10
	v_min_f32_e32 v16, v10, v11
	v_max_f32_e32 v10, v10, v11
	v_cndmask_b32_e32 v10, v10, v16, vcc
	v_and_b32_e32 v11, 0x7f800000, v10
	v_cmp_ne_u32_e64 s[30:31], s92, v11
                                        ; implicit-def: $vgpr16
	s_and_saveexec_b64 s[34:35], s[30:31]
	s_xor_b64 s[30:31], exec, s[34:35]
; %bb.1344:                             ;   in Loop: Header=BB12_955 Depth=2
	v_bfe_u32 v11, v10, 16, 1
	v_add3_u32 v16, v10, v11, s93
                                        ; implicit-def: $vgpr10
; %bb.1345:                             ;   in Loop: Header=BB12_955 Depth=2
	s_andn2_saveexec_b64 s[34:35], s[30:31]
; %bb.1346:                             ;   in Loop: Header=BB12_955 Depth=2
	v_or_b32_e32 v11, 0x10000, v10
	v_cmp_eq_u32_sdwa s[30:31], v10, v42 src0_sel:WORD_0 src1_sel:DWORD
	v_cndmask_b32_e64 v16, v11, v10, s[30:31]
; %bb.1347:                             ;   in Loop: Header=BB12_955 Depth=2
	s_or_b64 exec, exec, s[34:35]
	v_and_b32_e32 v5, 0xffff0000, v5
	v_and_b32_e32 v6, 0xffff0000, v6
	v_max_f32_e32 v6, v6, v6
	v_max_f32_e32 v5, v5, v5
	v_min_f32_e32 v10, v5, v6
	v_max_f32_e32 v5, v5, v6
	v_cndmask_b32_e32 v6, v5, v10, vcc
	v_and_b32_e32 v5, 0x7f800000, v6
	v_cmp_ne_u32_e32 vcc, s92, v5
                                        ; implicit-def: $vgpr5
	s_and_saveexec_b64 s[30:31], vcc
	s_xor_b64 vcc, exec, s[30:31]
; %bb.1348:                             ;   in Loop: Header=BB12_955 Depth=2
	v_bfe_u32 v5, v6, 16, 1
	v_add3_u32 v5, v6, v5, s93
                                        ; implicit-def: $vgpr6
; %bb.1349:                             ;   in Loop: Header=BB12_955 Depth=2
	s_andn2_saveexec_b64 s[30:31], vcc
; %bb.1350:                             ;   in Loop: Header=BB12_955 Depth=2
	v_or_b32_e32 v5, 0x10000, v6
	v_cmp_eq_u32_sdwa vcc, v6, v42 src0_sel:WORD_0 src1_sel:DWORD
	v_cndmask_b32_e32 v5, v5, v6, vcc
; %bb.1351:                             ;   in Loop: Header=BB12_955 Depth=2
	s_or_b64 exec, exec, s[30:31]
	v_lshrrev_b32_e32 v4, 16, v4
	v_lshrrev_b32_e32 v6, 16, v8
	v_and_or_b32 v10, v7, s94, v4
	v_lshrrev_b32_e32 v4, 16, v13
	v_and_or_b32 v11, v12, s94, v6
	v_and_or_b32 v12, v15, s94, v4
	v_lshrrev_b32_e32 v4, 16, v16
	v_and_or_b32 v13, v5, s94, v4
	s_mov_b64 s[64:65], 0
	s_mov_b64 s[62:63], -1
.LBB12_1352:                            ;   Parent Loop BB12_47 Depth=1
                                        ;     Parent Loop BB12_955 Depth=2
                                        ; =>    This Inner Loop Header: Depth=3
	s_cmp_eq_u32 s64, 1
	s_cselect_b64 s[30:31], -1, 0
	v_cndmask_b32_e64 v5, v3, v9, s[30:31]
	v_cndmask_b32_e64 v4, v0, v2, s[30:31]
	global_store_dwordx4 v[4:5], v[10:13], off glc slc
	v_add_co_u32_e32 v4, vcc, 0x400, v4
	s_cmp_eq_u32 s64, 0
	v_addc_co_u32_e32 v5, vcc, 0, v5, vcc
	s_cselect_b64 vcc, -1, 0
	s_and_b64 s[34:35], exec, s[62:63]
	s_mov_b64 s[64:65], 1
	v_cndmask_b32_e64 v2, v2, v4, s[30:31]
	s_mov_b64 s[62:63], 0
	v_cndmask_b32_e64 v9, v9, v5, s[30:31]
	v_cndmask_b32_e32 v3, v3, v5, vcc
	v_cndmask_b32_e32 v0, v0, v4, vcc
	s_mov_b64 vcc, s[34:35]
	s_cbranch_vccnz .LBB12_1352
.LBB12_1353:                            ;   in Loop: Header=BB12_955 Depth=2
	s_or_b64 exec, exec, s[36:37]
	v_and_b32_e32 v0, 14, v57
	v_cndmask_b32_e64 v16, v20, v0, s[28:29]
	v_cmp_ne_u32_e32 vcc, 0, v16
	s_mov_b64 s[30:31], s[58:59]
                                        ; implicit-def: $vgpr6
                                        ; implicit-def: $vgpr18
                                        ; implicit-def: $vgpr2
	s_and_saveexec_b64 s[34:35], vcc
	s_cbranch_execz .LBB12_1355
; %bb.1354:                             ;   in Loop: Header=BB12_955 Depth=2
	v_sub_u32_e32 v0, v20, v0
	v_cndmask_b32_e64 v0, 0, v0, s[28:29]
	v_add3_u32 v6, v19, v14, v0
	v_cmp_lt_i32_e32 vcc, 0, v21
	v_accvgpr_read_b32 v0, a22
	v_cndmask_b32_e32 v0, 0, v0, vcc
	v_sub_u32_e32 v0, v0, v21
	v_lshl_add_u32 v0, v0, 6, v17
	v_ashrrev_i32_e32 v2, 31, v0
	v_lshrrev_b32_e32 v2, 26, v2
	v_add_u32_e32 v3, v0, v2
	v_ashrrev_i32_e32 v2, 6, v3
	v_and_b32_e32 v3, 0xffffffc0, v3
	v_sub_u32_e32 v18, v0, v3
	s_or_b64 s[30:31], s[58:59], exec
.LBB12_1355:                            ;   in Loop: Header=BB12_955 Depth=2
	s_or_b64 exec, exec, s[34:35]
	s_andn2_b64 s[28:29], s[58:59], exec
	s_and_b64 vcc, s[30:31], exec
	s_or_b64 s[58:59], s[28:29], vcc
.LBB12_1356:                            ;   in Loop: Header=BB12_955 Depth=2
	s_or_b64 exec, exec, s[60:61]
	s_and_saveexec_b64 s[36:37], s[58:59]
	s_cbranch_execz .LBB12_1499
.LBB12_1357:                            ;   in Loop: Header=BB12_955 Depth=2
	v_lshlrev_b32_e32 v0, 10, v2
	v_lshlrev_b32_e32 v3, 1, v18
	v_add3_u32 v0, v6, v3, v0
	s_trap 2
	ds_read_b128 v[8:11], v0
	v_ashrrev_i32_e32 v3, 31, v16
	v_lshrrev_b32_e32 v3, 22, v3
	v_add_u32_e32 v3, v16, v3
	v_ashrrev_i32_e32 v7, 31, v0
	s_waitcnt lgkmcnt(0)
	v_add_co_u32_e32 v4, vcc, v8, v0
	v_ashrrev_i32_e32 v3, 10, v3
	v_addc_co_u32_e32 v5, vcc, v9, v7, vcc
	v_sub_u32_e32 v17, v3, v2
	v_add_co_u32_e32 v2, vcc, v10, v0
	v_accvgpr_write_b32 a4, v3
	v_addc_co_u32_e32 v3, vcc, v11, v7, vcc
	v_cmp_lt_i32_e32 vcc, 0, v17
	s_mov_b64 s[28:29], 0
	v_mov_b32_e32 v38, 0
	v_mov_b32_e32 v28, 0
	;; [unrolled: 1-line block ×16, first 2 shown]
	s_and_saveexec_b64 s[30:31], vcc
	s_cbranch_execz .LBB12_1431
; %bb.1358:                             ;   in Loop: Header=BB12_955 Depth=2
	s_trap 2
	ds_read_b128 v[12:15], v0
	v_accvgpr_write_b32 a0, v30
	v_accvgpr_write_b32 a9, v49
	s_mov_b64 s[60:61], 0
	s_mov_b64 s[58:59], 0
	s_waitcnt lgkmcnt(0)
	v_add_co_u32_e32 v12, vcc, v12, v0
	v_addc_co_u32_e32 v13, vcc, v13, v7, vcc
	v_add_co_u32_e32 v14, vcc, v14, v0
	v_accvgpr_read_b32 v0, a1
	v_addc_co_u32_e32 v15, vcc, v15, v7, vcc
	v_cmp_eq_u16_sdwa s[28:29], v0, v42 src0_sel:BYTE_0 src1_sel:DWORD
                                        ; implicit-def: $sgpr34_sgpr35
                                        ; implicit-def: $vgpr51
                                        ; implicit-def: $vgpr48
                                        ; implicit-def: $vgpr37
                                        ; implicit-def: $vgpr33
                                        ; implicit-def: $vgpr31
                                        ; implicit-def: $vgpr30
                                        ; implicit-def: $vgpr27
                                        ; implicit-def: $vgpr26
                                        ; implicit-def: $vgpr0
                                        ; implicit-def: $vgpr7
                                        ; implicit-def: $vgpr20
                                        ; implicit-def: $vgpr21
                                        ; implicit-def: $vgpr22
                                        ; implicit-def: $vgpr23
                                        ; implicit-def: $vgpr24
                                        ; implicit-def: $vgpr25
	s_branch .LBB12_1360
.LBB12_1359:                            ;   in Loop: Header=BB12_1360 Depth=3
	s_or_b64 exec, exec, s[62:63]
	v_cmp_gt_i32_e32 vcc, 1, v17
	s_or_b64 s[58:59], vcc, s[58:59]
	s_andn2_b64 vcc, s[34:35], exec
	s_and_b64 s[34:35], s[60:61], exec
	s_or_b64 s[34:35], vcc, s[34:35]
	s_andn2_b64 exec, exec, s[58:59]
	s_cbranch_execz .LBB12_1430
.LBB12_1360:                            ;   Parent Loop BB12_47 Depth=1
                                        ;     Parent Loop BB12_955 Depth=2
                                        ; =>    This Inner Loop Header: Depth=3
	flat_load_ushort v58, v[12:13] glc slc
	flat_load_ushort v59, v[12:13] offset:128 glc slc
	flat_load_ushort v54, v[12:13] offset:256 glc slc
	;; [unrolled: 1-line block ×7, first 2 shown]
	flat_load_ushort v19, v[14:15] glc slc
	flat_load_ushort v43, v[14:15] offset:128 glc slc
	flat_load_ushort v55, v[14:15] offset:256 glc slc
	;; [unrolled: 1-line block ×7, first 2 shown]
	s_and_saveexec_b64 s[62:63], s[60:61]
	s_cbranch_execz .LBB12_1394
; %bb.1361:                             ;   in Loop: Header=BB12_1360 Depth=3
	v_lshlrev_b32_e32 v28, 16, v51
	v_lshlrev_b32_e32 v51, 16, v0
	v_max_f32_e32 v51, v51, v51
	v_max_f32_e32 v28, v28, v28
	v_min_f32_e32 v40, v28, v51
	v_max_f32_e32 v28, v28, v51
	v_cndmask_b32_e64 v28, v28, v40, s[28:29]
	v_and_b32_e32 v51, 0x7f800000, v28
	v_cmp_ne_u32_e32 vcc, s92, v51
                                        ; implicit-def: $vgpr51
	s_and_saveexec_b64 s[60:61], vcc
	s_xor_b64 vcc, exec, s[60:61]
; %bb.1362:                             ;   in Loop: Header=BB12_1360 Depth=3
	v_bfe_u32 v51, v28, 16, 1
	v_add3_u32 v51, v28, v51, s93
                                        ; implicit-def: $vgpr28
; %bb.1363:                             ;   in Loop: Header=BB12_1360 Depth=3
	s_andn2_saveexec_b64 s[60:61], vcc
; %bb.1364:                             ;   in Loop: Header=BB12_1360 Depth=3
	v_or_b32_e32 v51, 0x10000, v28
	v_cmp_eq_u32_sdwa vcc, v28, v42 src0_sel:WORD_0 src1_sel:DWORD
	v_cndmask_b32_e32 v51, v51, v28, vcc
; %bb.1365:                             ;   in Loop: Header=BB12_1360 Depth=3
	s_or_b64 exec, exec, s[60:61]
	v_lshlrev_b32_e32 v28, 16, v48
	v_lshlrev_b32_e32 v48, 16, v7
	v_max_f32_e32 v48, v48, v48
	v_max_f32_e32 v28, v28, v28
	v_min_f32_e32 v40, v28, v48
	v_max_f32_e32 v28, v28, v48
	v_cndmask_b32_e64 v28, v28, v40, s[28:29]
	v_and_b32_e32 v48, 0x7f800000, v28
	v_cmp_ne_u32_e32 vcc, s92, v48
                                        ; implicit-def: $vgpr48
	s_and_saveexec_b64 s[60:61], vcc
	s_xor_b64 vcc, exec, s[60:61]
; %bb.1366:                             ;   in Loop: Header=BB12_1360 Depth=3
	v_bfe_u32 v48, v28, 16, 1
	v_add3_u32 v48, v28, v48, s93
                                        ; implicit-def: $vgpr28
; %bb.1367:                             ;   in Loop: Header=BB12_1360 Depth=3
	s_andn2_saveexec_b64 s[60:61], vcc
; %bb.1368:                             ;   in Loop: Header=BB12_1360 Depth=3
	v_or_b32_e32 v48, 0x10000, v28
	v_cmp_eq_u32_sdwa vcc, v28, v42 src0_sel:WORD_0 src1_sel:DWORD
	v_cndmask_b32_e32 v48, v48, v28, vcc
; %bb.1369:                             ;   in Loop: Header=BB12_1360 Depth=3
	s_or_b64 exec, exec, s[60:61]
	v_lshlrev_b32_e32 v28, 16, v37
	v_lshlrev_b32_e32 v37, 16, v20
	v_max_f32_e32 v37, v37, v37
	v_max_f32_e32 v28, v28, v28
	v_min_f32_e32 v40, v28, v37
	v_max_f32_e32 v28, v28, v37
	v_cndmask_b32_e64 v28, v28, v40, s[28:29]
	v_and_b32_e32 v37, 0x7f800000, v28
	v_cmp_ne_u32_e32 vcc, s92, v37
                                        ; implicit-def: $vgpr37
	s_and_saveexec_b64 s[60:61], vcc
	s_xor_b64 vcc, exec, s[60:61]
; %bb.1370:                             ;   in Loop: Header=BB12_1360 Depth=3
	v_bfe_u32 v37, v28, 16, 1
	v_add3_u32 v37, v28, v37, s93
                                        ; implicit-def: $vgpr28
; %bb.1371:                             ;   in Loop: Header=BB12_1360 Depth=3
	s_andn2_saveexec_b64 s[60:61], vcc
; %bb.1372:                             ;   in Loop: Header=BB12_1360 Depth=3
	v_or_b32_e32 v37, 0x10000, v28
	v_cmp_eq_u32_sdwa vcc, v28, v42 src0_sel:WORD_0 src1_sel:DWORD
	v_cndmask_b32_e32 v37, v37, v28, vcc
; %bb.1373:                             ;   in Loop: Header=BB12_1360 Depth=3
	s_or_b64 exec, exec, s[60:61]
	v_lshlrev_b32_e32 v28, 16, v33
	v_lshlrev_b32_e32 v33, 16, v21
	v_max_f32_e32 v33, v33, v33
	v_max_f32_e32 v28, v28, v28
	v_min_f32_e32 v40, v28, v33
	v_max_f32_e32 v28, v28, v33
	v_cndmask_b32_e64 v28, v28, v40, s[28:29]
	v_and_b32_e32 v33, 0x7f800000, v28
	v_cmp_ne_u32_e32 vcc, s92, v33
                                        ; implicit-def: $vgpr33
	s_and_saveexec_b64 s[60:61], vcc
	s_xor_b64 vcc, exec, s[60:61]
; %bb.1374:                             ;   in Loop: Header=BB12_1360 Depth=3
	v_bfe_u32 v33, v28, 16, 1
	v_add3_u32 v33, v28, v33, s93
                                        ; implicit-def: $vgpr28
; %bb.1375:                             ;   in Loop: Header=BB12_1360 Depth=3
	s_andn2_saveexec_b64 s[60:61], vcc
; %bb.1376:                             ;   in Loop: Header=BB12_1360 Depth=3
	v_or_b32_e32 v33, 0x10000, v28
	v_cmp_eq_u32_sdwa vcc, v28, v42 src0_sel:WORD_0 src1_sel:DWORD
	v_cndmask_b32_e32 v33, v33, v28, vcc
; %bb.1377:                             ;   in Loop: Header=BB12_1360 Depth=3
	s_or_b64 exec, exec, s[60:61]
	v_lshlrev_b32_e32 v28, 16, v31
	v_lshlrev_b32_e32 v31, 16, v22
	v_max_f32_e32 v31, v31, v31
	v_max_f32_e32 v28, v28, v28
	v_min_f32_e32 v40, v28, v31
	v_max_f32_e32 v28, v28, v31
	v_cndmask_b32_e64 v28, v28, v40, s[28:29]
	v_and_b32_e32 v31, 0x7f800000, v28
	v_cmp_ne_u32_e32 vcc, s92, v31
                                        ; implicit-def: $vgpr31
	s_and_saveexec_b64 s[60:61], vcc
	s_xor_b64 vcc, exec, s[60:61]
; %bb.1378:                             ;   in Loop: Header=BB12_1360 Depth=3
	v_bfe_u32 v31, v28, 16, 1
	v_add3_u32 v31, v28, v31, s93
                                        ; implicit-def: $vgpr28
; %bb.1379:                             ;   in Loop: Header=BB12_1360 Depth=3
	s_andn2_saveexec_b64 s[60:61], vcc
; %bb.1380:                             ;   in Loop: Header=BB12_1360 Depth=3
	v_or_b32_e32 v31, 0x10000, v28
	v_cmp_eq_u32_sdwa vcc, v28, v42 src0_sel:WORD_0 src1_sel:DWORD
	v_cndmask_b32_e32 v31, v31, v28, vcc
; %bb.1381:                             ;   in Loop: Header=BB12_1360 Depth=3
	s_or_b64 exec, exec, s[60:61]
	v_lshlrev_b32_e32 v28, 16, v30
	v_lshlrev_b32_e32 v30, 16, v23
	v_max_f32_e32 v30, v30, v30
	v_max_f32_e32 v28, v28, v28
	v_min_f32_e32 v40, v28, v30
	v_max_f32_e32 v28, v28, v30
	v_cndmask_b32_e64 v30, v28, v40, s[28:29]
	v_and_b32_e32 v28, 0x7f800000, v30
	v_cmp_ne_u32_e32 vcc, s92, v28
                                        ; implicit-def: $vgpr28
	s_and_saveexec_b64 s[60:61], vcc
	s_xor_b64 vcc, exec, s[60:61]
; %bb.1382:                             ;   in Loop: Header=BB12_1360 Depth=3
	v_bfe_u32 v28, v30, 16, 1
	v_add3_u32 v28, v30, v28, s93
                                        ; implicit-def: $vgpr30
; %bb.1383:                             ;   in Loop: Header=BB12_1360 Depth=3
	s_andn2_saveexec_b64 s[60:61], vcc
; %bb.1384:                             ;   in Loop: Header=BB12_1360 Depth=3
	v_or_b32_e32 v28, 0x10000, v30
	v_cmp_eq_u32_sdwa vcc, v30, v42 src0_sel:WORD_0 src1_sel:DWORD
	v_cndmask_b32_e32 v28, v28, v30, vcc
; %bb.1385:                             ;   in Loop: Header=BB12_1360 Depth=3
	s_or_b64 exec, exec, s[60:61]
	v_lshlrev_b32_e32 v27, 16, v27
	v_lshlrev_b32_e32 v30, 16, v24
	v_max_f32_e32 v30, v30, v30
	v_max_f32_e32 v27, v27, v27
	v_min_f32_e32 v40, v27, v30
	v_max_f32_e32 v27, v27, v30
	v_cndmask_b32_e64 v30, v27, v40, s[28:29]
	v_and_b32_e32 v27, 0x7f800000, v30
	v_cmp_ne_u32_e32 vcc, s92, v27
                                        ; implicit-def: $vgpr27
	s_and_saveexec_b64 s[60:61], vcc
	s_xor_b64 vcc, exec, s[60:61]
; %bb.1386:                             ;   in Loop: Header=BB12_1360 Depth=3
	v_bfe_u32 v27, v30, 16, 1
	v_add3_u32 v27, v30, v27, s93
                                        ; implicit-def: $vgpr30
; %bb.1387:                             ;   in Loop: Header=BB12_1360 Depth=3
	s_andn2_saveexec_b64 s[60:61], vcc
; %bb.1388:                             ;   in Loop: Header=BB12_1360 Depth=3
	v_or_b32_e32 v27, 0x10000, v30
	v_cmp_eq_u32_sdwa vcc, v30, v42 src0_sel:WORD_0 src1_sel:DWORD
	v_cndmask_b32_e32 v27, v27, v30, vcc
; %bb.1389:                             ;   in Loop: Header=BB12_1360 Depth=3
	s_or_b64 exec, exec, s[60:61]
	v_lshlrev_b32_e32 v26, 16, v26
	v_lshlrev_b32_e32 v30, 16, v25
	v_max_f32_e32 v30, v30, v30
	v_max_f32_e32 v26, v26, v26
	v_min_f32_e32 v40, v26, v30
	v_max_f32_e32 v26, v26, v30
	v_cndmask_b32_e64 v30, v26, v40, s[28:29]
	v_and_b32_e32 v26, 0x7f800000, v30
	v_cmp_ne_u32_e32 vcc, s92, v26
                                        ; implicit-def: $vgpr26
	s_and_saveexec_b64 s[60:61], vcc
	s_xor_b64 vcc, exec, s[60:61]
; %bb.1390:                             ;   in Loop: Header=BB12_1360 Depth=3
	v_bfe_u32 v26, v30, 16, 1
	v_add3_u32 v26, v30, v26, s93
                                        ; implicit-def: $vgpr30
; %bb.1391:                             ;   in Loop: Header=BB12_1360 Depth=3
	s_andn2_saveexec_b64 s[60:61], vcc
; %bb.1392:                             ;   in Loop: Header=BB12_1360 Depth=3
	v_or_b32_e32 v26, 0x10000, v30
	v_cmp_eq_u32_sdwa vcc, v30, v42 src0_sel:WORD_0 src1_sel:DWORD
	v_cndmask_b32_e32 v26, v26, v30, vcc
; %bb.1393:                             ;   in Loop: Header=BB12_1360 Depth=3
	s_or_b64 exec, exec, s[60:61]
	v_lshrrev_b32_e32 v30, 16, v28
	v_lshrrev_b32_e32 v51, 16, v51
	v_accvgpr_read_b32 v28, a39
	v_lshrrev_b32_e32 v27, 16, v27
	v_lshrrev_b32_e32 v31, 16, v31
	v_lshrrev_b32_e32 v33, 16, v33
	v_lshrrev_b32_e32 v37, 16, v37
	v_lshrrev_b32_e32 v48, 16, v48
	v_lshrrev_b32_e32 v26, 16, v26
	flat_store_short v[4:5], v51 glc slc
	flat_store_short v[4:5], v48 offset:128 glc slc
	flat_store_short v[4:5], v37 offset:256 glc slc
	;; [unrolled: 1-line block ×7, first 2 shown]
	flat_store_short v[2:3], v51 glc slc
	flat_store_short v[2:3], v48 offset:128 glc slc
	flat_store_short v[2:3], v37 offset:256 glc slc
	;; [unrolled: 1-line block ×7, first 2 shown]
	v_add_co_u32_e32 v4, vcc, v4, v28
	v_accvgpr_read_b32 v40, a40
	v_addc_co_u32_e32 v5, vcc, v5, v40, vcc
	v_add_co_u32_e32 v2, vcc, v2, v28
	v_addc_co_u32_e32 v3, vcc, v3, v40, vcc
.LBB12_1394:                            ;   in Loop: Header=BB12_1360 Depth=3
	s_or_b64 exec, exec, s[62:63]
	v_accvgpr_read_b32 v28, a39
	v_add_co_u32_e32 v12, vcc, v12, v28
	v_accvgpr_read_b32 v40, a40
	v_addc_co_u32_e32 v13, vcc, v13, v40, vcc
	v_add_co_u32_e32 v14, vcc, v14, v28
	v_accvgpr_read_b32 v28, a22
	v_sub_u32_e32 v17, v17, v28
	v_addc_co_u32_e32 v15, vcc, v15, v40, vcc
	v_cmp_lt_i32_e64 s[60:61], 0, v17
	s_and_saveexec_b64 s[62:63], s[60:61]
	s_cbranch_execz .LBB12_1396
; %bb.1395:                             ;   in Loop: Header=BB12_1360 Depth=3
	flat_load_ushort v51, v[12:13] glc slc
	flat_load_ushort v48, v[12:13] offset:128 glc slc
	flat_load_ushort v37, v[12:13] offset:256 glc slc
	;; [unrolled: 1-line block ×7, first 2 shown]
	flat_load_ushort v0, v[14:15] glc slc
	flat_load_ushort v7, v[14:15] offset:128 glc slc
	flat_load_ushort v20, v[14:15] offset:256 glc slc
	flat_load_ushort v21, v[14:15] offset:384 glc slc
	flat_load_ushort v22, v[14:15] offset:512 glc slc
	flat_load_ushort v23, v[14:15] offset:640 glc slc
	flat_load_ushort v24, v[14:15] offset:768 glc slc
	flat_load_ushort v25, v[14:15] offset:896 glc slc
	v_add_co_u32_e32 v12, vcc, 0x400, v12
	v_addc_co_u32_e32 v13, vcc, 0, v13, vcc
	v_add_co_u32_e32 v14, vcc, 0x400, v14
	v_addc_co_u32_e32 v15, vcc, 0, v15, vcc
.LBB12_1396:                            ;   in Loop: Header=BB12_1360 Depth=3
	s_or_b64 exec, exec, s[62:63]
	s_waitcnt vmcnt(0) lgkmcnt(0)
	v_lshlrev_b32_e32 v28, 16, v58
	v_lshlrev_b32_e32 v19, 16, v19
	v_max_f32_e32 v19, v19, v19
	v_max_f32_e32 v28, v28, v28
	v_min_f32_e32 v40, v28, v19
	v_max_f32_e32 v19, v28, v19
	v_cndmask_b32_e64 v28, v19, v40, s[28:29]
	v_and_b32_e32 v19, 0x7f800000, v28
	v_cmp_ne_u32_e32 vcc, s92, v19
                                        ; implicit-def: $vgpr19
	s_and_saveexec_b64 s[62:63], vcc
	s_xor_b64 vcc, exec, s[62:63]
; %bb.1397:                             ;   in Loop: Header=BB12_1360 Depth=3
	v_bfe_u32 v19, v28, 16, 1
	v_add3_u32 v19, v28, v19, s93
                                        ; implicit-def: $vgpr28
; %bb.1398:                             ;   in Loop: Header=BB12_1360 Depth=3
	s_andn2_saveexec_b64 s[62:63], vcc
; %bb.1399:                             ;   in Loop: Header=BB12_1360 Depth=3
	v_or_b32_e32 v19, 0x10000, v28
	v_cmp_eq_u32_sdwa vcc, v28, v42 src0_sel:WORD_0 src1_sel:DWORD
	v_cndmask_b32_e32 v19, v19, v28, vcc
; %bb.1400:                             ;   in Loop: Header=BB12_1360 Depth=3
	s_or_b64 exec, exec, s[62:63]
	v_lshlrev_b32_e32 v28, 16, v59
	v_lshlrev_b32_e32 v40, 16, v43
	v_max_f32_e32 v40, v40, v40
	v_max_f32_e32 v28, v28, v28
	v_min_f32_e32 v41, v28, v40
	v_max_f32_e32 v28, v28, v40
	v_cndmask_b32_e64 v28, v28, v41, s[28:29]
	v_and_b32_e32 v40, 0x7f800000, v28
	v_cmp_ne_u32_e32 vcc, s92, v40
                                        ; implicit-def: $vgpr43
	s_and_saveexec_b64 s[62:63], vcc
	s_xor_b64 vcc, exec, s[62:63]
; %bb.1401:                             ;   in Loop: Header=BB12_1360 Depth=3
	v_bfe_u32 v40, v28, 16, 1
	v_add3_u32 v43, v28, v40, s93
                                        ; implicit-def: $vgpr28
; %bb.1402:                             ;   in Loop: Header=BB12_1360 Depth=3
	s_andn2_saveexec_b64 s[62:63], vcc
; %bb.1403:                             ;   in Loop: Header=BB12_1360 Depth=3
	v_or_b32_e32 v40, 0x10000, v28
	v_cmp_eq_u32_sdwa vcc, v28, v42 src0_sel:WORD_0 src1_sel:DWORD
	v_cndmask_b32_e32 v43, v40, v28, vcc
; %bb.1404:                             ;   in Loop: Header=BB12_1360 Depth=3
	s_or_b64 exec, exec, s[62:63]
	v_lshlrev_b32_e32 v28, 16, v54
	v_lshlrev_b32_e32 v54, 16, v55
	v_max_f32_e32 v54, v54, v54
	v_max_f32_e32 v28, v28, v28
	v_min_f32_e32 v55, v28, v54
	v_max_f32_e32 v28, v28, v54
	v_cndmask_b32_e64 v28, v28, v55, s[28:29]
	v_and_b32_e32 v54, 0x7f800000, v28
	v_cmp_ne_u32_e32 vcc, s92, v54
                                        ; implicit-def: $vgpr54
	s_and_saveexec_b64 s[62:63], vcc
	s_xor_b64 vcc, exec, s[62:63]
; %bb.1405:                             ;   in Loop: Header=BB12_1360 Depth=3
	v_bfe_u32 v54, v28, 16, 1
	v_add3_u32 v54, v28, v54, s93
                                        ; implicit-def: $vgpr28
; %bb.1406:                             ;   in Loop: Header=BB12_1360 Depth=3
	s_andn2_saveexec_b64 s[62:63], vcc
; %bb.1407:                             ;   in Loop: Header=BB12_1360 Depth=3
	v_or_b32_e32 v54, 0x10000, v28
	v_cmp_eq_u32_sdwa vcc, v28, v42 src0_sel:WORD_0 src1_sel:DWORD
	v_cndmask_b32_e32 v54, v54, v28, vcc
; %bb.1408:                             ;   in Loop: Header=BB12_1360 Depth=3
	s_or_b64 exec, exec, s[62:63]
	v_lshlrev_b32_e32 v28, 16, v52
	v_lshlrev_b32_e32 v52, 16, v53
	v_max_f32_e32 v52, v52, v52
	v_max_f32_e32 v28, v28, v28
	v_min_f32_e32 v53, v28, v52
	v_max_f32_e32 v28, v28, v52
	v_cndmask_b32_e64 v28, v28, v53, s[28:29]
	v_and_b32_e32 v52, 0x7f800000, v28
	v_cmp_ne_u32_e32 vcc, s92, v52
                                        ; implicit-def: $vgpr52
	s_and_saveexec_b64 s[62:63], vcc
	s_xor_b64 vcc, exec, s[62:63]
; %bb.1409:                             ;   in Loop: Header=BB12_1360 Depth=3
	v_bfe_u32 v52, v28, 16, 1
	v_add3_u32 v52, v28, v52, s93
                                        ; implicit-def: $vgpr28
; %bb.1410:                             ;   in Loop: Header=BB12_1360 Depth=3
	s_andn2_saveexec_b64 s[62:63], vcc
; %bb.1411:                             ;   in Loop: Header=BB12_1360 Depth=3
	v_or_b32_e32 v52, 0x10000, v28
	v_cmp_eq_u32_sdwa vcc, v28, v42 src0_sel:WORD_0 src1_sel:DWORD
	v_cndmask_b32_e32 v52, v52, v28, vcc
; %bb.1412:                             ;   in Loop: Header=BB12_1360 Depth=3
	s_or_b64 exec, exec, s[62:63]
	v_lshlrev_b32_e32 v28, 16, v49
	v_lshlrev_b32_e32 v49, 16, v50
	v_max_f32_e32 v49, v49, v49
	v_max_f32_e32 v28, v28, v28
	v_min_f32_e32 v50, v28, v49
	v_max_f32_e32 v28, v28, v49
	v_cndmask_b32_e64 v28, v28, v50, s[28:29]
	v_and_b32_e32 v49, 0x7f800000, v28
	v_cmp_ne_u32_e32 vcc, s92, v49
                                        ; implicit-def: $vgpr49
	s_and_saveexec_b64 s[62:63], vcc
	s_xor_b64 vcc, exec, s[62:63]
; %bb.1413:                             ;   in Loop: Header=BB12_1360 Depth=3
	v_bfe_u32 v49, v28, 16, 1
	v_add3_u32 v49, v28, v49, s93
                                        ; implicit-def: $vgpr28
; %bb.1414:                             ;   in Loop: Header=BB12_1360 Depth=3
	s_andn2_saveexec_b64 s[62:63], vcc
; %bb.1415:                             ;   in Loop: Header=BB12_1360 Depth=3
	v_or_b32_e32 v49, 0x10000, v28
	v_cmp_eq_u32_sdwa vcc, v28, v42 src0_sel:WORD_0 src1_sel:DWORD
	v_cndmask_b32_e32 v49, v49, v28, vcc
; %bb.1416:                             ;   in Loop: Header=BB12_1360 Depth=3
	s_or_b64 exec, exec, s[62:63]
	v_lshlrev_b32_e32 v28, 16, v38
	v_lshlrev_b32_e32 v38, 16, v39
	v_max_f32_e32 v38, v38, v38
	v_max_f32_e32 v28, v28, v28
	v_min_f32_e32 v39, v28, v38
	v_max_f32_e32 v28, v28, v38
	v_cndmask_b32_e64 v38, v28, v39, s[28:29]
	v_and_b32_e32 v28, 0x7f800000, v38
	v_cmp_ne_u32_e32 vcc, s92, v28
                                        ; implicit-def: $vgpr28
	s_and_saveexec_b64 s[62:63], vcc
	s_xor_b64 vcc, exec, s[62:63]
; %bb.1417:                             ;   in Loop: Header=BB12_1360 Depth=3
	v_bfe_u32 v28, v38, 16, 1
	v_add3_u32 v28, v38, v28, s93
                                        ; implicit-def: $vgpr38
; %bb.1418:                             ;   in Loop: Header=BB12_1360 Depth=3
	s_andn2_saveexec_b64 s[62:63], vcc
; %bb.1419:                             ;   in Loop: Header=BB12_1360 Depth=3
	v_or_b32_e32 v28, 0x10000, v38
	v_cmp_eq_u32_sdwa vcc, v38, v42 src0_sel:WORD_0 src1_sel:DWORD
	v_cndmask_b32_e32 v28, v28, v38, vcc
; %bb.1420:                             ;   in Loop: Header=BB12_1360 Depth=3
	s_or_b64 exec, exec, s[62:63]
	v_lshlrev_b32_e32 v35, 16, v35
	v_lshlrev_b32_e32 v36, 16, v36
	v_max_f32_e32 v36, v36, v36
	v_max_f32_e32 v35, v35, v35
	v_min_f32_e32 v38, v35, v36
	v_max_f32_e32 v35, v35, v36
	v_cndmask_b32_e64 v36, v35, v38, s[28:29]
	v_and_b32_e32 v35, 0x7f800000, v36
	v_cmp_ne_u32_e32 vcc, s92, v35
                                        ; implicit-def: $vgpr35
	s_and_saveexec_b64 s[62:63], vcc
	s_xor_b64 vcc, exec, s[62:63]
; %bb.1421:                             ;   in Loop: Header=BB12_1360 Depth=3
	v_bfe_u32 v35, v36, 16, 1
	v_add3_u32 v35, v36, v35, s93
                                        ; implicit-def: $vgpr36
; %bb.1422:                             ;   in Loop: Header=BB12_1360 Depth=3
	s_andn2_saveexec_b64 s[62:63], vcc
; %bb.1423:                             ;   in Loop: Header=BB12_1360 Depth=3
	v_or_b32_e32 v35, 0x10000, v36
	v_cmp_eq_u32_sdwa vcc, v36, v42 src0_sel:WORD_0 src1_sel:DWORD
	v_cndmask_b32_e32 v35, v35, v36, vcc
; %bb.1424:                             ;   in Loop: Header=BB12_1360 Depth=3
	s_or_b64 exec, exec, s[62:63]
	v_lshlrev_b32_e32 v32, 16, v32
	v_lshlrev_b32_e32 v34, 16, v34
	v_max_f32_e32 v34, v34, v34
	v_max_f32_e32 v32, v32, v32
	v_min_f32_e32 v36, v32, v34
	v_max_f32_e32 v32, v32, v34
	v_cndmask_b32_e64 v34, v32, v36, s[28:29]
	v_and_b32_e32 v32, 0x7f800000, v34
	v_cmp_ne_u32_e32 vcc, s92, v32
                                        ; implicit-def: $vgpr32
	s_and_saveexec_b64 s[62:63], vcc
	s_xor_b64 vcc, exec, s[62:63]
; %bb.1425:                             ;   in Loop: Header=BB12_1360 Depth=3
	v_bfe_u32 v32, v34, 16, 1
	v_add3_u32 v32, v34, v32, s93
                                        ; implicit-def: $vgpr34
; %bb.1426:                             ;   in Loop: Header=BB12_1360 Depth=3
	s_andn2_saveexec_b64 s[62:63], vcc
; %bb.1427:                             ;   in Loop: Header=BB12_1360 Depth=3
	v_or_b32_e32 v32, 0x10000, v34
	v_cmp_eq_u32_sdwa vcc, v34, v42 src0_sel:WORD_0 src1_sel:DWORD
	v_cndmask_b32_e32 v32, v32, v34, vcc
; %bb.1428:                             ;   in Loop: Header=BB12_1360 Depth=3
	s_or_b64 exec, exec, s[62:63]
	v_lshrrev_b32_e32 v19, 16, v19
	v_lshrrev_b32_e32 v34, 16, v35
	;; [unrolled: 1-line block ×8, first 2 shown]
	flat_store_short v[4:5], v19 glc slc
	flat_store_short v[4:5], v39 offset:128 glc slc
	flat_store_short v[4:5], v38 offset:256 glc slc
	flat_store_short v[4:5], v36 offset:384 glc slc
	flat_store_short v[4:5], v35 offset:512 glc slc
	flat_store_short v[4:5], v28 offset:640 glc slc
	flat_store_short v[4:5], v34 offset:768 glc slc
	flat_store_short v[4:5], v32 offset:896 glc slc
	v_add_co_u32_e32 v4, vcc, s79, v4
	v_addc_co_u32_e32 v5, vcc, 0, v5, vcc
	flat_store_short v[2:3], v19 glc slc
	flat_store_short v[2:3], v39 offset:128 glc slc
	flat_store_short v[2:3], v38 offset:256 glc slc
	flat_store_short v[2:3], v36 offset:384 glc slc
	flat_store_short v[2:3], v35 offset:512 glc slc
	flat_store_short v[2:3], v28 offset:640 glc slc
	flat_store_short v[2:3], v34 offset:768 glc slc
	flat_store_short v[2:3], v32 offset:896 glc slc
	v_add_co_u32_e32 v2, vcc, 0x400, v2
	v_addc_co_u32_e32 v3, vcc, 0, v3, vcc
	s_and_saveexec_b64 s[62:63], s[60:61]
	s_cbranch_execz .LBB12_1359
; %bb.1429:                             ;   in Loop: Header=BB12_1360 Depth=3
	v_accvgpr_read_b32 v28, a32
	v_add_co_u32_e32 v4, vcc, v4, v28
	v_accvgpr_read_b32 v19, a35
	v_addc_co_u32_e32 v5, vcc, v5, v19, vcc
	v_add_co_u32_e32 v2, vcc, v2, v28
	v_addc_co_u32_e32 v3, vcc, v3, v19, vcc
	v_add_co_u32_e32 v12, vcc, v12, v28
	;; [unrolled: 2-line block ×3, first 2 shown]
	v_accvgpr_read_b32 v28, a22
	v_addc_co_u32_e32 v15, vcc, v15, v19, vcc
	v_sub_u32_e32 v17, v17, v28
	s_branch .LBB12_1359
.LBB12_1430:                            ;   in Loop: Header=BB12_955 Depth=2
	s_or_b64 exec, exec, s[58:59]
	v_lshlrev_b32_e32 v38, 16, v51
	v_lshlrev_b32_e32 v39, 16, v0
	;; [unrolled: 1-line block ×16, first 2 shown]
	s_and_b64 s[28:29], s[34:35], exec
	v_accvgpr_read_b32 v48, a62
	v_accvgpr_read_b32 v49, a9
	;; [unrolled: 1-line block ×3, first 2 shown]
.LBB12_1431:                            ;   in Loop: Header=BB12_955 Depth=2
	s_or_b64 exec, exec, s[30:31]
	s_and_saveexec_b64 s[30:31], s[28:29]
	s_cbranch_execz .LBB12_1465
; %bb.1432:                             ;   in Loop: Header=BB12_955 Depth=2
	v_max_f32_e32 v0, v39, v39
	v_max_f32_e32 v7, v38, v38
	v_min_f32_e32 v23, v7, v0
	v_max_f32_e32 v0, v7, v0
	v_accvgpr_read_b32 v7, a1
	v_cmp_eq_u16_sdwa vcc, v7, v42 src0_sel:BYTE_0 src1_sel:DWORD
	v_cndmask_b32_e32 v7, v0, v23, vcc
	v_and_b32_e32 v0, 0x7f800000, v7
	v_cmp_ne_u32_e64 s[28:29], s92, v0
                                        ; implicit-def: $vgpr0
	s_and_saveexec_b64 s[34:35], s[28:29]
	s_xor_b64 s[28:29], exec, s[34:35]
; %bb.1433:                             ;   in Loop: Header=BB12_955 Depth=2
	v_bfe_u32 v0, v7, 16, 1
	v_add3_u32 v0, v7, v0, s93
                                        ; implicit-def: $vgpr7
; %bb.1434:                             ;   in Loop: Header=BB12_955 Depth=2
	s_andn2_saveexec_b64 s[34:35], s[28:29]
; %bb.1435:                             ;   in Loop: Header=BB12_955 Depth=2
	v_or_b32_e32 v0, 0x10000, v7
	v_cmp_eq_u32_sdwa s[28:29], v7, v42 src0_sel:WORD_0 src1_sel:DWORD
	v_cndmask_b32_e64 v0, v0, v7, s[28:29]
; %bb.1436:                             ;   in Loop: Header=BB12_955 Depth=2
	s_or_b64 exec, exec, s[34:35]
	v_max_f32_e32 v7, v36, v36
	v_max_f32_e32 v23, v28, v28
	v_min_f32_e32 v24, v23, v7
	v_max_f32_e32 v7, v23, v7
	v_cndmask_b32_e32 v23, v7, v24, vcc
	v_and_b32_e32 v7, 0x7f800000, v23
	v_cmp_ne_u32_e64 s[28:29], s92, v7
                                        ; implicit-def: $vgpr7
	s_and_saveexec_b64 s[34:35], s[28:29]
	s_xor_b64 s[28:29], exec, s[34:35]
; %bb.1437:                             ;   in Loop: Header=BB12_955 Depth=2
	v_bfe_u32 v7, v23, 16, 1
	v_add3_u32 v7, v23, v7, s93
                                        ; implicit-def: $vgpr23
; %bb.1438:                             ;   in Loop: Header=BB12_955 Depth=2
	s_andn2_saveexec_b64 s[34:35], s[28:29]
; %bb.1439:                             ;   in Loop: Header=BB12_955 Depth=2
	v_or_b32_e32 v7, 0x10000, v23
	v_cmp_eq_u32_sdwa s[28:29], v23, v42 src0_sel:WORD_0 src1_sel:DWORD
	v_cndmask_b32_e64 v7, v7, v23, s[28:29]
; %bb.1440:                             ;   in Loop: Header=BB12_955 Depth=2
	s_or_b64 exec, exec, s[34:35]
	v_max_f32_e32 v23, v35, v35
	v_max_f32_e32 v24, v34, v34
	v_min_f32_e32 v25, v24, v23
	v_max_f32_e32 v23, v24, v23
	v_cndmask_b32_e32 v24, v23, v25, vcc
	v_and_b32_e32 v23, 0x7f800000, v24
	v_cmp_ne_u32_e64 s[28:29], s92, v23
                                        ; implicit-def: $vgpr23
	s_and_saveexec_b64 s[34:35], s[28:29]
	s_xor_b64 s[28:29], exec, s[34:35]
; %bb.1441:                             ;   in Loop: Header=BB12_955 Depth=2
	v_bfe_u32 v23, v24, 16, 1
	v_add3_u32 v23, v24, v23, s93
                                        ; implicit-def: $vgpr24
; %bb.1442:                             ;   in Loop: Header=BB12_955 Depth=2
	s_andn2_saveexec_b64 s[34:35], s[28:29]
; %bb.1443:                             ;   in Loop: Header=BB12_955 Depth=2
	v_or_b32_e32 v23, 0x10000, v24
	v_cmp_eq_u32_sdwa s[28:29], v24, v42 src0_sel:WORD_0 src1_sel:DWORD
	v_cndmask_b32_e64 v23, v23, v24, s[28:29]
; %bb.1444:                             ;   in Loop: Header=BB12_955 Depth=2
	s_or_b64 exec, exec, s[34:35]
	v_max_f32_e32 v24, v33, v33
	v_max_f32_e32 v25, v32, v32
	v_min_f32_e32 v26, v25, v24
	v_max_f32_e32 v24, v25, v24
	v_cndmask_b32_e32 v25, v24, v26, vcc
	v_and_b32_e32 v24, 0x7f800000, v25
	v_cmp_ne_u32_e64 s[28:29], s92, v24
                                        ; implicit-def: $vgpr24
	s_and_saveexec_b64 s[34:35], s[28:29]
	s_xor_b64 s[28:29], exec, s[34:35]
; %bb.1445:                             ;   in Loop: Header=BB12_955 Depth=2
	v_bfe_u32 v24, v25, 16, 1
	v_add3_u32 v24, v25, v24, s93
                                        ; implicit-def: $vgpr25
; %bb.1446:                             ;   in Loop: Header=BB12_955 Depth=2
	s_andn2_saveexec_b64 s[34:35], s[28:29]
; %bb.1447:                             ;   in Loop: Header=BB12_955 Depth=2
	v_or_b32_e32 v24, 0x10000, v25
	v_cmp_eq_u32_sdwa s[28:29], v25, v42 src0_sel:WORD_0 src1_sel:DWORD
	v_cndmask_b32_e64 v24, v24, v25, s[28:29]
; %bb.1448:                             ;   in Loop: Header=BB12_955 Depth=2
	s_or_b64 exec, exec, s[34:35]
	v_max_f32_e32 v22, v22, v22
	v_max_f32_e32 v21, v21, v21
	v_min_f32_e32 v25, v21, v22
	v_max_f32_e32 v21, v21, v22
	v_cndmask_b32_e32 v22, v21, v25, vcc
	v_and_b32_e32 v21, 0x7f800000, v22
	v_cmp_ne_u32_e64 s[28:29], s92, v21
                                        ; implicit-def: $vgpr21
	s_and_saveexec_b64 s[34:35], s[28:29]
	s_xor_b64 s[28:29], exec, s[34:35]
; %bb.1449:                             ;   in Loop: Header=BB12_955 Depth=2
	v_bfe_u32 v21, v22, 16, 1
	v_add3_u32 v21, v22, v21, s93
                                        ; implicit-def: $vgpr22
; %bb.1450:                             ;   in Loop: Header=BB12_955 Depth=2
	s_andn2_saveexec_b64 s[34:35], s[28:29]
; %bb.1451:                             ;   in Loop: Header=BB12_955 Depth=2
	v_or_b32_e32 v21, 0x10000, v22
	v_cmp_eq_u32_sdwa s[28:29], v22, v42 src0_sel:WORD_0 src1_sel:DWORD
	v_cndmask_b32_e64 v21, v21, v22, s[28:29]
; %bb.1452:                             ;   in Loop: Header=BB12_955 Depth=2
	s_or_b64 exec, exec, s[34:35]
	v_max_f32_e32 v20, v20, v20
	v_max_f32_e32 v19, v19, v19
	v_min_f32_e32 v22, v19, v20
	v_max_f32_e32 v19, v19, v20
	v_cndmask_b32_e32 v20, v19, v22, vcc
	v_and_b32_e32 v19, 0x7f800000, v20
	v_cmp_ne_u32_e64 s[28:29], s92, v19
                                        ; implicit-def: $vgpr19
	s_and_saveexec_b64 s[34:35], s[28:29]
	s_xor_b64 s[28:29], exec, s[34:35]
; %bb.1453:                             ;   in Loop: Header=BB12_955 Depth=2
	v_bfe_u32 v19, v20, 16, 1
	v_add3_u32 v19, v20, v19, s93
                                        ; implicit-def: $vgpr20
; %bb.1454:                             ;   in Loop: Header=BB12_955 Depth=2
	s_andn2_saveexec_b64 s[34:35], s[28:29]
; %bb.1455:                             ;   in Loop: Header=BB12_955 Depth=2
	v_or_b32_e32 v19, 0x10000, v20
	v_cmp_eq_u32_sdwa s[28:29], v20, v42 src0_sel:WORD_0 src1_sel:DWORD
	v_cndmask_b32_e64 v19, v19, v20, s[28:29]
; %bb.1456:                             ;   in Loop: Header=BB12_955 Depth=2
	s_or_b64 exec, exec, s[34:35]
	v_max_f32_e32 v15, v15, v15
	v_max_f32_e32 v14, v14, v14
	v_min_f32_e32 v20, v14, v15
	v_max_f32_e32 v14, v14, v15
	v_cndmask_b32_e32 v15, v14, v20, vcc
	v_and_b32_e32 v14, 0x7f800000, v15
	v_cmp_ne_u32_e64 s[28:29], s92, v14
                                        ; implicit-def: $vgpr14
	s_and_saveexec_b64 s[34:35], s[28:29]
	s_xor_b64 s[28:29], exec, s[34:35]
; %bb.1457:                             ;   in Loop: Header=BB12_955 Depth=2
	v_bfe_u32 v14, v15, 16, 1
	v_add3_u32 v14, v15, v14, s93
                                        ; implicit-def: $vgpr15
; %bb.1458:                             ;   in Loop: Header=BB12_955 Depth=2
	s_andn2_saveexec_b64 s[34:35], s[28:29]
; %bb.1459:                             ;   in Loop: Header=BB12_955 Depth=2
	v_or_b32_e32 v14, 0x10000, v15
	v_cmp_eq_u32_sdwa s[28:29], v15, v42 src0_sel:WORD_0 src1_sel:DWORD
	v_cndmask_b32_e64 v14, v14, v15, s[28:29]
; %bb.1460:                             ;   in Loop: Header=BB12_955 Depth=2
	s_or_b64 exec, exec, s[34:35]
	v_max_f32_e32 v13, v13, v13
	v_max_f32_e32 v12, v12, v12
	v_min_f32_e32 v15, v12, v13
	v_max_f32_e32 v12, v12, v13
	v_cndmask_b32_e32 v13, v12, v15, vcc
	v_and_b32_e32 v12, 0x7f800000, v13
	v_cmp_ne_u32_e32 vcc, s92, v12
                                        ; implicit-def: $vgpr12
	s_and_saveexec_b64 s[28:29], vcc
	s_xor_b64 s[28:29], exec, s[28:29]
; %bb.1461:                             ;   in Loop: Header=BB12_955 Depth=2
	v_bfe_u32 v12, v13, 16, 1
	v_add3_u32 v12, v13, v12, s93
                                        ; implicit-def: $vgpr13
; %bb.1462:                             ;   in Loop: Header=BB12_955 Depth=2
	s_andn2_saveexec_b64 s[28:29], s[28:29]
; %bb.1463:                             ;   in Loop: Header=BB12_955 Depth=2
	v_or_b32_e32 v12, 0x10000, v13
	v_cmp_eq_u32_sdwa vcc, v13, v42 src0_sel:WORD_0 src1_sel:DWORD
	v_cndmask_b32_e32 v12, v12, v13, vcc
; %bb.1464:                             ;   in Loop: Header=BB12_955 Depth=2
	s_or_b64 exec, exec, s[28:29]
	v_lshrrev_b32_e32 v0, 16, v0
	v_lshrrev_b32_e32 v13, 16, v14
	;; [unrolled: 1-line block ×8, first 2 shown]
	flat_store_short v[4:5], v0 glc slc
	flat_store_short v[4:5], v7 offset:128 glc slc
	flat_store_short v[4:5], v20 offset:256 glc slc
	;; [unrolled: 1-line block ×7, first 2 shown]
	flat_store_short v[2:3], v0 glc slc
	flat_store_short v[2:3], v7 offset:128 glc slc
	flat_store_short v[2:3], v20 offset:256 glc slc
	;; [unrolled: 1-line block ×7, first 2 shown]
.LBB12_1465:                            ;   in Loop: Header=BB12_955 Depth=2
	s_or_b64 exec, exec, s[30:31]
	v_accvgpr_read_b32 v0, a4
	v_lshlrev_b32_e32 v0, 10, v0
	v_cmp_ne_u32_e32 vcc, v16, v0
	s_and_saveexec_b64 s[58:59], vcc
	s_cbranch_execz .LBB12_1498
; %bb.1466:                             ;   in Loop: Header=BB12_955 Depth=2
	v_lshlrev_b32_e32 v2, 6, v17
	v_sub_u32_e32 v2, v18, v2
	v_ashrrev_i32_e32 v3, 31, v2
	v_lshrrev_b32_e32 v3, 26, v3
	v_add_u32_e32 v3, v2, v3
	v_and_b32_e32 v4, 0x7fffffc0, v3
	v_sub_u32_e32 v2, v2, v4
	v_lshlrev_b32_e32 v3, 1, v3
	v_and_b32_e32 v3, 0xffffff80, v3
	v_lshlrev_b32_e32 v2, 1, v2
	v_add3_u32 v0, v3, v2, v0
	v_add_u32_e32 v6, v0, v6
	v_sub_u32_e32 v12, v16, v0
	v_ashrrev_i32_e32 v7, 31, v6
	v_add_co_u32_e32 v0, vcc, v6, v8
	v_addc_co_u32_e32 v3, vcc, v7, v9, vcc
	v_add_co_u32_e32 v2, vcc, v6, v10
	v_addc_co_u32_e32 v9, vcc, v7, v11, vcc
	v_cmp_lt_i32_e32 vcc, 1, v12
	s_mov_b64 s[28:29], 0
	s_and_saveexec_b64 s[60:61], vcc
	s_cbranch_execz .LBB12_1491
; %bb.1467:                             ;   in Loop: Header=BB12_955 Depth=2
	s_trap 2
	ds_read_b128 v[14:17], v0
	v_accvgpr_read_b32 v8, a1
	v_cmp_eq_u16_sdwa s[28:29], v8, v42 src0_sel:BYTE_0 src1_sel:DWORD
	s_mov_b64 s[66:67], 0
	s_mov_b64 s[62:63], 0
	s_waitcnt lgkmcnt(0)
	v_add_co_u32_e32 v4, vcc, v14, v6
	v_addc_co_u32_e32 v5, vcc, v15, v7, vcc
	v_add_co_u32_e32 v6, vcc, v16, v6
	v_addc_co_u32_e32 v7, vcc, v17, v7, vcc
                                        ; implicit-def: $sgpr64_sgpr65
	s_branch .LBB12_1469
.LBB12_1468:                            ;   in Loop: Header=BB12_1469 Depth=3
	s_or_b64 exec, exec, s[30:31]
	v_cmp_gt_i32_e32 vcc, 2, v12
	s_or_b64 s[62:63], vcc, s[62:63]
	s_andn2_b64 vcc, s[64:65], exec
	s_and_b64 s[30:31], s[66:67], exec
	s_or_b64 s[64:65], vcc, s[30:31]
	s_andn2_b64 exec, exec, s[62:63]
	s_cbranch_execz .LBB12_1490
.LBB12_1469:                            ;   Parent Loop BB12_47 Depth=1
                                        ;     Parent Loop BB12_955 Depth=2
                                        ; =>    This Loop Header: Depth=3
                                        ;         Child Loop BB12_1470 Depth 4
                                        ;         Child Loop BB12_1477 Depth 4
	;; [unrolled: 1-line block ×4, first 2 shown]
	v_lshrrev_b32_e64 v8, 6, s33
	v_add_u32_e32 v8, 0xc0, v8
	s_mov_b64 s[68:69], -1
	s_mov_b64 s[70:71], 0
.LBB12_1470:                            ;   Parent Loop BB12_47 Depth=1
                                        ;     Parent Loop BB12_955 Depth=2
                                        ;       Parent Loop BB12_1469 Depth=3
                                        ; =>      This Inner Loop Header: Depth=4
	s_cmp_eq_u32 s70, 1
	s_cselect_b64 s[30:31], -1, 0
	v_cndmask_b32_e64 v11, v5, v7, s[30:31]
	v_cndmask_b32_e64 v10, v4, v6, s[30:31]
	flat_load_ushort v13, v[10:11] glc slc
	v_add_co_u32_e32 v10, vcc, 0x80, v10
	s_cmp_eq_u32 s70, 0
	v_addc_co_u32_e32 v11, vcc, 0, v11, vcc
	s_cselect_b64 vcc, -1, 0
	s_and_b64 s[34:35], exec, s[68:69]
	s_mov_b64 s[70:71], 1
	v_cndmask_b32_e64 v6, v6, v10, s[30:31]
	s_mov_b64 s[68:69], 0
	v_cndmask_b32_e32 v5, v5, v11, vcc
	v_cndmask_b32_e32 v4, v4, v10, vcc
	v_cndmask_b32_e64 v7, v7, v11, s[30:31]
	s_mov_b64 vcc, s[34:35]
	s_waitcnt vmcnt(0) lgkmcnt(0)
	buffer_store_short v13, v8, s[0:3], 0 offen
	v_lshrrev_b32_e64 v8, 6, s33
	v_add_u32_e32 v8, 0xe0, v8
	s_cbranch_vccnz .LBB12_1470
; %bb.1471:                             ;   in Loop: Header=BB12_1469 Depth=3
	s_and_saveexec_b64 s[68:69], s[66:67]
	s_cbranch_execz .LBB12_1479
; %bb.1472:                             ;   in Loop: Header=BB12_1469 Depth=3
	buffer_load_ushort v8, off, s[0:3], s33 offset:184
	buffer_load_ushort v10, off, s[0:3], s33 offset:186
	s_waitcnt vmcnt(1)
	v_lshlrev_b32_e32 v8, 16, v8
	s_waitcnt vmcnt(0)
	v_lshlrev_b32_e32 v10, 16, v10
	v_max_f32_e32 v10, v10, v10
	v_max_f32_e32 v8, v8, v8
	v_min_f32_e32 v11, v8, v10
	v_max_f32_e32 v8, v8, v10
	v_cndmask_b32_e64 v8, v8, v11, s[28:29]
	v_and_b32_e32 v10, 0x7f800000, v8
	v_cmp_ne_u32_e32 vcc, s92, v10
                                        ; implicit-def: $vgpr10
	s_and_saveexec_b64 s[30:31], vcc
	s_xor_b64 vcc, exec, s[30:31]
; %bb.1473:                             ;   in Loop: Header=BB12_1469 Depth=3
	v_bfe_u32 v10, v8, 16, 1
	v_add3_u32 v10, v8, v10, s93
                                        ; implicit-def: $vgpr8
; %bb.1474:                             ;   in Loop: Header=BB12_1469 Depth=3
	s_andn2_saveexec_b64 s[30:31], vcc
; %bb.1475:                             ;   in Loop: Header=BB12_1469 Depth=3
	v_or_b32_e32 v10, 0x10000, v8
	v_cmp_eq_u32_sdwa vcc, v8, v42 src0_sel:WORD_0 src1_sel:DWORD
	v_cndmask_b32_e32 v10, v10, v8, vcc
; %bb.1476:                             ;   in Loop: Header=BB12_1469 Depth=3
	s_or_b64 exec, exec, s[30:31]
	v_lshrrev_b32_e32 v8, 16, v10
	s_mov_b64 s[70:71], 0
	s_mov_b64 s[66:67], -1
	buffer_store_short v8, off, s[0:3], s33 offset:184
.LBB12_1477:                            ;   Parent Loop BB12_47 Depth=1
                                        ;     Parent Loop BB12_955 Depth=2
                                        ;       Parent Loop BB12_1469 Depth=3
                                        ; =>      This Inner Loop Header: Depth=4
	s_cmp_eq_u32 s70, 1
	s_cselect_b64 s[30:31], -1, 0
	v_cndmask_b32_e64 v11, v3, v9, s[30:31]
	v_cndmask_b32_e64 v10, v0, v2, s[30:31]
	flat_store_short v[10:11], v8 glc slc
	v_add_co_u32_e32 v10, vcc, 0x80, v10
	s_cmp_eq_u32 s70, 0
	v_addc_co_u32_e32 v11, vcc, 0, v11, vcc
	s_cselect_b64 vcc, -1, 0
	s_and_b64 s[34:35], exec, s[66:67]
	s_mov_b64 s[70:71], 1
	v_cndmask_b32_e64 v2, v2, v10, s[30:31]
	s_mov_b64 s[66:67], 0
	v_cndmask_b32_e64 v9, v9, v11, s[30:31]
	v_cndmask_b32_e32 v3, v3, v11, vcc
	v_cndmask_b32_e32 v0, v0, v10, vcc
	s_mov_b64 vcc, s[34:35]
	s_cbranch_vccnz .LBB12_1477
; %bb.1478:                             ;   in Loop: Header=BB12_1469 Depth=3
	v_accvgpr_read_b32 v10, a50
	v_accvgpr_read_b32 v11, a51
	v_add_co_u32_e32 v0, vcc, v0, v10
	v_addc_co_u32_e32 v3, vcc, v3, v11, vcc
	v_add_co_u32_e32 v2, vcc, v2, v10
	v_addc_co_u32_e32 v9, vcc, v9, v11, vcc
.LBB12_1479:                            ;   in Loop: Header=BB12_1469 Depth=3
	s_or_b64 exec, exec, s[68:69]
	v_accvgpr_read_b32 v10, a50
	v_accvgpr_read_b32 v11, a51
	v_add_co_u32_e32 v4, vcc, v4, v10
	v_addc_co_u32_e32 v5, vcc, v5, v11, vcc
	v_accvgpr_read_b32 v8, a49
	v_add_co_u32_e32 v6, vcc, v6, v10
	v_sub_u32_e32 v12, v12, v8
	v_addc_co_u32_e32 v7, vcc, v7, v11, vcc
	v_cmp_lt_i32_e64 s[66:67], 1, v12
	s_and_saveexec_b64 s[68:69], s[66:67]
	s_cbranch_execz .LBB12_1482
; %bb.1480:                             ;   in Loop: Header=BB12_1469 Depth=3
	v_lshrrev_b32_e64 v8, 6, s33
	v_add_u32_e32 v8, 0xb8, v8
	s_mov_b64 s[72:73], 0
	s_mov_b64 s[70:71], -1
.LBB12_1481:                            ;   Parent Loop BB12_47 Depth=1
                                        ;     Parent Loop BB12_955 Depth=2
                                        ;       Parent Loop BB12_1469 Depth=3
                                        ; =>      This Inner Loop Header: Depth=4
	s_cmp_eq_u32 s72, 1
	s_cselect_b64 s[30:31], -1, 0
	v_cndmask_b32_e64 v11, v5, v7, s[30:31]
	v_cndmask_b32_e64 v10, v4, v6, s[30:31]
	flat_load_ushort v13, v[10:11] glc slc
	v_add_co_u32_e32 v10, vcc, 0x80, v10
	s_cmp_eq_u32 s72, 0
	v_addc_co_u32_e32 v11, vcc, 0, v11, vcc
	s_cselect_b64 vcc, -1, 0
	s_and_b64 s[34:35], exec, s[70:71]
	s_mov_b64 s[72:73], 1
	v_cndmask_b32_e64 v6, v6, v10, s[30:31]
	s_mov_b64 s[70:71], 0
	v_cndmask_b32_e32 v5, v5, v11, vcc
	v_cndmask_b32_e32 v4, v4, v10, vcc
	v_cndmask_b32_e64 v7, v7, v11, s[30:31]
	s_mov_b64 vcc, s[34:35]
	s_waitcnt vmcnt(0) lgkmcnt(0)
	buffer_store_short v13, v8, s[0:3], 0 offen
	v_lshrrev_b32_e64 v8, 6, s33
	v_add_u32_e32 v8, 0xba, v8
	s_cbranch_vccnz .LBB12_1481
.LBB12_1482:                            ;   in Loop: Header=BB12_1469 Depth=3
	s_or_b64 exec, exec, s[68:69]
	buffer_load_ushort v8, off, s[0:3], s33 offset:192
	buffer_load_ushort v10, off, s[0:3], s33 offset:224
	s_waitcnt vmcnt(0)
	v_lshlrev_b32_e32 v8, 16, v8
	v_lshlrev_b32_e32 v10, 16, v10
	v_max_f32_e32 v10, v10, v10
	v_max_f32_e32 v8, v8, v8
	v_min_f32_e32 v11, v8, v10
	v_max_f32_e32 v8, v8, v10
	v_cndmask_b32_e64 v8, v8, v11, s[28:29]
	v_and_b32_e32 v10, 0x7f800000, v8
	v_cmp_ne_u32_e32 vcc, s92, v10
                                        ; implicit-def: $vgpr10
	s_and_saveexec_b64 s[30:31], vcc
	s_xor_b64 vcc, exec, s[30:31]
; %bb.1483:                             ;   in Loop: Header=BB12_1469 Depth=3
	v_bfe_u32 v10, v8, 16, 1
	v_add3_u32 v10, v8, v10, s93
                                        ; implicit-def: $vgpr8
; %bb.1484:                             ;   in Loop: Header=BB12_1469 Depth=3
	s_andn2_saveexec_b64 s[30:31], vcc
; %bb.1485:                             ;   in Loop: Header=BB12_1469 Depth=3
	v_or_b32_e32 v10, 0x10000, v8
	v_cmp_eq_u32_sdwa vcc, v8, v42 src0_sel:WORD_0 src1_sel:DWORD
	v_cndmask_b32_e32 v10, v10, v8, vcc
; %bb.1486:                             ;   in Loop: Header=BB12_1469 Depth=3
	s_or_b64 exec, exec, s[30:31]
	v_lshrrev_b32_e32 v8, 16, v10
	s_mov_b64 s[70:71], 0
	s_mov_b64 s[68:69], -1
	buffer_store_short v8, off, s[0:3], s33 offset:192
.LBB12_1487:                            ;   Parent Loop BB12_47 Depth=1
                                        ;     Parent Loop BB12_955 Depth=2
                                        ;       Parent Loop BB12_1469 Depth=3
                                        ; =>      This Inner Loop Header: Depth=4
	s_cmp_eq_u32 s70, 1
	s_cselect_b64 s[30:31], -1, 0
	v_cndmask_b32_e64 v11, v3, v9, s[30:31]
	v_cndmask_b32_e64 v10, v0, v2, s[30:31]
	flat_store_short v[10:11], v8 glc slc
	v_add_co_u32_e32 v10, vcc, 0x80, v10
	s_cmp_eq_u32 s70, 0
	v_addc_co_u32_e32 v11, vcc, 0, v11, vcc
	s_cselect_b64 vcc, -1, 0
	s_and_b64 s[34:35], exec, s[68:69]
	s_mov_b64 s[70:71], 1
	v_cndmask_b32_e64 v2, v2, v10, s[30:31]
	s_mov_b64 s[68:69], 0
	v_cndmask_b32_e64 v9, v9, v11, s[30:31]
	v_cndmask_b32_e32 v3, v3, v11, vcc
	v_cndmask_b32_e32 v0, v0, v10, vcc
	s_mov_b64 vcc, s[34:35]
	s_cbranch_vccnz .LBB12_1487
; %bb.1488:                             ;   in Loop: Header=BB12_1469 Depth=3
	s_and_saveexec_b64 s[30:31], s[66:67]
	s_cbranch_execz .LBB12_1468
; %bb.1489:                             ;   in Loop: Header=BB12_1469 Depth=3
	v_accvgpr_read_b32 v10, a50
	v_accvgpr_read_b32 v11, a51
	v_add_co_u32_e32 v0, vcc, v0, v10
	v_addc_co_u32_e32 v3, vcc, v3, v11, vcc
	v_add_co_u32_e32 v2, vcc, v2, v10
	v_addc_co_u32_e32 v9, vcc, v9, v11, vcc
	;; [unrolled: 2-line block ×3, first 2 shown]
	v_add_co_u32_e32 v6, vcc, v6, v10
	v_accvgpr_read_b32 v8, a49
	v_addc_co_u32_e32 v7, vcc, v7, v11, vcc
	v_sub_u32_e32 v12, v12, v8
	s_branch .LBB12_1468
.LBB12_1490:                            ;   in Loop: Header=BB12_955 Depth=2
	s_or_b64 exec, exec, s[62:63]
	s_and_b64 s[28:29], s[64:65], exec
.LBB12_1491:                            ;   in Loop: Header=BB12_955 Depth=2
	s_or_b64 exec, exec, s[60:61]
	s_and_b64 exec, exec, s[28:29]
	s_cbranch_execz .LBB12_1498
; %bb.1492:                             ;   in Loop: Header=BB12_955 Depth=2
	buffer_load_ushort v4, off, s[0:3], s33 offset:184
	buffer_load_ushort v5, off, s[0:3], s33 offset:186
	s_waitcnt vmcnt(0)
	v_lshlrev_b32_e32 v4, 16, v4
	v_lshlrev_b32_e32 v5, 16, v5
	v_max_f32_e32 v5, v5, v5
	v_max_f32_e32 v4, v4, v4
	v_min_f32_e32 v6, v4, v5
	v_max_f32_e32 v4, v4, v5
	v_accvgpr_read_b32 v5, a1
	v_cmp_eq_u16_sdwa vcc, v5, v42 src0_sel:BYTE_0 src1_sel:DWORD
	v_cndmask_b32_e32 v4, v4, v6, vcc
	v_and_b32_e32 v5, 0x7f800000, v4
	v_cmp_ne_u32_e32 vcc, s92, v5
                                        ; implicit-def: $vgpr5
	s_and_saveexec_b64 s[28:29], vcc
	s_xor_b64 s[28:29], exec, s[28:29]
; %bb.1493:                             ;   in Loop: Header=BB12_955 Depth=2
	v_bfe_u32 v5, v4, 16, 1
	v_add3_u32 v5, v4, v5, s93
                                        ; implicit-def: $vgpr4
; %bb.1494:                             ;   in Loop: Header=BB12_955 Depth=2
	s_andn2_saveexec_b64 s[28:29], s[28:29]
; %bb.1495:                             ;   in Loop: Header=BB12_955 Depth=2
	v_or_b32_e32 v5, 0x10000, v4
	v_cmp_eq_u32_sdwa vcc, v4, v42 src0_sel:WORD_0 src1_sel:DWORD
	v_cndmask_b32_e32 v5, v5, v4, vcc
; %bb.1496:                             ;   in Loop: Header=BB12_955 Depth=2
	s_or_b64 exec, exec, s[28:29]
	v_lshrrev_b32_e32 v4, 16, v5
	s_mov_b64 s[60:61], 0
	s_mov_b64 s[34:35], -1
.LBB12_1497:                            ;   Parent Loop BB12_47 Depth=1
                                        ;     Parent Loop BB12_955 Depth=2
                                        ; =>    This Inner Loop Header: Depth=3
	s_cmp_eq_u32 s60, 1
	s_cselect_b64 s[28:29], -1, 0
	v_cndmask_b32_e64 v6, v0, v2, s[28:29]
	v_cndmask_b32_e64 v7, v3, v9, s[28:29]
	v_add_co_u32_e32 v5, vcc, 0x80, v6
	s_cmp_eq_u32 s60, 0
	flat_store_short v[6:7], v4 glc slc
	v_addc_co_u32_e32 v6, vcc, 0, v7, vcc
	s_cselect_b64 vcc, -1, 0
	s_and_b64 s[30:31], exec, s[34:35]
	s_mov_b64 s[60:61], 1
	v_cndmask_b32_e64 v2, v2, v5, s[28:29]
	s_mov_b64 s[34:35], 0
	v_cndmask_b32_e64 v9, v9, v6, s[28:29]
	v_cndmask_b32_e32 v3, v3, v6, vcc
	v_cndmask_b32_e32 v0, v0, v5, vcc
	s_mov_b64 vcc, s[30:31]
	s_cbranch_vccnz .LBB12_1497
.LBB12_1498:                            ;   in Loop: Header=BB12_955 Depth=2
	s_or_b64 exec, exec, s[58:59]
.LBB12_1499:                            ;   in Loop: Header=BB12_955 Depth=2
	s_or_b64 exec, exec, s[36:37]
	s_branch .LBB12_1960
.LBB12_1500:                            ;   in Loop: Header=BB12_955 Depth=2
	s_mov_b64 s[30:31], -1
	s_and_saveexec_b64 s[28:29], s[22:23]
	s_cbranch_execz .LBB12_1502
; %bb.1501:                             ;   in Loop: Header=BB12_955 Depth=2
	ds_read_b32 v0, v0 offset:720
	s_waitcnt lgkmcnt(0)
	v_and_b32_e32 v0, 15, v0
	v_cmp_eq_u32_e32 vcc, 0, v0
	s_orn2_b64 s[30:31], vcc, exec
.LBB12_1502:                            ;   in Loop: Header=BB12_955 Depth=2
	s_or_b64 exec, exec, s[28:29]
	s_and_saveexec_b64 s[28:29], s[18:19]
	s_cbranch_execz .LBB12_1504
; %bb.1503:                             ;   in Loop: Header=BB12_955 Depth=2
	ds_read_b32 v0, v0 offset:784
	s_waitcnt lgkmcnt(0)
	v_and_b32_e32 v0, 15, v0
	v_cmp_eq_u32_e32 vcc, 0, v0
	s_and_b64 vcc, s[30:31], vcc
	s_andn2_b64 s[30:31], s[30:31], exec
	s_and_b64 vcc, vcc, exec
	s_or_b64 s[30:31], s[30:31], vcc
.LBB12_1504:                            ;   in Loop: Header=BB12_955 Depth=2
	s_or_b64 exec, exec, s[28:29]
	s_xor_b64 vcc, s[30:31], -1
	v_cndmask_b32_e64 v0, 0, 1, vcc
	s_mov_b64 s[28:29], -1
	;;#ASMSTART
	;;#ASMEND
	v_cmp_ne_u32_e32 vcc, 0, v0
	v_and_b32_e32 v24, 1, v30
	s_cbranch_vccz .LBB12_1641
; %bb.1505:                             ;   in Loop: Header=BB12_955 Depth=2
	v_and_b32_e32 v10, 1, v30
	s_mov_b64 s[58:59], -1
	s_mov_b32 s30, 0
	s_cbranch_execnz .LBB12_1642
.LBB12_1506:                            ;   in Loop: Header=BB12_955 Depth=2
	v_ashrrev_i32_e32 v0, 31, v57
	v_lshrrev_b32_e32 v0, 21, v0
	s_trap 2
	ds_read_b64 v[2:3], v0
	v_add_u32_e32 v0, v57, v0
	v_ashrrev_i32_e32 v25, 11, v0
	v_accvgpr_read_b32 v0, a31
	v_sub_u32_e32 v53, v25, v0
	v_accvgpr_read_b32 v0, a44
	s_waitcnt lgkmcnt(0)
	v_add_co_u32_e32 v4, vcc, v2, v0
	v_accvgpr_read_b32 v5, a45
	v_addc_co_u32_e32 v5, vcc, v3, v5, vcc
	v_accvgpr_write_b32 a9, v49
	v_cmp_lt_i32_e32 vcc, 0, v53
	s_mov_b64 s[28:29], 0
                                        ; implicit-def: $vgpr20_vgpr21
                                        ; implicit-def: $vgpr12_vgpr13
                                        ; implicit-def: $vgpr16_vgpr17
                                        ; implicit-def: $vgpr8_vgpr9
	s_and_saveexec_b64 s[30:31], vcc
	s_cbranch_execz .LBB12_1644
; %bb.1507:                             ;   in Loop: Header=BB12_955 Depth=2
	s_trap 2
	ds_read_b128 v[6:9], v0
	v_accvgpr_read_b32 v0, a44
	v_accvgpr_read_b32 v11, a45
	v_accvgpr_write_b32 a1, v25
	v_accvgpr_write_b32 a0, v24
	s_waitcnt lgkmcnt(0)
	v_add_co_u32_e32 v30, vcc, v6, v0
	v_addc_co_u32_e32 v31, vcc, v7, v11, vcc
	v_add_co_u32_e32 v6, vcc, v8, v0
	v_addc_co_u32_e32 v7, vcc, v9, v11, vcc
	v_cmp_eq_u16_e64 s[28:29], 0, v24
	s_mov_b64 s[60:61], 0
	s_mov_b64 s[34:35], 0
                                        ; implicit-def: $sgpr36_sgpr37
                                        ; implicit-def: $vgpr20_vgpr21
                                        ; implicit-def: $vgpr12_vgpr13
                                        ; implicit-def: $vgpr16_vgpr17
                                        ; implicit-def: $vgpr8_vgpr9
	s_branch .LBB12_1509
.LBB12_1508:                            ;   in Loop: Header=BB12_1509 Depth=3
	s_or_b64 exec, exec, s[62:63]
	v_lshrrev_b32_e32 v33, 16, v48
	v_lshrrev_b32_e32 v0, 16, v0
	v_and_or_b32 v35, v37, s94, v33
	v_lshrrev_b32_e32 v33, 16, v54
	v_and_or_b32 v25, v25, s94, v0
	;; [unrolled: 2-line block ×7, first 2 shown]
	v_and_or_b32 v27, v27, s94, v0
	global_store_dwordx4 v[4:5], v[34:37], off glc slc
	global_store_dwordx4 v[4:5], v[24:27], off offset:1024 glc slc
	v_accvgpr_read_b32 v28, a36
	v_accvgpr_read_b32 v26, a28
	;; [unrolled: 1-line block ×3, first 2 shown]
	v_add_co_u32_e32 v0, vcc, v30, v26
	v_addc_co_u32_e32 v24, vcc, v31, v27, vcc
	v_add_co_u32_e32 v25, vcc, v6, v26
	v_mov_b32_e32 v32, 0x800
	v_addc_co_u32_e32 v26, vcc, v7, v27, vcc
	v_accvgpr_read_b32 v27, a37
	v_cndmask_b32_e64 v28, v32, v28, s[60:61]
	v_cndmask_b32_e64 v30, v30, v0, s[60:61]
	v_accvgpr_read_b32 v0, a22
	v_cndmask_b32_e64 v27, 0, v27, s[60:61]
	v_add_co_u32_e32 v4, vcc, v4, v28
	v_cndmask_b32_e64 v0, 0, v0, s[60:61]
	v_addc_co_u32_e32 v5, vcc, v5, v27, vcc
	v_sub_u32_e32 v53, v53, v0
	v_cmp_gt_i32_e32 vcc, 1, v53
	s_or_b64 s[34:35], vcc, s[34:35]
	s_andn2_b64 vcc, s[36:37], exec
	s_and_b64 s[36:37], s[60:61], exec
	v_cndmask_b32_e64 v31, v31, v24, s[60:61]
	v_cndmask_b32_e64 v7, v7, v26, s[60:61]
	;; [unrolled: 1-line block ×3, first 2 shown]
	s_or_b64 s[36:37], vcc, s[36:37]
	s_andn2_b64 exec, exec, s[34:35]
	s_cbranch_execz .LBB12_1643
.LBB12_1509:                            ;   Parent Loop BB12_47 Depth=1
                                        ;     Parent Loop BB12_955 Depth=2
                                        ; =>    This Inner Loop Header: Depth=3
	global_load_dwordx4 v[36:39], v[30:31], off glc slc
	global_load_dwordx4 v[24:27], v[30:31], off offset:1024 glc slc
	global_load_dwordx4 v[48:51], v[6:7], off glc slc
	global_load_dwordx4 v[32:35], v[6:7], off offset:1024 glc slc
	s_and_saveexec_b64 s[62:63], s[60:61]
	s_cbranch_execz .LBB12_1575
; %bb.1510:                             ;   in Loop: Header=BB12_1509 Depth=3
	v_lshlrev_b32_e32 v0, 16, v20
	v_lshlrev_b32_e32 v28, 16, v16
	v_max_f32_e32 v28, v28, v28
	v_max_f32_e32 v0, v0, v0
	v_min_f32_e32 v54, v0, v28
	v_max_f32_e32 v0, v0, v28
	v_cndmask_b32_e64 v0, v0, v54, s[28:29]
	v_and_b32_e32 v28, 0x7f800000, v0
	v_cmp_ne_u32_e32 vcc, s92, v28
                                        ; implicit-def: $vgpr54
	s_and_saveexec_b64 s[60:61], vcc
	s_xor_b64 vcc, exec, s[60:61]
; %bb.1511:                             ;   in Loop: Header=BB12_1509 Depth=3
	v_bfe_u32 v28, v0, 16, 1
	v_add3_u32 v54, v0, v28, s93
                                        ; implicit-def: $vgpr0
; %bb.1512:                             ;   in Loop: Header=BB12_1509 Depth=3
	s_andn2_saveexec_b64 s[60:61], vcc
; %bb.1513:                             ;   in Loop: Header=BB12_1509 Depth=3
	v_or_b32_e32 v28, 0x10000, v0
	v_cmp_eq_u32_sdwa vcc, v0, v42 src0_sel:WORD_0 src1_sel:DWORD
	v_cndmask_b32_e32 v54, v28, v0, vcc
; %bb.1514:                             ;   in Loop: Header=BB12_1509 Depth=3
	s_or_b64 exec, exec, s[60:61]
	v_and_b32_e32 v0, 0xffff0000, v20
	v_and_b32_e32 v20, 0xffff0000, v16
	v_max_f32_e32 v20, v20, v20
	v_max_f32_e32 v0, v0, v0
	v_min_f32_e32 v28, v0, v20
	v_max_f32_e32 v0, v0, v20
	v_cndmask_b32_e64 v0, v0, v28, s[28:29]
	v_and_b32_e32 v20, 0x7f800000, v0
	v_cmp_ne_u32_e32 vcc, s92, v20
                                        ; implicit-def: $vgpr20
	s_and_saveexec_b64 s[60:61], vcc
	s_xor_b64 vcc, exec, s[60:61]
; %bb.1515:                             ;   in Loop: Header=BB12_1509 Depth=3
	v_bfe_u32 v20, v0, 16, 1
	v_add3_u32 v20, v0, v20, s93
                                        ; implicit-def: $vgpr0
; %bb.1516:                             ;   in Loop: Header=BB12_1509 Depth=3
	s_andn2_saveexec_b64 s[60:61], vcc
; %bb.1517:                             ;   in Loop: Header=BB12_1509 Depth=3
	v_or_b32_e32 v20, 0x10000, v0
	v_cmp_eq_u32_sdwa vcc, v0, v42 src0_sel:WORD_0 src1_sel:DWORD
	v_cndmask_b32_e32 v20, v20, v0, vcc
; %bb.1518:                             ;   in Loop: Header=BB12_1509 Depth=3
	s_or_b64 exec, exec, s[60:61]
	v_lshlrev_b32_e32 v0, 16, v21
	v_lshlrev_b32_e32 v28, 16, v17
	v_max_f32_e32 v28, v28, v28
	v_max_f32_e32 v0, v0, v0
	v_min_f32_e32 v55, v0, v28
	v_max_f32_e32 v0, v0, v28
	v_cndmask_b32_e64 v0, v0, v55, s[28:29]
	v_and_b32_e32 v28, 0x7f800000, v0
	v_cmp_ne_u32_e32 vcc, s92, v28
                                        ; implicit-def: $vgpr55
	s_and_saveexec_b64 s[60:61], vcc
	s_xor_b64 vcc, exec, s[60:61]
; %bb.1519:                             ;   in Loop: Header=BB12_1509 Depth=3
	v_bfe_u32 v28, v0, 16, 1
	v_add3_u32 v55, v0, v28, s93
                                        ; implicit-def: $vgpr0
; %bb.1520:                             ;   in Loop: Header=BB12_1509 Depth=3
	s_andn2_saveexec_b64 s[60:61], vcc
; %bb.1521:                             ;   in Loop: Header=BB12_1509 Depth=3
	v_or_b32_e32 v28, 0x10000, v0
	v_cmp_eq_u32_sdwa vcc, v0, v42 src0_sel:WORD_0 src1_sel:DWORD
	v_cndmask_b32_e32 v55, v28, v0, vcc
; %bb.1522:                             ;   in Loop: Header=BB12_1509 Depth=3
	s_or_b64 exec, exec, s[60:61]
	v_and_b32_e32 v0, 0xffff0000, v21
	v_and_b32_e32 v21, 0xffff0000, v17
	v_max_f32_e32 v21, v21, v21
	v_max_f32_e32 v0, v0, v0
	v_min_f32_e32 v28, v0, v21
	v_max_f32_e32 v0, v0, v21
	v_cndmask_b32_e64 v0, v0, v28, s[28:29]
	v_and_b32_e32 v21, 0x7f800000, v0
	v_cmp_ne_u32_e32 vcc, s92, v21
                                        ; implicit-def: $vgpr21
	s_and_saveexec_b64 s[60:61], vcc
	s_xor_b64 vcc, exec, s[60:61]
; %bb.1523:                             ;   in Loop: Header=BB12_1509 Depth=3
	v_bfe_u32 v21, v0, 16, 1
	v_add3_u32 v21, v0, v21, s93
                                        ; implicit-def: $vgpr0
; %bb.1524:                             ;   in Loop: Header=BB12_1509 Depth=3
	s_andn2_saveexec_b64 s[60:61], vcc
; %bb.1525:                             ;   in Loop: Header=BB12_1509 Depth=3
	v_or_b32_e32 v21, 0x10000, v0
	v_cmp_eq_u32_sdwa vcc, v0, v42 src0_sel:WORD_0 src1_sel:DWORD
	v_cndmask_b32_e32 v21, v21, v0, vcc
; %bb.1526:                             ;   in Loop: Header=BB12_1509 Depth=3
	s_or_b64 exec, exec, s[60:61]
	v_lshlrev_b32_e32 v0, 16, v22
	v_lshlrev_b32_e32 v28, 16, v18
	v_max_f32_e32 v28, v28, v28
	v_max_f32_e32 v0, v0, v0
	v_min_f32_e32 v40, v0, v28
	v_max_f32_e32 v0, v0, v28
	v_cndmask_b32_e64 v0, v0, v40, s[28:29]
	v_and_b32_e32 v28, 0x7f800000, v0
	v_cmp_ne_u32_e32 vcc, s92, v28
                                        ; implicit-def: $vgpr43
	s_and_saveexec_b64 s[60:61], vcc
	s_xor_b64 vcc, exec, s[60:61]
; %bb.1527:                             ;   in Loop: Header=BB12_1509 Depth=3
	v_bfe_u32 v28, v0, 16, 1
	v_add3_u32 v43, v0, v28, s93
                                        ; implicit-def: $vgpr0
; %bb.1528:                             ;   in Loop: Header=BB12_1509 Depth=3
	s_andn2_saveexec_b64 s[60:61], vcc
; %bb.1529:                             ;   in Loop: Header=BB12_1509 Depth=3
	v_or_b32_e32 v28, 0x10000, v0
	v_cmp_eq_u32_sdwa vcc, v0, v42 src0_sel:WORD_0 src1_sel:DWORD
	v_cndmask_b32_e32 v43, v28, v0, vcc
; %bb.1530:                             ;   in Loop: Header=BB12_1509 Depth=3
	s_or_b64 exec, exec, s[60:61]
	v_and_b32_e32 v0, 0xffff0000, v22
	v_and_b32_e32 v22, 0xffff0000, v18
	v_max_f32_e32 v22, v22, v22
	v_max_f32_e32 v0, v0, v0
	v_min_f32_e32 v28, v0, v22
	v_max_f32_e32 v0, v0, v22
	v_cndmask_b32_e64 v0, v0, v28, s[28:29]
	v_and_b32_e32 v22, 0x7f800000, v0
	v_cmp_ne_u32_e32 vcc, s92, v22
                                        ; implicit-def: $vgpr22
	s_and_saveexec_b64 s[60:61], vcc
	s_xor_b64 vcc, exec, s[60:61]
; %bb.1531:                             ;   in Loop: Header=BB12_1509 Depth=3
	v_bfe_u32 v22, v0, 16, 1
	v_add3_u32 v22, v0, v22, s93
                                        ; implicit-def: $vgpr0
; %bb.1532:                             ;   in Loop: Header=BB12_1509 Depth=3
	s_andn2_saveexec_b64 s[60:61], vcc
; %bb.1533:                             ;   in Loop: Header=BB12_1509 Depth=3
	v_or_b32_e32 v22, 0x10000, v0
	v_cmp_eq_u32_sdwa vcc, v0, v42 src0_sel:WORD_0 src1_sel:DWORD
	v_cndmask_b32_e32 v22, v22, v0, vcc
; %bb.1534:                             ;   in Loop: Header=BB12_1509 Depth=3
	s_or_b64 exec, exec, s[60:61]
	v_lshlrev_b32_e32 v0, 16, v23
	v_lshlrev_b32_e32 v28, 16, v19
	v_max_f32_e32 v28, v28, v28
	v_max_f32_e32 v0, v0, v0
	v_min_f32_e32 v40, v0, v28
	v_max_f32_e32 v0, v0, v28
	v_cndmask_b32_e64 v0, v0, v40, s[28:29]
	v_and_b32_e32 v28, 0x7f800000, v0
	v_cmp_ne_u32_e32 vcc, s92, v28
                                        ; implicit-def: $vgpr58
	s_and_saveexec_b64 s[60:61], vcc
	s_xor_b64 vcc, exec, s[60:61]
; %bb.1535:                             ;   in Loop: Header=BB12_1509 Depth=3
	v_bfe_u32 v28, v0, 16, 1
	v_add3_u32 v58, v0, v28, s93
                                        ; implicit-def: $vgpr0
; %bb.1536:                             ;   in Loop: Header=BB12_1509 Depth=3
	s_andn2_saveexec_b64 s[60:61], vcc
; %bb.1537:                             ;   in Loop: Header=BB12_1509 Depth=3
	v_or_b32_e32 v28, 0x10000, v0
	v_cmp_eq_u32_sdwa vcc, v0, v42 src0_sel:WORD_0 src1_sel:DWORD
	v_cndmask_b32_e32 v58, v28, v0, vcc
; %bb.1538:                             ;   in Loop: Header=BB12_1509 Depth=3
	s_or_b64 exec, exec, s[60:61]
	v_and_b32_e32 v0, 0xffff0000, v23
	v_and_b32_e32 v23, 0xffff0000, v19
	v_max_f32_e32 v23, v23, v23
	v_max_f32_e32 v0, v0, v0
	v_min_f32_e32 v28, v0, v23
	v_max_f32_e32 v0, v0, v23
	v_cndmask_b32_e64 v0, v0, v28, s[28:29]
	v_and_b32_e32 v23, 0x7f800000, v0
	v_cmp_ne_u32_e32 vcc, s92, v23
                                        ; implicit-def: $vgpr23
	s_and_saveexec_b64 s[60:61], vcc
	s_xor_b64 vcc, exec, s[60:61]
; %bb.1539:                             ;   in Loop: Header=BB12_1509 Depth=3
	v_bfe_u32 v23, v0, 16, 1
	v_add3_u32 v23, v0, v23, s93
                                        ; implicit-def: $vgpr0
; %bb.1540:                             ;   in Loop: Header=BB12_1509 Depth=3
	s_andn2_saveexec_b64 s[60:61], vcc
; %bb.1541:                             ;   in Loop: Header=BB12_1509 Depth=3
	v_or_b32_e32 v23, 0x10000, v0
	v_cmp_eq_u32_sdwa vcc, v0, v42 src0_sel:WORD_0 src1_sel:DWORD
	v_cndmask_b32_e32 v23, v23, v0, vcc
; %bb.1542:                             ;   in Loop: Header=BB12_1509 Depth=3
	s_or_b64 exec, exec, s[60:61]
	v_lshlrev_b32_e32 v0, 16, v12
	v_lshlrev_b32_e32 v28, 16, v8
	v_max_f32_e32 v28, v28, v28
	v_max_f32_e32 v0, v0, v0
	v_min_f32_e32 v40, v0, v28
	v_max_f32_e32 v0, v0, v28
	v_cndmask_b32_e64 v0, v0, v40, s[28:29]
	v_and_b32_e32 v28, 0x7f800000, v0
	v_cmp_ne_u32_e32 vcc, s92, v28
                                        ; implicit-def: $vgpr59
	s_and_saveexec_b64 s[60:61], vcc
	s_xor_b64 vcc, exec, s[60:61]
; %bb.1543:                             ;   in Loop: Header=BB12_1509 Depth=3
	v_bfe_u32 v28, v0, 16, 1
	v_add3_u32 v59, v0, v28, s93
                                        ; implicit-def: $vgpr0
; %bb.1544:                             ;   in Loop: Header=BB12_1509 Depth=3
	s_andn2_saveexec_b64 s[60:61], vcc
; %bb.1545:                             ;   in Loop: Header=BB12_1509 Depth=3
	v_or_b32_e32 v28, 0x10000, v0
	v_cmp_eq_u32_sdwa vcc, v0, v42 src0_sel:WORD_0 src1_sel:DWORD
	v_cndmask_b32_e32 v59, v28, v0, vcc
; %bb.1546:                             ;   in Loop: Header=BB12_1509 Depth=3
	s_or_b64 exec, exec, s[60:61]
	v_and_b32_e32 v0, 0xffff0000, v12
	v_and_b32_e32 v12, 0xffff0000, v8
	v_max_f32_e32 v12, v12, v12
	v_max_f32_e32 v0, v0, v0
	v_min_f32_e32 v28, v0, v12
	v_max_f32_e32 v0, v0, v12
	v_cndmask_b32_e64 v0, v0, v28, s[28:29]
	v_and_b32_e32 v12, 0x7f800000, v0
	v_cmp_ne_u32_e32 vcc, s92, v12
                                        ; implicit-def: $vgpr12
	s_and_saveexec_b64 s[60:61], vcc
	s_xor_b64 vcc, exec, s[60:61]
; %bb.1547:                             ;   in Loop: Header=BB12_1509 Depth=3
	v_bfe_u32 v12, v0, 16, 1
	v_add3_u32 v12, v0, v12, s93
                                        ; implicit-def: $vgpr0
; %bb.1548:                             ;   in Loop: Header=BB12_1509 Depth=3
	s_andn2_saveexec_b64 s[60:61], vcc
; %bb.1549:                             ;   in Loop: Header=BB12_1509 Depth=3
	v_or_b32_e32 v12, 0x10000, v0
	v_cmp_eq_u32_sdwa vcc, v0, v42 src0_sel:WORD_0 src1_sel:DWORD
	v_cndmask_b32_e32 v12, v12, v0, vcc
; %bb.1550:                             ;   in Loop: Header=BB12_1509 Depth=3
	s_or_b64 exec, exec, s[60:61]
	v_lshlrev_b32_e32 v0, 16, v13
	v_lshlrev_b32_e32 v28, 16, v9
	v_max_f32_e32 v28, v28, v28
	v_max_f32_e32 v0, v0, v0
	v_min_f32_e32 v40, v0, v28
	v_max_f32_e32 v0, v0, v28
	v_cndmask_b32_e64 v28, v0, v40, s[28:29]
	v_and_b32_e32 v0, 0x7f800000, v28
	v_cmp_ne_u32_e32 vcc, s92, v0
                                        ; implicit-def: $vgpr0
	s_and_saveexec_b64 s[60:61], vcc
	s_xor_b64 vcc, exec, s[60:61]
; %bb.1551:                             ;   in Loop: Header=BB12_1509 Depth=3
	v_bfe_u32 v0, v28, 16, 1
	v_add3_u32 v0, v28, v0, s93
                                        ; implicit-def: $vgpr28
; %bb.1552:                             ;   in Loop: Header=BB12_1509 Depth=3
	s_andn2_saveexec_b64 s[60:61], vcc
; %bb.1553:                             ;   in Loop: Header=BB12_1509 Depth=3
	v_or_b32_e32 v0, 0x10000, v28
	v_cmp_eq_u32_sdwa vcc, v28, v42 src0_sel:WORD_0 src1_sel:DWORD
	v_cndmask_b32_e32 v0, v0, v28, vcc
; %bb.1554:                             ;   in Loop: Header=BB12_1509 Depth=3
	s_or_b64 exec, exec, s[60:61]
	v_and_b32_e32 v13, 0xffff0000, v13
	v_and_b32_e32 v28, 0xffff0000, v9
	v_max_f32_e32 v28, v28, v28
	v_max_f32_e32 v13, v13, v13
	v_min_f32_e32 v40, v13, v28
	v_max_f32_e32 v13, v13, v28
	v_cndmask_b32_e64 v28, v13, v40, s[28:29]
	v_and_b32_e32 v13, 0x7f800000, v28
	v_cmp_ne_u32_e32 vcc, s92, v13
                                        ; implicit-def: $vgpr13
	s_and_saveexec_b64 s[60:61], vcc
	s_xor_b64 vcc, exec, s[60:61]
; %bb.1555:                             ;   in Loop: Header=BB12_1509 Depth=3
	v_bfe_u32 v13, v28, 16, 1
	v_add3_u32 v13, v28, v13, s93
                                        ; implicit-def: $vgpr28
; %bb.1556:                             ;   in Loop: Header=BB12_1509 Depth=3
	s_andn2_saveexec_b64 s[60:61], vcc
; %bb.1557:                             ;   in Loop: Header=BB12_1509 Depth=3
	v_or_b32_e32 v13, 0x10000, v28
	v_cmp_eq_u32_sdwa vcc, v28, v42 src0_sel:WORD_0 src1_sel:DWORD
	v_cndmask_b32_e32 v13, v13, v28, vcc
; %bb.1558:                             ;   in Loop: Header=BB12_1509 Depth=3
	s_or_b64 exec, exec, s[60:61]
	v_lshlrev_b32_e32 v28, 16, v14
	v_lshlrev_b32_e32 v40, 16, v10
	v_max_f32_e32 v40, v40, v40
	v_max_f32_e32 v28, v28, v28
	v_min_f32_e32 v41, v28, v40
	v_max_f32_e32 v28, v28, v40
	v_cndmask_b32_e64 v28, v28, v41, s[28:29]
	v_and_b32_e32 v40, 0x7f800000, v28
	v_cmp_ne_u32_e32 vcc, s92, v40
                                        ; implicit-def: $vgpr41
	s_and_saveexec_b64 s[60:61], vcc
	s_xor_b64 vcc, exec, s[60:61]
; %bb.1559:                             ;   in Loop: Header=BB12_1509 Depth=3
	v_bfe_u32 v40, v28, 16, 1
	v_add3_u32 v41, v28, v40, s93
                                        ; implicit-def: $vgpr28
; %bb.1560:                             ;   in Loop: Header=BB12_1509 Depth=3
	s_andn2_saveexec_b64 s[60:61], vcc
; %bb.1561:                             ;   in Loop: Header=BB12_1509 Depth=3
	v_or_b32_e32 v40, 0x10000, v28
	v_cmp_eq_u32_sdwa vcc, v28, v42 src0_sel:WORD_0 src1_sel:DWORD
	v_cndmask_b32_e32 v41, v40, v28, vcc
; %bb.1562:                             ;   in Loop: Header=BB12_1509 Depth=3
	s_or_b64 exec, exec, s[60:61]
	v_and_b32_e32 v14, 0xffff0000, v14
	v_and_b32_e32 v28, 0xffff0000, v10
	v_max_f32_e32 v28, v28, v28
	v_max_f32_e32 v14, v14, v14
	v_min_f32_e32 v40, v14, v28
	v_max_f32_e32 v14, v14, v28
	v_cndmask_b32_e64 v28, v14, v40, s[28:29]
	v_and_b32_e32 v14, 0x7f800000, v28
	v_cmp_ne_u32_e32 vcc, s92, v14
                                        ; implicit-def: $vgpr14
	s_and_saveexec_b64 s[60:61], vcc
	s_xor_b64 vcc, exec, s[60:61]
; %bb.1563:                             ;   in Loop: Header=BB12_1509 Depth=3
	v_bfe_u32 v14, v28, 16, 1
	v_add3_u32 v14, v28, v14, s93
                                        ; implicit-def: $vgpr28
; %bb.1564:                             ;   in Loop: Header=BB12_1509 Depth=3
	s_andn2_saveexec_b64 s[60:61], vcc
; %bb.1565:                             ;   in Loop: Header=BB12_1509 Depth=3
	v_or_b32_e32 v14, 0x10000, v28
	v_cmp_eq_u32_sdwa vcc, v28, v42 src0_sel:WORD_0 src1_sel:DWORD
	v_cndmask_b32_e32 v14, v14, v28, vcc
; %bb.1566:                             ;   in Loop: Header=BB12_1509 Depth=3
	s_or_b64 exec, exec, s[60:61]
	v_lshlrev_b32_e32 v28, 16, v15
	v_lshlrev_b32_e32 v40, 16, v11
	v_max_f32_e32 v40, v40, v40
	v_max_f32_e32 v28, v28, v28
	v_min_f32_e32 v52, v28, v40
	v_max_f32_e32 v28, v28, v40
	v_cndmask_b32_e64 v40, v28, v52, s[28:29]
	v_and_b32_e32 v28, 0x7f800000, v40
	v_cmp_ne_u32_e32 vcc, s92, v28
                                        ; implicit-def: $vgpr28
	s_and_saveexec_b64 s[60:61], vcc
	s_xor_b64 vcc, exec, s[60:61]
; %bb.1567:                             ;   in Loop: Header=BB12_1509 Depth=3
	v_bfe_u32 v28, v40, 16, 1
	v_add3_u32 v28, v40, v28, s93
                                        ; implicit-def: $vgpr40
; %bb.1568:                             ;   in Loop: Header=BB12_1509 Depth=3
	s_andn2_saveexec_b64 s[60:61], vcc
; %bb.1569:                             ;   in Loop: Header=BB12_1509 Depth=3
	v_or_b32_e32 v28, 0x10000, v40
	v_cmp_eq_u32_sdwa vcc, v40, v42 src0_sel:WORD_0 src1_sel:DWORD
	v_cndmask_b32_e32 v28, v28, v40, vcc
; %bb.1570:                             ;   in Loop: Header=BB12_1509 Depth=3
	s_or_b64 exec, exec, s[60:61]
	v_and_b32_e32 v15, 0xffff0000, v15
	v_and_b32_e32 v52, 0xffff0000, v11
	v_max_f32_e32 v52, v52, v52
	v_max_f32_e32 v15, v15, v15
	v_min_f32_e32 v40, v15, v52
	v_max_f32_e32 v15, v15, v52
	v_cndmask_b32_e64 v40, v15, v40, s[28:29]
	v_and_b32_e32 v15, 0x7f800000, v40
	v_cmp_ne_u32_e32 vcc, s92, v15
                                        ; implicit-def: $vgpr15
	s_and_saveexec_b64 s[60:61], vcc
	s_xor_b64 vcc, exec, s[60:61]
; %bb.1571:                             ;   in Loop: Header=BB12_1509 Depth=3
	v_bfe_u32 v15, v40, 16, 1
	v_add3_u32 v15, v40, v15, s93
                                        ; implicit-def: $vgpr40
; %bb.1572:                             ;   in Loop: Header=BB12_1509 Depth=3
	s_andn2_saveexec_b64 s[60:61], vcc
; %bb.1573:                             ;   in Loop: Header=BB12_1509 Depth=3
	v_or_b32_e32 v15, 0x10000, v40
	v_cmp_eq_u32_sdwa vcc, v40, v42 src0_sel:WORD_0 src1_sel:DWORD
	v_cndmask_b32_e32 v15, v15, v40, vcc
; %bb.1574:                             ;   in Loop: Header=BB12_1509 Depth=3
	s_or_b64 exec, exec, s[60:61]
	v_lshrrev_b32_e32 v52, 16, v55
	v_lshrrev_b32_e32 v0, 16, v0
	v_and_or_b32 v21, v21, s94, v52
	v_lshrrev_b32_e32 v52, 16, v54
	v_and_or_b32 v13, v13, s94, v0
	;; [unrolled: 2-line block ×7, first 2 shown]
	v_and_or_b32 v15, v15, s94, v0
	v_accvgpr_read_b32 v0, a36
	global_store_dwordx4 v[4:5], v[20:23], off glc slc
	global_store_dwordx4 v[4:5], v[12:15], off offset:1024 glc slc
	v_add_co_u32_e32 v4, vcc, v4, v0
	v_accvgpr_read_b32 v0, a37
	v_addc_co_u32_e32 v5, vcc, v5, v0, vcc
.LBB12_1575:                            ;   in Loop: Header=BB12_1509 Depth=3
	s_or_b64 exec, exec, s[62:63]
	v_accvgpr_read_b32 v0, a36
	v_add_co_u32_e32 v30, vcc, v30, v0
	v_accvgpr_read_b32 v28, a37
	v_addc_co_u32_e32 v31, vcc, v31, v28, vcc
	v_add_co_u32_e32 v6, vcc, v6, v0
	v_accvgpr_read_b32 v0, a22
	v_sub_u32_e32 v53, v53, v0
	v_addc_co_u32_e32 v7, vcc, v7, v28, vcc
	v_cmp_lt_i32_e64 s[60:61], 0, v53
	s_and_saveexec_b64 s[62:63], s[60:61]
	s_cbranch_execz .LBB12_1577
; %bb.1576:                             ;   in Loop: Header=BB12_1509 Depth=3
	global_load_dwordx4 v[20:23], v[30:31], off glc slc
	global_load_dwordx4 v[12:15], v[30:31], off offset:1024 glc slc
	global_load_dwordx4 v[16:19], v[6:7], off glc slc
	global_load_dwordx4 v[8:11], v[6:7], off offset:1024 glc slc
	v_add_co_u32_e32 v30, vcc, s80, v30
	v_addc_co_u32_e32 v31, vcc, 0, v31, vcc
	v_add_co_u32_e32 v6, vcc, 0x800, v6
	v_addc_co_u32_e32 v7, vcc, 0, v7, vcc
.LBB12_1577:                            ;   in Loop: Header=BB12_1509 Depth=3
	s_or_b64 exec, exec, s[62:63]
	s_waitcnt vmcnt(0)
	v_lshlrev_b32_e32 v0, 16, v36
	v_lshlrev_b32_e32 v28, 16, v48
	v_max_f32_e32 v28, v28, v28
	v_max_f32_e32 v0, v0, v0
	v_min_f32_e32 v52, v0, v28
	v_max_f32_e32 v0, v0, v28
	v_cndmask_b32_e64 v0, v0, v52, s[28:29]
	v_and_b32_e32 v28, 0x7f800000, v0
	v_cmp_ne_u32_e32 vcc, s92, v28
                                        ; implicit-def: $vgpr54
	s_and_saveexec_b64 s[62:63], vcc
	s_xor_b64 vcc, exec, s[62:63]
; %bb.1578:                             ;   in Loop: Header=BB12_1509 Depth=3
	v_bfe_u32 v28, v0, 16, 1
	v_add3_u32 v54, v0, v28, s93
                                        ; implicit-def: $vgpr0
; %bb.1579:                             ;   in Loop: Header=BB12_1509 Depth=3
	s_andn2_saveexec_b64 s[62:63], vcc
; %bb.1580:                             ;   in Loop: Header=BB12_1509 Depth=3
	v_or_b32_e32 v28, 0x10000, v0
	v_cmp_eq_u32_sdwa vcc, v0, v42 src0_sel:WORD_0 src1_sel:DWORD
	v_cndmask_b32_e32 v54, v28, v0, vcc
; %bb.1581:                             ;   in Loop: Header=BB12_1509 Depth=3
	s_or_b64 exec, exec, s[62:63]
	v_and_b32_e32 v0, 0xffff0000, v36
	v_and_b32_e32 v28, 0xffff0000, v48
	v_max_f32_e32 v28, v28, v28
	v_max_f32_e32 v0, v0, v0
	v_min_f32_e32 v36, v0, v28
	v_max_f32_e32 v0, v0, v28
	v_cndmask_b32_e64 v0, v0, v36, s[28:29]
	v_and_b32_e32 v28, 0x7f800000, v0
	v_cmp_ne_u32_e32 vcc, s92, v28
                                        ; implicit-def: $vgpr36
	s_and_saveexec_b64 s[62:63], vcc
	s_xor_b64 vcc, exec, s[62:63]
; %bb.1582:                             ;   in Loop: Header=BB12_1509 Depth=3
	v_bfe_u32 v28, v0, 16, 1
	v_add3_u32 v36, v0, v28, s93
                                        ; implicit-def: $vgpr0
; %bb.1583:                             ;   in Loop: Header=BB12_1509 Depth=3
	s_andn2_saveexec_b64 s[62:63], vcc
; %bb.1584:                             ;   in Loop: Header=BB12_1509 Depth=3
	v_or_b32_e32 v28, 0x10000, v0
	v_cmp_eq_u32_sdwa vcc, v0, v42 src0_sel:WORD_0 src1_sel:DWORD
	v_cndmask_b32_e32 v36, v28, v0, vcc
; %bb.1585:                             ;   in Loop: Header=BB12_1509 Depth=3
	s_or_b64 exec, exec, s[62:63]
	v_lshlrev_b32_e32 v0, 16, v37
	v_lshlrev_b32_e32 v28, 16, v49
	v_max_f32_e32 v28, v28, v28
	v_max_f32_e32 v0, v0, v0
	v_min_f32_e32 v48, v0, v28
	v_max_f32_e32 v0, v0, v28
	v_cndmask_b32_e64 v0, v0, v48, s[28:29]
	v_and_b32_e32 v28, 0x7f800000, v0
	v_cmp_ne_u32_e32 vcc, s92, v28
                                        ; implicit-def: $vgpr48
	s_and_saveexec_b64 s[62:63], vcc
	s_xor_b64 vcc, exec, s[62:63]
; %bb.1586:                             ;   in Loop: Header=BB12_1509 Depth=3
	v_bfe_u32 v28, v0, 16, 1
	v_add3_u32 v48, v0, v28, s93
                                        ; implicit-def: $vgpr0
; %bb.1587:                             ;   in Loop: Header=BB12_1509 Depth=3
	s_andn2_saveexec_b64 s[62:63], vcc
; %bb.1588:                             ;   in Loop: Header=BB12_1509 Depth=3
	v_or_b32_e32 v28, 0x10000, v0
	v_cmp_eq_u32_sdwa vcc, v0, v42 src0_sel:WORD_0 src1_sel:DWORD
	v_cndmask_b32_e32 v48, v28, v0, vcc
; %bb.1589:                             ;   in Loop: Header=BB12_1509 Depth=3
	s_or_b64 exec, exec, s[62:63]
	v_and_b32_e32 v0, 0xffff0000, v37
	v_and_b32_e32 v28, 0xffff0000, v49
	v_max_f32_e32 v28, v28, v28
	v_max_f32_e32 v0, v0, v0
	v_min_f32_e32 v37, v0, v28
	v_max_f32_e32 v0, v0, v28
	v_cndmask_b32_e64 v0, v0, v37, s[28:29]
	v_and_b32_e32 v28, 0x7f800000, v0
	v_cmp_ne_u32_e32 vcc, s92, v28
                                        ; implicit-def: $vgpr37
	s_and_saveexec_b64 s[62:63], vcc
	s_xor_b64 vcc, exec, s[62:63]
; %bb.1590:                             ;   in Loop: Header=BB12_1509 Depth=3
	v_bfe_u32 v28, v0, 16, 1
	v_add3_u32 v37, v0, v28, s93
                                        ; implicit-def: $vgpr0
; %bb.1591:                             ;   in Loop: Header=BB12_1509 Depth=3
	s_andn2_saveexec_b64 s[62:63], vcc
; %bb.1592:                             ;   in Loop: Header=BB12_1509 Depth=3
	v_or_b32_e32 v28, 0x10000, v0
	v_cmp_eq_u32_sdwa vcc, v0, v42 src0_sel:WORD_0 src1_sel:DWORD
	v_cndmask_b32_e32 v37, v28, v0, vcc
; %bb.1593:                             ;   in Loop: Header=BB12_1509 Depth=3
	s_or_b64 exec, exec, s[62:63]
	v_lshlrev_b32_e32 v0, 16, v38
	v_lshlrev_b32_e32 v28, 16, v50
	v_max_f32_e32 v28, v28, v28
	v_max_f32_e32 v0, v0, v0
	v_min_f32_e32 v49, v0, v28
	v_max_f32_e32 v0, v0, v28
	v_cndmask_b32_e64 v0, v0, v49, s[28:29]
	v_and_b32_e32 v28, 0x7f800000, v0
	v_cmp_ne_u32_e32 vcc, s92, v28
                                        ; implicit-def: $vgpr49
	s_and_saveexec_b64 s[62:63], vcc
	s_xor_b64 vcc, exec, s[62:63]
; %bb.1594:                             ;   in Loop: Header=BB12_1509 Depth=3
	v_bfe_u32 v28, v0, 16, 1
	v_add3_u32 v49, v0, v28, s93
                                        ; implicit-def: $vgpr0
; %bb.1595:                             ;   in Loop: Header=BB12_1509 Depth=3
	s_andn2_saveexec_b64 s[62:63], vcc
; %bb.1596:                             ;   in Loop: Header=BB12_1509 Depth=3
	v_or_b32_e32 v28, 0x10000, v0
	v_cmp_eq_u32_sdwa vcc, v0, v42 src0_sel:WORD_0 src1_sel:DWORD
	v_cndmask_b32_e32 v49, v28, v0, vcc
; %bb.1597:                             ;   in Loop: Header=BB12_1509 Depth=3
	s_or_b64 exec, exec, s[62:63]
	v_and_b32_e32 v0, 0xffff0000, v38
	v_and_b32_e32 v28, 0xffff0000, v50
	v_max_f32_e32 v28, v28, v28
	v_max_f32_e32 v0, v0, v0
	v_min_f32_e32 v38, v0, v28
	v_max_f32_e32 v0, v0, v28
	v_cndmask_b32_e64 v0, v0, v38, s[28:29]
	v_and_b32_e32 v28, 0x7f800000, v0
	v_cmp_ne_u32_e32 vcc, s92, v28
                                        ; implicit-def: $vgpr38
	s_and_saveexec_b64 s[62:63], vcc
	s_xor_b64 vcc, exec, s[62:63]
; %bb.1598:                             ;   in Loop: Header=BB12_1509 Depth=3
	v_bfe_u32 v28, v0, 16, 1
	v_add3_u32 v38, v0, v28, s93
                                        ; implicit-def: $vgpr0
; %bb.1599:                             ;   in Loop: Header=BB12_1509 Depth=3
	s_andn2_saveexec_b64 s[62:63], vcc
; %bb.1600:                             ;   in Loop: Header=BB12_1509 Depth=3
	v_or_b32_e32 v28, 0x10000, v0
	v_cmp_eq_u32_sdwa vcc, v0, v42 src0_sel:WORD_0 src1_sel:DWORD
	v_cndmask_b32_e32 v38, v28, v0, vcc
; %bb.1601:                             ;   in Loop: Header=BB12_1509 Depth=3
	s_or_b64 exec, exec, s[62:63]
	v_lshlrev_b32_e32 v0, 16, v39
	v_lshlrev_b32_e32 v28, 16, v51
	v_max_f32_e32 v28, v28, v28
	v_max_f32_e32 v0, v0, v0
	v_min_f32_e32 v50, v0, v28
	v_max_f32_e32 v0, v0, v28
	v_cndmask_b32_e64 v0, v0, v50, s[28:29]
	v_and_b32_e32 v28, 0x7f800000, v0
	v_cmp_ne_u32_e32 vcc, s92, v28
                                        ; implicit-def: $vgpr50
	s_and_saveexec_b64 s[62:63], vcc
	s_xor_b64 vcc, exec, s[62:63]
; %bb.1602:                             ;   in Loop: Header=BB12_1509 Depth=3
	v_bfe_u32 v28, v0, 16, 1
	v_add3_u32 v50, v0, v28, s93
                                        ; implicit-def: $vgpr0
; %bb.1603:                             ;   in Loop: Header=BB12_1509 Depth=3
	s_andn2_saveexec_b64 s[62:63], vcc
; %bb.1604:                             ;   in Loop: Header=BB12_1509 Depth=3
	v_or_b32_e32 v28, 0x10000, v0
	v_cmp_eq_u32_sdwa vcc, v0, v42 src0_sel:WORD_0 src1_sel:DWORD
	v_cndmask_b32_e32 v50, v28, v0, vcc
; %bb.1605:                             ;   in Loop: Header=BB12_1509 Depth=3
	s_or_b64 exec, exec, s[62:63]
	v_and_b32_e32 v0, 0xffff0000, v39
	v_and_b32_e32 v28, 0xffff0000, v51
	v_max_f32_e32 v28, v28, v28
	v_max_f32_e32 v0, v0, v0
	v_min_f32_e32 v39, v0, v28
	v_max_f32_e32 v0, v0, v28
	v_cndmask_b32_e64 v0, v0, v39, s[28:29]
	v_and_b32_e32 v28, 0x7f800000, v0
	v_cmp_ne_u32_e32 vcc, s92, v28
                                        ; implicit-def: $vgpr39
	s_and_saveexec_b64 s[62:63], vcc
	s_xor_b64 vcc, exec, s[62:63]
; %bb.1606:                             ;   in Loop: Header=BB12_1509 Depth=3
	v_bfe_u32 v28, v0, 16, 1
	v_add3_u32 v39, v0, v28, s93
                                        ; implicit-def: $vgpr0
; %bb.1607:                             ;   in Loop: Header=BB12_1509 Depth=3
	s_andn2_saveexec_b64 s[62:63], vcc
; %bb.1608:                             ;   in Loop: Header=BB12_1509 Depth=3
	v_or_b32_e32 v28, 0x10000, v0
	v_cmp_eq_u32_sdwa vcc, v0, v42 src0_sel:WORD_0 src1_sel:DWORD
	v_cndmask_b32_e32 v39, v28, v0, vcc
; %bb.1609:                             ;   in Loop: Header=BB12_1509 Depth=3
	s_or_b64 exec, exec, s[62:63]
	v_lshlrev_b32_e32 v0, 16, v24
	v_lshlrev_b32_e32 v28, 16, v32
	v_max_f32_e32 v28, v28, v28
	v_max_f32_e32 v0, v0, v0
	v_min_f32_e32 v51, v0, v28
	v_max_f32_e32 v0, v0, v28
	v_cndmask_b32_e64 v0, v0, v51, s[28:29]
	v_and_b32_e32 v28, 0x7f800000, v0
	v_cmp_ne_u32_e32 vcc, s92, v28
                                        ; implicit-def: $vgpr51
	s_and_saveexec_b64 s[62:63], vcc
	s_xor_b64 vcc, exec, s[62:63]
; %bb.1610:                             ;   in Loop: Header=BB12_1509 Depth=3
	v_bfe_u32 v28, v0, 16, 1
	v_add3_u32 v51, v0, v28, s93
                                        ; implicit-def: $vgpr0
; %bb.1611:                             ;   in Loop: Header=BB12_1509 Depth=3
	s_andn2_saveexec_b64 s[62:63], vcc
; %bb.1612:                             ;   in Loop: Header=BB12_1509 Depth=3
	v_or_b32_e32 v28, 0x10000, v0
	v_cmp_eq_u32_sdwa vcc, v0, v42 src0_sel:WORD_0 src1_sel:DWORD
	v_cndmask_b32_e32 v51, v28, v0, vcc
; %bb.1613:                             ;   in Loop: Header=BB12_1509 Depth=3
	s_or_b64 exec, exec, s[62:63]
	v_and_b32_e32 v0, 0xffff0000, v24
	v_and_b32_e32 v24, 0xffff0000, v32
	v_max_f32_e32 v24, v24, v24
	v_max_f32_e32 v0, v0, v0
	v_min_f32_e32 v28, v0, v24
	v_max_f32_e32 v0, v0, v24
	v_cndmask_b32_e64 v0, v0, v28, s[28:29]
	v_and_b32_e32 v24, 0x7f800000, v0
	v_cmp_ne_u32_e32 vcc, s92, v24
                                        ; implicit-def: $vgpr24
	s_and_saveexec_b64 s[62:63], vcc
	s_xor_b64 vcc, exec, s[62:63]
; %bb.1614:                             ;   in Loop: Header=BB12_1509 Depth=3
	v_bfe_u32 v24, v0, 16, 1
	v_add3_u32 v24, v0, v24, s93
                                        ; implicit-def: $vgpr0
; %bb.1615:                             ;   in Loop: Header=BB12_1509 Depth=3
	s_andn2_saveexec_b64 s[62:63], vcc
; %bb.1616:                             ;   in Loop: Header=BB12_1509 Depth=3
	v_or_b32_e32 v24, 0x10000, v0
	v_cmp_eq_u32_sdwa vcc, v0, v42 src0_sel:WORD_0 src1_sel:DWORD
	v_cndmask_b32_e32 v24, v24, v0, vcc
; %bb.1617:                             ;   in Loop: Header=BB12_1509 Depth=3
	s_or_b64 exec, exec, s[62:63]
	v_lshlrev_b32_e32 v0, 16, v25
	v_lshlrev_b32_e32 v28, 16, v33
	v_max_f32_e32 v28, v28, v28
	v_max_f32_e32 v0, v0, v0
	v_min_f32_e32 v32, v0, v28
	v_max_f32_e32 v0, v0, v28
	v_cndmask_b32_e64 v28, v0, v32, s[28:29]
	v_and_b32_e32 v0, 0x7f800000, v28
	v_cmp_ne_u32_e32 vcc, s92, v0
                                        ; implicit-def: $vgpr0
	s_and_saveexec_b64 s[62:63], vcc
	s_xor_b64 vcc, exec, s[62:63]
; %bb.1618:                             ;   in Loop: Header=BB12_1509 Depth=3
	v_bfe_u32 v0, v28, 16, 1
	v_add3_u32 v0, v28, v0, s93
                                        ; implicit-def: $vgpr28
; %bb.1619:                             ;   in Loop: Header=BB12_1509 Depth=3
	s_andn2_saveexec_b64 s[62:63], vcc
; %bb.1620:                             ;   in Loop: Header=BB12_1509 Depth=3
	v_or_b32_e32 v0, 0x10000, v28
	v_cmp_eq_u32_sdwa vcc, v28, v42 src0_sel:WORD_0 src1_sel:DWORD
	v_cndmask_b32_e32 v0, v0, v28, vcc
; %bb.1621:                             ;   in Loop: Header=BB12_1509 Depth=3
	s_or_b64 exec, exec, s[62:63]
	v_and_b32_e32 v25, 0xffff0000, v25
	v_and_b32_e32 v28, 0xffff0000, v33
	v_max_f32_e32 v28, v28, v28
	v_max_f32_e32 v25, v25, v25
	v_min_f32_e32 v32, v25, v28
	v_max_f32_e32 v25, v25, v28
	v_cndmask_b32_e64 v28, v25, v32, s[28:29]
	v_and_b32_e32 v25, 0x7f800000, v28
	v_cmp_ne_u32_e32 vcc, s92, v25
                                        ; implicit-def: $vgpr25
	s_and_saveexec_b64 s[62:63], vcc
	s_xor_b64 vcc, exec, s[62:63]
; %bb.1622:                             ;   in Loop: Header=BB12_1509 Depth=3
	v_bfe_u32 v25, v28, 16, 1
	v_add3_u32 v25, v28, v25, s93
                                        ; implicit-def: $vgpr28
; %bb.1623:                             ;   in Loop: Header=BB12_1509 Depth=3
	s_andn2_saveexec_b64 s[62:63], vcc
; %bb.1624:                             ;   in Loop: Header=BB12_1509 Depth=3
	v_or_b32_e32 v25, 0x10000, v28
	v_cmp_eq_u32_sdwa vcc, v28, v42 src0_sel:WORD_0 src1_sel:DWORD
	v_cndmask_b32_e32 v25, v25, v28, vcc
; %bb.1625:                             ;   in Loop: Header=BB12_1509 Depth=3
	s_or_b64 exec, exec, s[62:63]
	v_lshlrev_b32_e32 v28, 16, v26
	v_lshlrev_b32_e32 v32, 16, v34
	v_max_f32_e32 v32, v32, v32
	v_max_f32_e32 v28, v28, v28
	v_min_f32_e32 v33, v28, v32
	v_max_f32_e32 v28, v28, v32
	v_cndmask_b32_e64 v28, v28, v33, s[28:29]
	v_and_b32_e32 v32, 0x7f800000, v28
	v_cmp_ne_u32_e32 vcc, s92, v32
                                        ; implicit-def: $vgpr32
	s_and_saveexec_b64 s[62:63], vcc
	s_xor_b64 vcc, exec, s[62:63]
; %bb.1626:                             ;   in Loop: Header=BB12_1509 Depth=3
	v_bfe_u32 v32, v28, 16, 1
	v_add3_u32 v32, v28, v32, s93
                                        ; implicit-def: $vgpr28
; %bb.1627:                             ;   in Loop: Header=BB12_1509 Depth=3
	s_andn2_saveexec_b64 s[62:63], vcc
; %bb.1628:                             ;   in Loop: Header=BB12_1509 Depth=3
	v_or_b32_e32 v32, 0x10000, v28
	v_cmp_eq_u32_sdwa vcc, v28, v42 src0_sel:WORD_0 src1_sel:DWORD
	v_cndmask_b32_e32 v32, v32, v28, vcc
; %bb.1629:                             ;   in Loop: Header=BB12_1509 Depth=3
	s_or_b64 exec, exec, s[62:63]
	v_and_b32_e32 v26, 0xffff0000, v26
	v_and_b32_e32 v28, 0xffff0000, v34
	v_max_f32_e32 v28, v28, v28
	v_max_f32_e32 v26, v26, v26
	v_min_f32_e32 v33, v26, v28
	v_max_f32_e32 v26, v26, v28
	v_cndmask_b32_e64 v28, v26, v33, s[28:29]
	v_and_b32_e32 v26, 0x7f800000, v28
	v_cmp_ne_u32_e32 vcc, s92, v26
                                        ; implicit-def: $vgpr26
	s_and_saveexec_b64 s[62:63], vcc
	s_xor_b64 vcc, exec, s[62:63]
; %bb.1630:                             ;   in Loop: Header=BB12_1509 Depth=3
	v_bfe_u32 v26, v28, 16, 1
	v_add3_u32 v26, v28, v26, s93
                                        ; implicit-def: $vgpr28
; %bb.1631:                             ;   in Loop: Header=BB12_1509 Depth=3
	s_andn2_saveexec_b64 s[62:63], vcc
; %bb.1632:                             ;   in Loop: Header=BB12_1509 Depth=3
	v_or_b32_e32 v26, 0x10000, v28
	v_cmp_eq_u32_sdwa vcc, v28, v42 src0_sel:WORD_0 src1_sel:DWORD
	v_cndmask_b32_e32 v26, v26, v28, vcc
; %bb.1633:                             ;   in Loop: Header=BB12_1509 Depth=3
	s_or_b64 exec, exec, s[62:63]
	v_lshlrev_b32_e32 v28, 16, v27
	v_lshlrev_b32_e32 v33, 16, v35
	v_max_f32_e32 v33, v33, v33
	v_max_f32_e32 v28, v28, v28
	v_min_f32_e32 v34, v28, v33
	v_max_f32_e32 v28, v28, v33
	v_cndmask_b32_e64 v33, v28, v34, s[28:29]
	v_and_b32_e32 v28, 0x7f800000, v33
	v_cmp_ne_u32_e32 vcc, s92, v28
                                        ; implicit-def: $vgpr28
	s_and_saveexec_b64 s[62:63], vcc
	s_xor_b64 vcc, exec, s[62:63]
; %bb.1634:                             ;   in Loop: Header=BB12_1509 Depth=3
	v_bfe_u32 v28, v33, 16, 1
	v_add3_u32 v28, v33, v28, s93
                                        ; implicit-def: $vgpr33
; %bb.1635:                             ;   in Loop: Header=BB12_1509 Depth=3
	s_andn2_saveexec_b64 s[62:63], vcc
; %bb.1636:                             ;   in Loop: Header=BB12_1509 Depth=3
	v_or_b32_e32 v28, 0x10000, v33
	v_cmp_eq_u32_sdwa vcc, v33, v42 src0_sel:WORD_0 src1_sel:DWORD
	v_cndmask_b32_e32 v28, v28, v33, vcc
; %bb.1637:                             ;   in Loop: Header=BB12_1509 Depth=3
	s_or_b64 exec, exec, s[62:63]
	v_and_b32_e32 v27, 0xffff0000, v27
	v_and_b32_e32 v33, 0xffff0000, v35
	v_max_f32_e32 v33, v33, v33
	v_max_f32_e32 v27, v27, v27
	v_min_f32_e32 v34, v27, v33
	v_max_f32_e32 v27, v27, v33
	v_cndmask_b32_e64 v33, v27, v34, s[28:29]
	v_and_b32_e32 v27, 0x7f800000, v33
	v_cmp_ne_u32_e32 vcc, s92, v27
                                        ; implicit-def: $vgpr27
	s_and_saveexec_b64 s[62:63], vcc
	s_xor_b64 vcc, exec, s[62:63]
; %bb.1638:                             ;   in Loop: Header=BB12_1509 Depth=3
	v_bfe_u32 v27, v33, 16, 1
	v_add3_u32 v27, v33, v27, s93
                                        ; implicit-def: $vgpr33
; %bb.1639:                             ;   in Loop: Header=BB12_1509 Depth=3
	s_andn2_saveexec_b64 s[62:63], vcc
	s_cbranch_execz .LBB12_1508
; %bb.1640:                             ;   in Loop: Header=BB12_1509 Depth=3
	v_or_b32_e32 v27, 0x10000, v33
	v_cmp_eq_u32_sdwa vcc, v33, v42 src0_sel:WORD_0 src1_sel:DWORD
	v_cndmask_b32_e32 v27, v27, v33, vcc
	s_branch .LBB12_1508
.LBB12_1641:                            ;   in Loop: Header=BB12_955 Depth=2
	s_mov_b64 s[58:59], 0
                                        ; implicit-def: $sgpr30
                                        ; implicit-def: $vgpr10
	s_andn2_b64 vcc, exec, s[28:29]
	s_cbranch_vccz .LBB12_1506
.LBB12_1642:                            ;   in Loop: Header=BB12_955 Depth=2
	v_mov_b32_e32 v11, s30
	v_accvgpr_read_b32 v12, a38
	v_accvgpr_read_b32 v4, a31
	s_and_saveexec_b64 s[36:37], s[58:59]
	s_cbranch_execnz .LBB12_1826
	s_branch .LBB12_1959
.LBB12_1643:                            ;   in Loop: Header=BB12_955 Depth=2
	s_or_b64 exec, exec, s[34:35]
	s_and_b64 s[28:29], s[36:37], exec
	v_accvgpr_read_b32 v24, a0
	v_accvgpr_read_b32 v25, a1
.LBB12_1644:                            ;   in Loop: Header=BB12_955 Depth=2
	s_or_b64 exec, exec, s[30:31]
	s_and_saveexec_b64 s[30:31], s[28:29]
	s_cbranch_execz .LBB12_1710
; %bb.1645:                             ;   in Loop: Header=BB12_955 Depth=2
	v_lshlrev_b32_e32 v0, 16, v20
	v_lshlrev_b32_e32 v6, 16, v16
	v_max_f32_e32 v6, v6, v6
	v_max_f32_e32 v0, v0, v0
	v_min_f32_e32 v7, v0, v6
	v_max_f32_e32 v0, v0, v6
	v_cmp_eq_u16_e32 vcc, 0, v24
	v_cndmask_b32_e32 v0, v0, v7, vcc
	v_and_b32_e32 v6, 0x7f800000, v0
	v_cmp_ne_u32_e64 s[28:29], s92, v6
                                        ; implicit-def: $vgpr6
	s_and_saveexec_b64 s[34:35], s[28:29]
	s_xor_b64 s[28:29], exec, s[34:35]
; %bb.1646:                             ;   in Loop: Header=BB12_955 Depth=2
	v_bfe_u32 v6, v0, 16, 1
	v_add3_u32 v6, v0, v6, s93
                                        ; implicit-def: $vgpr0
; %bb.1647:                             ;   in Loop: Header=BB12_955 Depth=2
	s_andn2_saveexec_b64 s[34:35], s[28:29]
; %bb.1648:                             ;   in Loop: Header=BB12_955 Depth=2
	v_or_b32_e32 v6, 0x10000, v0
	v_cmp_eq_u32_sdwa s[28:29], v0, v42 src0_sel:WORD_0 src1_sel:DWORD
	v_cndmask_b32_e64 v6, v6, v0, s[28:29]
; %bb.1649:                             ;   in Loop: Header=BB12_955 Depth=2
	s_or_b64 exec, exec, s[34:35]
	v_and_b32_e32 v0, 0xffff0000, v20
	v_and_b32_e32 v7, 0xffff0000, v16
	v_max_f32_e32 v7, v7, v7
	v_max_f32_e32 v0, v0, v0
	v_min_f32_e32 v16, v0, v7
	v_max_f32_e32 v0, v0, v7
	v_cndmask_b32_e32 v0, v0, v16, vcc
	v_and_b32_e32 v7, 0x7f800000, v0
	v_cmp_ne_u32_e64 s[28:29], s92, v7
                                        ; implicit-def: $vgpr7
	s_and_saveexec_b64 s[34:35], s[28:29]
	s_xor_b64 s[28:29], exec, s[34:35]
; %bb.1650:                             ;   in Loop: Header=BB12_955 Depth=2
	v_bfe_u32 v7, v0, 16, 1
	v_add3_u32 v7, v0, v7, s93
                                        ; implicit-def: $vgpr0
; %bb.1651:                             ;   in Loop: Header=BB12_955 Depth=2
	s_andn2_saveexec_b64 s[34:35], s[28:29]
; %bb.1652:                             ;   in Loop: Header=BB12_955 Depth=2
	v_or_b32_e32 v7, 0x10000, v0
	v_cmp_eq_u32_sdwa s[28:29], v0, v42 src0_sel:WORD_0 src1_sel:DWORD
	v_cndmask_b32_e64 v7, v7, v0, s[28:29]
; %bb.1653:                             ;   in Loop: Header=BB12_955 Depth=2
	s_or_b64 exec, exec, s[34:35]
	v_lshlrev_b32_e32 v0, 16, v21
	v_lshlrev_b32_e32 v16, 16, v17
	v_max_f32_e32 v16, v16, v16
	v_max_f32_e32 v0, v0, v0
	v_min_f32_e32 v20, v0, v16
	v_max_f32_e32 v0, v0, v16
	v_cndmask_b32_e32 v0, v0, v20, vcc
	v_and_b32_e32 v16, 0x7f800000, v0
	v_cmp_ne_u32_e64 s[28:29], s92, v16
                                        ; implicit-def: $vgpr16
	s_and_saveexec_b64 s[34:35], s[28:29]
	s_xor_b64 s[28:29], exec, s[34:35]
; %bb.1654:                             ;   in Loop: Header=BB12_955 Depth=2
	v_bfe_u32 v16, v0, 16, 1
	v_add3_u32 v16, v0, v16, s93
                                        ; implicit-def: $vgpr0
; %bb.1655:                             ;   in Loop: Header=BB12_955 Depth=2
	s_andn2_saveexec_b64 s[34:35], s[28:29]
; %bb.1656:                             ;   in Loop: Header=BB12_955 Depth=2
	v_or_b32_e32 v16, 0x10000, v0
	v_cmp_eq_u32_sdwa s[28:29], v0, v42 src0_sel:WORD_0 src1_sel:DWORD
	v_cndmask_b32_e64 v16, v16, v0, s[28:29]
; %bb.1657:                             ;   in Loop: Header=BB12_955 Depth=2
	s_or_b64 exec, exec, s[34:35]
	v_and_b32_e32 v0, 0xffff0000, v21
	v_and_b32_e32 v17, 0xffff0000, v17
	v_max_f32_e32 v17, v17, v17
	v_max_f32_e32 v0, v0, v0
	v_min_f32_e32 v20, v0, v17
	v_max_f32_e32 v0, v0, v17
	v_cndmask_b32_e32 v0, v0, v20, vcc
	v_and_b32_e32 v17, 0x7f800000, v0
	v_cmp_ne_u32_e64 s[28:29], s92, v17
                                        ; implicit-def: $vgpr17
	s_and_saveexec_b64 s[34:35], s[28:29]
	s_xor_b64 s[28:29], exec, s[34:35]
; %bb.1658:                             ;   in Loop: Header=BB12_955 Depth=2
	v_bfe_u32 v17, v0, 16, 1
	v_add3_u32 v17, v0, v17, s93
                                        ; implicit-def: $vgpr0
; %bb.1659:                             ;   in Loop: Header=BB12_955 Depth=2
	s_andn2_saveexec_b64 s[34:35], s[28:29]
; %bb.1660:                             ;   in Loop: Header=BB12_955 Depth=2
	v_or_b32_e32 v17, 0x10000, v0
	v_cmp_eq_u32_sdwa s[28:29], v0, v42 src0_sel:WORD_0 src1_sel:DWORD
	v_cndmask_b32_e64 v17, v17, v0, s[28:29]
; %bb.1661:                             ;   in Loop: Header=BB12_955 Depth=2
	s_or_b64 exec, exec, s[34:35]
	v_lshlrev_b32_e32 v0, 16, v22
	v_lshlrev_b32_e32 v20, 16, v18
	v_max_f32_e32 v20, v20, v20
	v_max_f32_e32 v0, v0, v0
	v_min_f32_e32 v21, v0, v20
	v_max_f32_e32 v0, v0, v20
	v_cndmask_b32_e32 v0, v0, v21, vcc
	v_and_b32_e32 v20, 0x7f800000, v0
	v_cmp_ne_u32_e64 s[28:29], s92, v20
                                        ; implicit-def: $vgpr20
	s_and_saveexec_b64 s[34:35], s[28:29]
	s_xor_b64 s[28:29], exec, s[34:35]
; %bb.1662:                             ;   in Loop: Header=BB12_955 Depth=2
	v_bfe_u32 v20, v0, 16, 1
	v_add3_u32 v20, v0, v20, s93
                                        ; implicit-def: $vgpr0
; %bb.1663:                             ;   in Loop: Header=BB12_955 Depth=2
	s_andn2_saveexec_b64 s[34:35], s[28:29]
; %bb.1664:                             ;   in Loop: Header=BB12_955 Depth=2
	v_or_b32_e32 v20, 0x10000, v0
	v_cmp_eq_u32_sdwa s[28:29], v0, v42 src0_sel:WORD_0 src1_sel:DWORD
	v_cndmask_b32_e64 v20, v20, v0, s[28:29]
; %bb.1665:                             ;   in Loop: Header=BB12_955 Depth=2
	s_or_b64 exec, exec, s[34:35]
	v_and_b32_e32 v0, 0xffff0000, v22
	v_and_b32_e32 v18, 0xffff0000, v18
	v_max_f32_e32 v18, v18, v18
	v_max_f32_e32 v0, v0, v0
	v_min_f32_e32 v21, v0, v18
	v_max_f32_e32 v0, v0, v18
	v_cndmask_b32_e32 v0, v0, v21, vcc
	v_and_b32_e32 v18, 0x7f800000, v0
	v_cmp_ne_u32_e64 s[28:29], s92, v18
                                        ; implicit-def: $vgpr18
	s_and_saveexec_b64 s[34:35], s[28:29]
	s_xor_b64 s[28:29], exec, s[34:35]
; %bb.1666:                             ;   in Loop: Header=BB12_955 Depth=2
	v_bfe_u32 v18, v0, 16, 1
	v_add3_u32 v18, v0, v18, s93
                                        ; implicit-def: $vgpr0
; %bb.1667:                             ;   in Loop: Header=BB12_955 Depth=2
	s_andn2_saveexec_b64 s[34:35], s[28:29]
; %bb.1668:                             ;   in Loop: Header=BB12_955 Depth=2
	v_or_b32_e32 v18, 0x10000, v0
	v_cmp_eq_u32_sdwa s[28:29], v0, v42 src0_sel:WORD_0 src1_sel:DWORD
	v_cndmask_b32_e64 v18, v18, v0, s[28:29]
; %bb.1669:                             ;   in Loop: Header=BB12_955 Depth=2
	s_or_b64 exec, exec, s[34:35]
	v_lshlrev_b32_e32 v0, 16, v23
	v_lshlrev_b32_e32 v21, 16, v19
	v_max_f32_e32 v21, v21, v21
	v_max_f32_e32 v0, v0, v0
	v_min_f32_e32 v22, v0, v21
	v_max_f32_e32 v0, v0, v21
	v_cndmask_b32_e32 v0, v0, v22, vcc
	v_and_b32_e32 v21, 0x7f800000, v0
	v_cmp_ne_u32_e64 s[28:29], s92, v21
                                        ; implicit-def: $vgpr21
	s_and_saveexec_b64 s[34:35], s[28:29]
	s_xor_b64 s[28:29], exec, s[34:35]
; %bb.1670:                             ;   in Loop: Header=BB12_955 Depth=2
	v_bfe_u32 v21, v0, 16, 1
	v_add3_u32 v21, v0, v21, s93
                                        ; implicit-def: $vgpr0
; %bb.1671:                             ;   in Loop: Header=BB12_955 Depth=2
	s_andn2_saveexec_b64 s[34:35], s[28:29]
; %bb.1672:                             ;   in Loop: Header=BB12_955 Depth=2
	v_or_b32_e32 v21, 0x10000, v0
	v_cmp_eq_u32_sdwa s[28:29], v0, v42 src0_sel:WORD_0 src1_sel:DWORD
	v_cndmask_b32_e64 v21, v21, v0, s[28:29]
; %bb.1673:                             ;   in Loop: Header=BB12_955 Depth=2
	s_or_b64 exec, exec, s[34:35]
	v_and_b32_e32 v0, 0xffff0000, v23
	v_and_b32_e32 v19, 0xffff0000, v19
	v_max_f32_e32 v19, v19, v19
	v_max_f32_e32 v0, v0, v0
	v_min_f32_e32 v22, v0, v19
	v_max_f32_e32 v0, v0, v19
	v_cndmask_b32_e32 v0, v0, v22, vcc
	v_and_b32_e32 v19, 0x7f800000, v0
	v_cmp_ne_u32_e64 s[28:29], s92, v19
                                        ; implicit-def: $vgpr19
	s_and_saveexec_b64 s[34:35], s[28:29]
	s_xor_b64 s[28:29], exec, s[34:35]
; %bb.1674:                             ;   in Loop: Header=BB12_955 Depth=2
	v_bfe_u32 v19, v0, 16, 1
	v_add3_u32 v19, v0, v19, s93
                                        ; implicit-def: $vgpr0
; %bb.1675:                             ;   in Loop: Header=BB12_955 Depth=2
	s_andn2_saveexec_b64 s[34:35], s[28:29]
; %bb.1676:                             ;   in Loop: Header=BB12_955 Depth=2
	v_or_b32_e32 v19, 0x10000, v0
	v_cmp_eq_u32_sdwa s[28:29], v0, v42 src0_sel:WORD_0 src1_sel:DWORD
	v_cndmask_b32_e64 v19, v19, v0, s[28:29]
; %bb.1677:                             ;   in Loop: Header=BB12_955 Depth=2
	s_or_b64 exec, exec, s[34:35]
	v_lshlrev_b32_e32 v0, 16, v12
	v_lshlrev_b32_e32 v22, 16, v8
	v_max_f32_e32 v22, v22, v22
	v_max_f32_e32 v0, v0, v0
	v_min_f32_e32 v23, v0, v22
	v_max_f32_e32 v0, v0, v22
	v_cndmask_b32_e32 v0, v0, v23, vcc
	v_and_b32_e32 v22, 0x7f800000, v0
	v_cmp_ne_u32_e64 s[28:29], s92, v22
                                        ; implicit-def: $vgpr22
	s_and_saveexec_b64 s[34:35], s[28:29]
	s_xor_b64 s[28:29], exec, s[34:35]
; %bb.1678:                             ;   in Loop: Header=BB12_955 Depth=2
	v_bfe_u32 v22, v0, 16, 1
	v_add3_u32 v22, v0, v22, s93
                                        ; implicit-def: $vgpr0
; %bb.1679:                             ;   in Loop: Header=BB12_955 Depth=2
	s_andn2_saveexec_b64 s[34:35], s[28:29]
; %bb.1680:                             ;   in Loop: Header=BB12_955 Depth=2
	v_or_b32_e32 v22, 0x10000, v0
	v_cmp_eq_u32_sdwa s[28:29], v0, v42 src0_sel:WORD_0 src1_sel:DWORD
	v_cndmask_b32_e64 v22, v22, v0, s[28:29]
; %bb.1681:                             ;   in Loop: Header=BB12_955 Depth=2
	s_or_b64 exec, exec, s[34:35]
	v_and_b32_e32 v0, 0xffff0000, v12
	v_and_b32_e32 v8, 0xffff0000, v8
	v_max_f32_e32 v8, v8, v8
	v_max_f32_e32 v0, v0, v0
	v_min_f32_e32 v12, v0, v8
	v_max_f32_e32 v0, v0, v8
	v_cndmask_b32_e32 v0, v0, v12, vcc
	v_and_b32_e32 v8, 0x7f800000, v0
	v_cmp_ne_u32_e64 s[28:29], s92, v8
                                        ; implicit-def: $vgpr8
	s_and_saveexec_b64 s[34:35], s[28:29]
	s_xor_b64 s[28:29], exec, s[34:35]
; %bb.1682:                             ;   in Loop: Header=BB12_955 Depth=2
	v_bfe_u32 v8, v0, 16, 1
	v_add3_u32 v8, v0, v8, s93
                                        ; implicit-def: $vgpr0
; %bb.1683:                             ;   in Loop: Header=BB12_955 Depth=2
	s_andn2_saveexec_b64 s[34:35], s[28:29]
; %bb.1684:                             ;   in Loop: Header=BB12_955 Depth=2
	v_or_b32_e32 v8, 0x10000, v0
	v_cmp_eq_u32_sdwa s[28:29], v0, v42 src0_sel:WORD_0 src1_sel:DWORD
	v_cndmask_b32_e64 v8, v8, v0, s[28:29]
; %bb.1685:                             ;   in Loop: Header=BB12_955 Depth=2
	s_or_b64 exec, exec, s[34:35]
	v_lshlrev_b32_e32 v0, 16, v13
	v_lshlrev_b32_e32 v12, 16, v9
	v_max_f32_e32 v12, v12, v12
	v_max_f32_e32 v0, v0, v0
	v_min_f32_e32 v23, v0, v12
	v_max_f32_e32 v0, v0, v12
	v_cndmask_b32_e32 v12, v0, v23, vcc
	v_and_b32_e32 v0, 0x7f800000, v12
	v_cmp_ne_u32_e64 s[28:29], s92, v0
                                        ; implicit-def: $vgpr0
	s_and_saveexec_b64 s[34:35], s[28:29]
	s_xor_b64 s[28:29], exec, s[34:35]
; %bb.1686:                             ;   in Loop: Header=BB12_955 Depth=2
	v_bfe_u32 v0, v12, 16, 1
	v_add3_u32 v0, v12, v0, s93
                                        ; implicit-def: $vgpr12
; %bb.1687:                             ;   in Loop: Header=BB12_955 Depth=2
	s_andn2_saveexec_b64 s[34:35], s[28:29]
; %bb.1688:                             ;   in Loop: Header=BB12_955 Depth=2
	v_or_b32_e32 v0, 0x10000, v12
	v_cmp_eq_u32_sdwa s[28:29], v12, v42 src0_sel:WORD_0 src1_sel:DWORD
	v_cndmask_b32_e64 v0, v0, v12, s[28:29]
; %bb.1689:                             ;   in Loop: Header=BB12_955 Depth=2
	s_or_b64 exec, exec, s[34:35]
	v_and_b32_e32 v12, 0xffff0000, v13
	v_and_b32_e32 v9, 0xffff0000, v9
	v_max_f32_e32 v9, v9, v9
	v_max_f32_e32 v12, v12, v12
	v_min_f32_e32 v13, v12, v9
	v_max_f32_e32 v9, v12, v9
	v_cndmask_b32_e32 v12, v9, v13, vcc
	v_and_b32_e32 v9, 0x7f800000, v12
	v_cmp_ne_u32_e64 s[28:29], s92, v9
                                        ; implicit-def: $vgpr9
	s_and_saveexec_b64 s[34:35], s[28:29]
	s_xor_b64 s[28:29], exec, s[34:35]
; %bb.1690:                             ;   in Loop: Header=BB12_955 Depth=2
	v_bfe_u32 v9, v12, 16, 1
	v_add3_u32 v9, v12, v9, s93
                                        ; implicit-def: $vgpr12
; %bb.1691:                             ;   in Loop: Header=BB12_955 Depth=2
	s_andn2_saveexec_b64 s[34:35], s[28:29]
; %bb.1692:                             ;   in Loop: Header=BB12_955 Depth=2
	v_or_b32_e32 v9, 0x10000, v12
	v_cmp_eq_u32_sdwa s[28:29], v12, v42 src0_sel:WORD_0 src1_sel:DWORD
	v_cndmask_b32_e64 v9, v9, v12, s[28:29]
; %bb.1693:                             ;   in Loop: Header=BB12_955 Depth=2
	s_or_b64 exec, exec, s[34:35]
	v_lshlrev_b32_e32 v12, 16, v14
	v_lshlrev_b32_e32 v13, 16, v10
	v_max_f32_e32 v13, v13, v13
	v_max_f32_e32 v12, v12, v12
	v_min_f32_e32 v23, v12, v13
	v_max_f32_e32 v12, v12, v13
	v_cndmask_b32_e32 v13, v12, v23, vcc
	v_and_b32_e32 v12, 0x7f800000, v13
	v_cmp_ne_u32_e64 s[28:29], s92, v12
                                        ; implicit-def: $vgpr12
	s_and_saveexec_b64 s[34:35], s[28:29]
	s_xor_b64 s[28:29], exec, s[34:35]
; %bb.1694:                             ;   in Loop: Header=BB12_955 Depth=2
	v_bfe_u32 v12, v13, 16, 1
	v_add3_u32 v12, v13, v12, s93
                                        ; implicit-def: $vgpr13
; %bb.1695:                             ;   in Loop: Header=BB12_955 Depth=2
	s_andn2_saveexec_b64 s[34:35], s[28:29]
; %bb.1696:                             ;   in Loop: Header=BB12_955 Depth=2
	v_or_b32_e32 v12, 0x10000, v13
	v_cmp_eq_u32_sdwa s[28:29], v13, v42 src0_sel:WORD_0 src1_sel:DWORD
	v_cndmask_b32_e64 v12, v12, v13, s[28:29]
; %bb.1697:                             ;   in Loop: Header=BB12_955 Depth=2
	s_or_b64 exec, exec, s[34:35]
	v_and_b32_e32 v13, 0xffff0000, v14
	v_and_b32_e32 v10, 0xffff0000, v10
	v_max_f32_e32 v10, v10, v10
	v_max_f32_e32 v13, v13, v13
	v_min_f32_e32 v14, v13, v10
	v_max_f32_e32 v10, v13, v10
	v_cndmask_b32_e32 v13, v10, v14, vcc
	v_and_b32_e32 v10, 0x7f800000, v13
	v_cmp_ne_u32_e64 s[28:29], s92, v10
                                        ; implicit-def: $vgpr10
	s_and_saveexec_b64 s[34:35], s[28:29]
	s_xor_b64 s[28:29], exec, s[34:35]
; %bb.1698:                             ;   in Loop: Header=BB12_955 Depth=2
	v_bfe_u32 v10, v13, 16, 1
	v_add3_u32 v10, v13, v10, s93
                                        ; implicit-def: $vgpr13
; %bb.1699:                             ;   in Loop: Header=BB12_955 Depth=2
	s_andn2_saveexec_b64 s[34:35], s[28:29]
; %bb.1700:                             ;   in Loop: Header=BB12_955 Depth=2
	v_or_b32_e32 v10, 0x10000, v13
	v_cmp_eq_u32_sdwa s[28:29], v13, v42 src0_sel:WORD_0 src1_sel:DWORD
	v_cndmask_b32_e64 v10, v10, v13, s[28:29]
; %bb.1701:                             ;   in Loop: Header=BB12_955 Depth=2
	s_or_b64 exec, exec, s[34:35]
	v_lshlrev_b32_e32 v13, 16, v15
	v_lshlrev_b32_e32 v14, 16, v11
	v_max_f32_e32 v14, v14, v14
	v_max_f32_e32 v13, v13, v13
	v_min_f32_e32 v23, v13, v14
	v_max_f32_e32 v13, v13, v14
	v_cndmask_b32_e32 v14, v13, v23, vcc
	v_and_b32_e32 v13, 0x7f800000, v14
	v_cmp_ne_u32_e64 s[28:29], s92, v13
                                        ; implicit-def: $vgpr13
	s_and_saveexec_b64 s[34:35], s[28:29]
	s_xor_b64 s[28:29], exec, s[34:35]
; %bb.1702:                             ;   in Loop: Header=BB12_955 Depth=2
	v_bfe_u32 v13, v14, 16, 1
	v_add3_u32 v13, v14, v13, s93
                                        ; implicit-def: $vgpr14
; %bb.1703:                             ;   in Loop: Header=BB12_955 Depth=2
	s_andn2_saveexec_b64 s[34:35], s[28:29]
; %bb.1704:                             ;   in Loop: Header=BB12_955 Depth=2
	v_or_b32_e32 v13, 0x10000, v14
	v_cmp_eq_u32_sdwa s[28:29], v14, v42 src0_sel:WORD_0 src1_sel:DWORD
	v_cndmask_b32_e64 v13, v13, v14, s[28:29]
; %bb.1705:                             ;   in Loop: Header=BB12_955 Depth=2
	s_or_b64 exec, exec, s[34:35]
	v_and_b32_e32 v14, 0xffff0000, v15
	v_and_b32_e32 v11, 0xffff0000, v11
	v_max_f32_e32 v11, v11, v11
	v_max_f32_e32 v14, v14, v14
	v_min_f32_e32 v15, v14, v11
	v_max_f32_e32 v11, v14, v11
	v_cndmask_b32_e32 v14, v11, v15, vcc
	v_and_b32_e32 v11, 0x7f800000, v14
	v_cmp_ne_u32_e32 vcc, s92, v11
                                        ; implicit-def: $vgpr11
	s_and_saveexec_b64 s[28:29], vcc
	s_xor_b64 s[28:29], exec, s[28:29]
; %bb.1706:                             ;   in Loop: Header=BB12_955 Depth=2
	v_bfe_u32 v11, v14, 16, 1
	v_add3_u32 v11, v14, v11, s93
                                        ; implicit-def: $vgpr14
; %bb.1707:                             ;   in Loop: Header=BB12_955 Depth=2
	s_andn2_saveexec_b64 s[28:29], s[28:29]
; %bb.1708:                             ;   in Loop: Header=BB12_955 Depth=2
	v_or_b32_e32 v11, 0x10000, v14
	v_cmp_eq_u32_sdwa vcc, v14, v42 src0_sel:WORD_0 src1_sel:DWORD
	v_cndmask_b32_e32 v11, v11, v14, vcc
; %bb.1709:                             ;   in Loop: Header=BB12_955 Depth=2
	s_or_b64 exec, exec, s[28:29]
	v_lshrrev_b32_e32 v14, 16, v16
	v_lshrrev_b32_e32 v6, 16, v6
	v_and_or_b32 v15, v17, s94, v14
	v_and_or_b32 v14, v7, s94, v6
	v_lshrrev_b32_e32 v6, 16, v20
	v_lshrrev_b32_e32 v0, 16, v0
	v_and_or_b32 v16, v18, s94, v6
	v_lshrrev_b32_e32 v6, 16, v21
	v_and_or_b32 v7, v9, s94, v0
	;; [unrolled: 2-line block ×3, first 2 shown]
	v_and_or_b32 v6, v8, s94, v0
	v_lshrrev_b32_e32 v0, 16, v12
	v_and_or_b32 v8, v10, s94, v0
	v_lshrrev_b32_e32 v0, 16, v13
	v_and_or_b32 v9, v11, s94, v0
	global_store_dwordx4 v[4:5], v[14:17], off glc slc
	global_store_dwordx4 v[4:5], v[6:9], off offset:1024 glc slc
.LBB12_1710:                            ;   in Loop: Header=BB12_955 Depth=2
	s_or_b64 exec, exec, s[30:31]
	v_lshlrev_b32_e32 v6, 11, v25
	v_cmp_ne_u32_e32 vcc, v57, v6
                                        ; implicit-def: $vgpr11
                                        ; implicit-def: $vgpr12
                                        ; implicit-def: $vgpr10
                                        ; implicit-def: $vgpr4
	s_and_saveexec_b64 s[60:61], vcc
	s_cbranch_execz .LBB12_1825
; %bb.1711:                             ;   in Loop: Header=BB12_955 Depth=2
	v_lshlrev_b32_e32 v4, 6, v53
	v_accvgpr_read_b32 v5, a38
	v_sub_u32_e32 v4, v5, v4
	v_ashrrev_i32_e32 v5, 31, v4
	v_lshrrev_b32_e32 v5, 26, v5
	v_add_u32_e32 v5, v4, v5
	v_ashrrev_i32_e32 v9, 6, v5
	v_and_b32_e32 v5, 0xffffffc0, v5
	v_sub_u32_e32 v8, v4, v5
	v_lshlrev_b32_e32 v4, 4, v8
	v_sub_u32_e32 v0, v57, v6
	v_lshl_add_u32 v5, v9, 10, v4
	v_add_u32_e32 v4, v5, v6
	v_sub_u32_e32 v11, v0, v5
	v_ashrrev_i32_e32 v5, 31, v0
	v_lshrrev_b32_e32 v5, 22, v5
	v_add_u32_e32 v5, v0, v5
	v_and_b32_e32 v10, 0xfffffc00, v5
	v_sub_u32_e32 v13, v0, v10
	v_ashrrev_i32_e32 v7, 10, v5
	v_cmp_lt_i32_e64 s[28:29], 15, v13
	v_addc_co_u32_e64 v0, vcc, 0, v7, s[28:29]
	v_ashrrev_i32_e32 v7, 31, v4
	v_add_co_u32_e32 v2, vcc, v4, v2
	v_addc_co_u32_e32 v3, vcc, v7, v3, vcc
	v_sub_u32_e32 v14, v0, v9
	v_cmp_lt_i32_e32 vcc, 15, v11
	s_mov_b64 s[30:31], 0
	s_and_saveexec_b64 s[62:63], vcc
	s_cbranch_execz .LBB12_1788
; %bb.1712:                             ;   in Loop: Header=BB12_955 Depth=2
	s_trap 2
	ds_read_b128 v[16:19], v0
	v_cmp_eq_u16_e64 s[30:31], 0, v24
	s_mov_b64 s[68:69], 0
	s_mov_b64 s[64:65], 0
                                        ; implicit-def: $sgpr66_sgpr67
	s_waitcnt lgkmcnt(0)
	v_add_co_u32_e32 v0, vcc, v16, v4
	v_addc_co_u32_e32 v5, vcc, v17, v7, vcc
	v_add_co_u32_e32 v4, vcc, v18, v4
	v_addc_co_u32_e32 v9, vcc, v19, v7, vcc
	s_branch .LBB12_1714
.LBB12_1713:                            ;   in Loop: Header=BB12_1714 Depth=3
	s_or_b64 exec, exec, s[34:35]
	v_cmp_gt_i32_e32 vcc, 16, v11
	s_or_b64 s[64:65], vcc, s[64:65]
	s_andn2_b64 vcc, s[66:67], exec
	s_and_b64 s[34:35], s[68:69], exec
	s_or_b64 s[66:67], vcc, s[34:35]
	s_andn2_b64 exec, exec, s[64:65]
	s_cbranch_execz .LBB12_1787
.LBB12_1714:                            ;   Parent Loop BB12_47 Depth=1
                                        ;     Parent Loop BB12_955 Depth=2
                                        ; =>    This Loop Header: Depth=3
                                        ;         Child Loop BB12_1715 Depth 4
                                        ;         Child Loop BB12_1752 Depth 4
	v_lshrrev_b32_e64 v7, 6, s33
	v_add_u32_e32 v7, 0xc0, v7
	s_mov_b64 s[70:71], -1
	s_mov_b64 s[72:73], 0
	v_accvgpr_read_b32 v22, a48
.LBB12_1715:                            ;   Parent Loop BB12_47 Depth=1
                                        ;     Parent Loop BB12_955 Depth=2
                                        ;       Parent Loop BB12_1714 Depth=3
                                        ; =>      This Inner Loop Header: Depth=4
	s_cmp_eq_u32 s72, 1
	s_cselect_b64 s[34:35], -1, 0
	v_cndmask_b32_e64 v21, v5, v9, s[34:35]
	v_cndmask_b32_e64 v20, v0, v4, s[34:35]
	global_load_dwordx4 v[16:19], v[20:21], off glc slc
	v_add_co_u32_e32 v12, vcc, s79, v20
	s_cmp_eq_u32 s72, 0
	v_addc_co_u32_e32 v15, vcc, 0, v21, vcc
	s_cselect_b64 vcc, -1, 0
	s_and_b64 s[36:37], exec, s[70:71]
	s_mov_b64 s[72:73], 1
	v_cndmask_b32_e64 v4, v4, v12, s[34:35]
	s_mov_b64 s[70:71], 0
	v_cndmask_b32_e32 v5, v5, v15, vcc
	v_cndmask_b32_e32 v0, v0, v12, vcc
	v_cndmask_b32_e64 v9, v9, v15, s[34:35]
	s_mov_b64 vcc, s[36:37]
	s_waitcnt vmcnt(0)
	buffer_store_dword v17, v7, s[0:3], 0 offen offset:4
	buffer_store_dword v16, v7, s[0:3], 0 offen
	buffer_store_dword v19, v7, s[0:3], 0 offen offset:12
	buffer_store_dword v18, v7, s[0:3], 0 offen offset:8
	v_mov_b32_e32 v7, v22
	s_cbranch_vccnz .LBB12_1715
; %bb.1716:                             ;   in Loop: Header=BB12_1714 Depth=3
	s_and_saveexec_b64 s[34:35], s[68:69]
	s_cbranch_execz .LBB12_1750
; %bb.1717:                             ;   in Loop: Header=BB12_1714 Depth=3
	buffer_load_dword v16, off, s[0:3], s33 offset:224
	buffer_load_dword v17, off, s[0:3], s33 offset:240
	buffer_load_dword v20, off, s[0:3], s33 offset:228
	buffer_load_dword v18, off, s[0:3], s33 offset:232
	buffer_load_dword v12, off, s[0:3], s33 offset:236
	buffer_load_dword v21, off, s[0:3], s33 offset:244
	buffer_load_dword v19, off, s[0:3], s33 offset:248
	buffer_load_dword v15, off, s[0:3], s33 offset:252
	s_waitcnt vmcnt(7)
	v_lshlrev_b32_e32 v7, 16, v16
	s_waitcnt vmcnt(6)
	v_lshlrev_b32_e32 v22, 16, v17
	v_max_f32_e32 v22, v22, v22
	v_max_f32_e32 v7, v7, v7
	v_min_f32_e32 v23, v7, v22
	v_max_f32_e32 v7, v7, v22
	v_cndmask_b32_e64 v22, v7, v23, s[30:31]
	v_and_b32_e32 v7, 0x7f800000, v22
	v_cmp_ne_u32_e32 vcc, s92, v7
                                        ; implicit-def: $vgpr7
	s_and_saveexec_b64 s[36:37], vcc
	s_xor_b64 vcc, exec, s[36:37]
; %bb.1718:                             ;   in Loop: Header=BB12_1714 Depth=3
	v_bfe_u32 v7, v22, 16, 1
	v_add3_u32 v7, v22, v7, s93
                                        ; implicit-def: $vgpr22
; %bb.1719:                             ;   in Loop: Header=BB12_1714 Depth=3
	s_andn2_saveexec_b64 s[36:37], vcc
; %bb.1720:                             ;   in Loop: Header=BB12_1714 Depth=3
	v_or_b32_e32 v7, 0x10000, v22
	v_cmp_eq_u32_sdwa vcc, v22, v42 src0_sel:WORD_0 src1_sel:DWORD
	v_cndmask_b32_e32 v7, v7, v22, vcc
; %bb.1721:                             ;   in Loop: Header=BB12_1714 Depth=3
	s_or_b64 exec, exec, s[36:37]
	v_and_b32_e32 v16, 0xffff0000, v16
	v_and_b32_e32 v17, 0xffff0000, v17
	v_max_f32_e32 v17, v17, v17
	v_max_f32_e32 v16, v16, v16
	v_min_f32_e32 v22, v16, v17
	v_max_f32_e32 v16, v16, v17
	v_cndmask_b32_e64 v17, v16, v22, s[30:31]
	v_and_b32_e32 v16, 0x7f800000, v17
	v_cmp_ne_u32_e32 vcc, s92, v16
                                        ; implicit-def: $vgpr16
	s_and_saveexec_b64 s[36:37], vcc
	s_xor_b64 vcc, exec, s[36:37]
; %bb.1722:                             ;   in Loop: Header=BB12_1714 Depth=3
	v_bfe_u32 v16, v17, 16, 1
	v_add3_u32 v16, v17, v16, s93
                                        ; implicit-def: $vgpr17
; %bb.1723:                             ;   in Loop: Header=BB12_1714 Depth=3
	s_andn2_saveexec_b64 s[36:37], vcc
; %bb.1724:                             ;   in Loop: Header=BB12_1714 Depth=3
	v_or_b32_e32 v16, 0x10000, v17
	v_cmp_eq_u32_sdwa vcc, v17, v42 src0_sel:WORD_0 src1_sel:DWORD
	v_cndmask_b32_e32 v16, v16, v17, vcc
; %bb.1725:                             ;   in Loop: Header=BB12_1714 Depth=3
	s_or_b64 exec, exec, s[36:37]
	s_waitcnt vmcnt(5)
	v_lshlrev_b32_e32 v17, 16, v20
	s_waitcnt vmcnt(2)
	v_lshlrev_b32_e32 v22, 16, v21
	v_max_f32_e32 v22, v22, v22
	v_max_f32_e32 v17, v17, v17
	v_min_f32_e32 v23, v17, v22
	v_max_f32_e32 v17, v17, v22
	v_cndmask_b32_e64 v22, v17, v23, s[30:31]
	v_and_b32_e32 v17, 0x7f800000, v22
	v_cmp_ne_u32_e32 vcc, s92, v17
                                        ; implicit-def: $vgpr17
	s_and_saveexec_b64 s[36:37], vcc
	s_xor_b64 vcc, exec, s[36:37]
; %bb.1726:                             ;   in Loop: Header=BB12_1714 Depth=3
	v_bfe_u32 v17, v22, 16, 1
	v_add3_u32 v17, v22, v17, s93
                                        ; implicit-def: $vgpr22
; %bb.1727:                             ;   in Loop: Header=BB12_1714 Depth=3
	s_andn2_saveexec_b64 s[36:37], vcc
; %bb.1728:                             ;   in Loop: Header=BB12_1714 Depth=3
	v_or_b32_e32 v17, 0x10000, v22
	v_cmp_eq_u32_sdwa vcc, v22, v42 src0_sel:WORD_0 src1_sel:DWORD
	v_cndmask_b32_e32 v17, v17, v22, vcc
; %bb.1729:                             ;   in Loop: Header=BB12_1714 Depth=3
	s_or_b64 exec, exec, s[36:37]
	v_and_b32_e32 v20, 0xffff0000, v20
	v_and_b32_e32 v21, 0xffff0000, v21
	v_max_f32_e32 v21, v21, v21
	v_max_f32_e32 v20, v20, v20
	v_min_f32_e32 v22, v20, v21
	v_max_f32_e32 v20, v20, v21
	v_cndmask_b32_e64 v21, v20, v22, s[30:31]
	v_and_b32_e32 v20, 0x7f800000, v21
	v_cmp_ne_u32_e32 vcc, s92, v20
                                        ; implicit-def: $vgpr20
	s_and_saveexec_b64 s[36:37], vcc
	s_xor_b64 vcc, exec, s[36:37]
; %bb.1730:                             ;   in Loop: Header=BB12_1714 Depth=3
	v_bfe_u32 v20, v21, 16, 1
	v_add3_u32 v20, v21, v20, s93
                                        ; implicit-def: $vgpr21
; %bb.1731:                             ;   in Loop: Header=BB12_1714 Depth=3
	s_andn2_saveexec_b64 s[36:37], vcc
; %bb.1732:                             ;   in Loop: Header=BB12_1714 Depth=3
	v_or_b32_e32 v20, 0x10000, v21
	v_cmp_eq_u32_sdwa vcc, v21, v42 src0_sel:WORD_0 src1_sel:DWORD
	v_cndmask_b32_e32 v20, v20, v21, vcc
; %bb.1733:                             ;   in Loop: Header=BB12_1714 Depth=3
	s_or_b64 exec, exec, s[36:37]
	v_lshlrev_b32_e32 v21, 16, v18
	s_waitcnt vmcnt(1)
	v_lshlrev_b32_e32 v22, 16, v19
	v_max_f32_e32 v22, v22, v22
	v_max_f32_e32 v21, v21, v21
	v_min_f32_e32 v23, v21, v22
	v_max_f32_e32 v21, v21, v22
	v_cndmask_b32_e64 v22, v21, v23, s[30:31]
	v_and_b32_e32 v21, 0x7f800000, v22
	v_cmp_ne_u32_e32 vcc, s92, v21
                                        ; implicit-def: $vgpr21
	s_and_saveexec_b64 s[36:37], vcc
	s_xor_b64 vcc, exec, s[36:37]
; %bb.1734:                             ;   in Loop: Header=BB12_1714 Depth=3
	v_bfe_u32 v21, v22, 16, 1
	v_add3_u32 v21, v22, v21, s93
                                        ; implicit-def: $vgpr22
; %bb.1735:                             ;   in Loop: Header=BB12_1714 Depth=3
	s_andn2_saveexec_b64 s[36:37], vcc
; %bb.1736:                             ;   in Loop: Header=BB12_1714 Depth=3
	v_or_b32_e32 v21, 0x10000, v22
	v_cmp_eq_u32_sdwa vcc, v22, v42 src0_sel:WORD_0 src1_sel:DWORD
	v_cndmask_b32_e32 v21, v21, v22, vcc
; %bb.1737:                             ;   in Loop: Header=BB12_1714 Depth=3
	s_or_b64 exec, exec, s[36:37]
	v_and_b32_e32 v18, 0xffff0000, v18
	v_and_b32_e32 v19, 0xffff0000, v19
	v_max_f32_e32 v19, v19, v19
	v_max_f32_e32 v18, v18, v18
	v_min_f32_e32 v22, v18, v19
	v_max_f32_e32 v18, v18, v19
	v_cndmask_b32_e64 v19, v18, v22, s[30:31]
	v_and_b32_e32 v18, 0x7f800000, v19
	v_cmp_ne_u32_e32 vcc, s92, v18
                                        ; implicit-def: $vgpr18
	s_and_saveexec_b64 s[36:37], vcc
	s_xor_b64 vcc, exec, s[36:37]
; %bb.1738:                             ;   in Loop: Header=BB12_1714 Depth=3
	v_bfe_u32 v18, v19, 16, 1
	v_add3_u32 v18, v19, v18, s93
                                        ; implicit-def: $vgpr19
; %bb.1739:                             ;   in Loop: Header=BB12_1714 Depth=3
	s_andn2_saveexec_b64 s[36:37], vcc
; %bb.1740:                             ;   in Loop: Header=BB12_1714 Depth=3
	v_or_b32_e32 v18, 0x10000, v19
	v_cmp_eq_u32_sdwa vcc, v19, v42 src0_sel:WORD_0 src1_sel:DWORD
	v_cndmask_b32_e32 v18, v18, v19, vcc
; %bb.1741:                             ;   in Loop: Header=BB12_1714 Depth=3
	s_or_b64 exec, exec, s[36:37]
	v_lshlrev_b32_e32 v19, 16, v12
	s_waitcnt vmcnt(0)
	v_lshlrev_b32_e32 v22, 16, v15
	v_max_f32_e32 v22, v22, v22
	v_max_f32_e32 v19, v19, v19
	v_min_f32_e32 v23, v19, v22
	v_max_f32_e32 v19, v19, v22
	v_cndmask_b32_e64 v22, v19, v23, s[30:31]
	v_and_b32_e32 v19, 0x7f800000, v22
	v_cmp_ne_u32_e32 vcc, s92, v19
                                        ; implicit-def: $vgpr19
	s_and_saveexec_b64 s[36:37], vcc
	s_xor_b64 vcc, exec, s[36:37]
; %bb.1742:                             ;   in Loop: Header=BB12_1714 Depth=3
	v_bfe_u32 v19, v22, 16, 1
	v_add3_u32 v19, v22, v19, s93
                                        ; implicit-def: $vgpr22
; %bb.1743:                             ;   in Loop: Header=BB12_1714 Depth=3
	s_andn2_saveexec_b64 s[36:37], vcc
; %bb.1744:                             ;   in Loop: Header=BB12_1714 Depth=3
	v_or_b32_e32 v19, 0x10000, v22
	v_cmp_eq_u32_sdwa vcc, v22, v42 src0_sel:WORD_0 src1_sel:DWORD
	v_cndmask_b32_e32 v19, v19, v22, vcc
; %bb.1745:                             ;   in Loop: Header=BB12_1714 Depth=3
	s_or_b64 exec, exec, s[36:37]
	v_and_b32_e32 v12, 0xffff0000, v12
	v_and_b32_e32 v15, 0xffff0000, v15
	v_max_f32_e32 v15, v15, v15
	v_max_f32_e32 v12, v12, v12
	v_min_f32_e32 v22, v12, v15
	v_max_f32_e32 v12, v12, v15
	v_cndmask_b32_e64 v15, v12, v22, s[30:31]
	v_and_b32_e32 v12, 0x7f800000, v15
	v_cmp_ne_u32_e32 vcc, s92, v12
                                        ; implicit-def: $vgpr12
	s_and_saveexec_b64 s[36:37], vcc
	s_xor_b64 vcc, exec, s[36:37]
; %bb.1746:                             ;   in Loop: Header=BB12_1714 Depth=3
	v_bfe_u32 v12, v15, 16, 1
	v_add3_u32 v12, v15, v12, s93
                                        ; implicit-def: $vgpr15
; %bb.1747:                             ;   in Loop: Header=BB12_1714 Depth=3
	s_andn2_saveexec_b64 s[36:37], vcc
; %bb.1748:                             ;   in Loop: Header=BB12_1714 Depth=3
	v_or_b32_e32 v12, 0x10000, v15
	v_cmp_eq_u32_sdwa vcc, v15, v42 src0_sel:WORD_0 src1_sel:DWORD
	v_cndmask_b32_e32 v12, v12, v15, vcc
; %bb.1749:                             ;   in Loop: Header=BB12_1714 Depth=3
	s_or_b64 exec, exec, s[36:37]
	v_lshrrev_b32_e32 v7, 16, v7
	v_and_or_b32 v16, v16, s94, v7
	v_lshrrev_b32_e32 v7, 16, v21
	v_lshrrev_b32_e32 v15, 16, v17
	v_and_or_b32 v18, v18, s94, v7
	v_lshrrev_b32_e32 v7, 16, v19
	v_and_or_b32 v17, v20, s94, v15
	v_and_or_b32 v19, v12, s94, v7
	v_accvgpr_read_b32 v7, a39
	buffer_store_dword v17, off, s[0:3], s33 offset:228
	buffer_store_dword v16, off, s[0:3], s33 offset:224
	;; [unrolled: 1-line block ×4, first 2 shown]
	global_store_dwordx4 v[2:3], v[16:19], off glc slc
	v_add_co_u32_e32 v2, vcc, v7, v2
	v_accvgpr_read_b32 v7, a40
	v_addc_co_u32_e32 v3, vcc, v7, v3, vcc
.LBB12_1750:                            ;   in Loop: Header=BB12_1714 Depth=3
	s_or_b64 exec, exec, s[34:35]
	v_accvgpr_read_b32 v12, a32
	v_add_co_u32_e32 v0, vcc, v0, v12
	v_accvgpr_read_b32 v7, a35
	v_addc_co_u32_e32 v5, vcc, v5, v7, vcc
	v_add_co_u32_e32 v4, vcc, v4, v12
	v_addc_co_u32_e32 v9, vcc, v9, v7, vcc
	v_accvgpr_read_b32 v7, a17
	v_sub_u32_e32 v11, v11, v7
	v_cmp_lt_i32_e64 s[68:69], 15, v11
	s_and_saveexec_b64 s[70:71], s[68:69]
	s_cbranch_execz .LBB12_1753
; %bb.1751:                             ;   in Loop: Header=BB12_1714 Depth=3
	v_lshrrev_b32_e64 v7, 6, s33
	v_add_u32_e32 v7, 0xe0, v7
	s_mov_b64 s[74:75], 0
	s_mov_b64 s[72:73], -1
	v_accvgpr_read_b32 v22, a47
.LBB12_1752:                            ;   Parent Loop BB12_47 Depth=1
                                        ;     Parent Loop BB12_955 Depth=2
                                        ;       Parent Loop BB12_1714 Depth=3
                                        ; =>      This Inner Loop Header: Depth=4
	s_cmp_eq_u32 s74, 1
	s_cselect_b64 s[34:35], -1, 0
	v_cndmask_b32_e64 v21, v5, v9, s[34:35]
	v_cndmask_b32_e64 v20, v0, v4, s[34:35]
	global_load_dwordx4 v[16:19], v[20:21], off glc slc
	v_add_co_u32_e32 v12, vcc, s79, v20
	s_cmp_eq_u32 s74, 0
	v_addc_co_u32_e32 v15, vcc, 0, v21, vcc
	s_cselect_b64 vcc, -1, 0
	s_and_b64 s[36:37], exec, s[72:73]
	s_mov_b64 s[74:75], 1
	v_cndmask_b32_e64 v4, v4, v12, s[34:35]
	s_mov_b64 s[72:73], 0
	v_cndmask_b32_e32 v5, v5, v15, vcc
	v_cndmask_b32_e32 v0, v0, v12, vcc
	v_cndmask_b32_e64 v9, v9, v15, s[34:35]
	s_mov_b64 vcc, s[36:37]
	s_waitcnt vmcnt(0)
	buffer_store_dword v17, v7, s[0:3], 0 offen offset:4
	buffer_store_dword v16, v7, s[0:3], 0 offen
	buffer_store_dword v19, v7, s[0:3], 0 offen offset:12
	buffer_store_dword v18, v7, s[0:3], 0 offen offset:8
	v_mov_b32_e32 v7, v22
	s_cbranch_vccnz .LBB12_1752
.LBB12_1753:                            ;   in Loop: Header=BB12_1714 Depth=3
	s_or_b64 exec, exec, s[70:71]
	buffer_load_dword v16, off, s[0:3], s33 offset:192
	buffer_load_dword v17, off, s[0:3], s33 offset:208
	;; [unrolled: 1-line block ×8, first 2 shown]
	s_waitcnt vmcnt(7)
	v_lshlrev_b32_e32 v7, 16, v16
	s_waitcnt vmcnt(6)
	v_lshlrev_b32_e32 v22, 16, v17
	v_max_f32_e32 v22, v22, v22
	v_max_f32_e32 v7, v7, v7
	v_min_f32_e32 v23, v7, v22
	v_max_f32_e32 v7, v7, v22
	v_cndmask_b32_e64 v22, v7, v23, s[30:31]
	v_and_b32_e32 v7, 0x7f800000, v22
	v_cmp_ne_u32_e32 vcc, s92, v7
                                        ; implicit-def: $vgpr7
	s_and_saveexec_b64 s[34:35], vcc
	s_xor_b64 vcc, exec, s[34:35]
; %bb.1754:                             ;   in Loop: Header=BB12_1714 Depth=3
	v_bfe_u32 v7, v22, 16, 1
	v_add3_u32 v7, v22, v7, s93
                                        ; implicit-def: $vgpr22
; %bb.1755:                             ;   in Loop: Header=BB12_1714 Depth=3
	s_andn2_saveexec_b64 s[34:35], vcc
; %bb.1756:                             ;   in Loop: Header=BB12_1714 Depth=3
	v_or_b32_e32 v7, 0x10000, v22
	v_cmp_eq_u32_sdwa vcc, v22, v42 src0_sel:WORD_0 src1_sel:DWORD
	v_cndmask_b32_e32 v7, v7, v22, vcc
; %bb.1757:                             ;   in Loop: Header=BB12_1714 Depth=3
	s_or_b64 exec, exec, s[34:35]
	v_and_b32_e32 v16, 0xffff0000, v16
	v_and_b32_e32 v17, 0xffff0000, v17
	v_max_f32_e32 v17, v17, v17
	v_max_f32_e32 v16, v16, v16
	v_min_f32_e32 v22, v16, v17
	v_max_f32_e32 v16, v16, v17
	v_cndmask_b32_e64 v17, v16, v22, s[30:31]
	v_and_b32_e32 v16, 0x7f800000, v17
	v_cmp_ne_u32_e32 vcc, s92, v16
                                        ; implicit-def: $vgpr16
	s_and_saveexec_b64 s[34:35], vcc
	s_xor_b64 vcc, exec, s[34:35]
; %bb.1758:                             ;   in Loop: Header=BB12_1714 Depth=3
	v_bfe_u32 v16, v17, 16, 1
	v_add3_u32 v16, v17, v16, s93
                                        ; implicit-def: $vgpr17
; %bb.1759:                             ;   in Loop: Header=BB12_1714 Depth=3
	s_andn2_saveexec_b64 s[34:35], vcc
; %bb.1760:                             ;   in Loop: Header=BB12_1714 Depth=3
	v_or_b32_e32 v16, 0x10000, v17
	v_cmp_eq_u32_sdwa vcc, v17, v42 src0_sel:WORD_0 src1_sel:DWORD
	v_cndmask_b32_e32 v16, v16, v17, vcc
; %bb.1761:                             ;   in Loop: Header=BB12_1714 Depth=3
	s_or_b64 exec, exec, s[34:35]
	s_waitcnt vmcnt(5)
	v_lshlrev_b32_e32 v17, 16, v20
	s_waitcnt vmcnt(2)
	v_lshlrev_b32_e32 v22, 16, v21
	v_max_f32_e32 v22, v22, v22
	v_max_f32_e32 v17, v17, v17
	v_min_f32_e32 v23, v17, v22
	v_max_f32_e32 v17, v17, v22
	v_cndmask_b32_e64 v22, v17, v23, s[30:31]
	v_and_b32_e32 v17, 0x7f800000, v22
	v_cmp_ne_u32_e32 vcc, s92, v17
                                        ; implicit-def: $vgpr17
	s_and_saveexec_b64 s[34:35], vcc
	s_xor_b64 vcc, exec, s[34:35]
; %bb.1762:                             ;   in Loop: Header=BB12_1714 Depth=3
	v_bfe_u32 v17, v22, 16, 1
	v_add3_u32 v17, v22, v17, s93
                                        ; implicit-def: $vgpr22
; %bb.1763:                             ;   in Loop: Header=BB12_1714 Depth=3
	s_andn2_saveexec_b64 s[34:35], vcc
; %bb.1764:                             ;   in Loop: Header=BB12_1714 Depth=3
	v_or_b32_e32 v17, 0x10000, v22
	v_cmp_eq_u32_sdwa vcc, v22, v42 src0_sel:WORD_0 src1_sel:DWORD
	v_cndmask_b32_e32 v17, v17, v22, vcc
; %bb.1765:                             ;   in Loop: Header=BB12_1714 Depth=3
	s_or_b64 exec, exec, s[34:35]
	v_and_b32_e32 v20, 0xffff0000, v20
	v_and_b32_e32 v21, 0xffff0000, v21
	v_max_f32_e32 v21, v21, v21
	v_max_f32_e32 v20, v20, v20
	v_min_f32_e32 v22, v20, v21
	v_max_f32_e32 v20, v20, v21
	v_cndmask_b32_e64 v21, v20, v22, s[30:31]
	v_and_b32_e32 v20, 0x7f800000, v21
	v_cmp_ne_u32_e32 vcc, s92, v20
                                        ; implicit-def: $vgpr20
	s_and_saveexec_b64 s[34:35], vcc
	s_xor_b64 vcc, exec, s[34:35]
; %bb.1766:                             ;   in Loop: Header=BB12_1714 Depth=3
	v_bfe_u32 v20, v21, 16, 1
	v_add3_u32 v20, v21, v20, s93
                                        ; implicit-def: $vgpr21
; %bb.1767:                             ;   in Loop: Header=BB12_1714 Depth=3
	s_andn2_saveexec_b64 s[34:35], vcc
; %bb.1768:                             ;   in Loop: Header=BB12_1714 Depth=3
	v_or_b32_e32 v20, 0x10000, v21
	v_cmp_eq_u32_sdwa vcc, v21, v42 src0_sel:WORD_0 src1_sel:DWORD
	v_cndmask_b32_e32 v20, v20, v21, vcc
; %bb.1769:                             ;   in Loop: Header=BB12_1714 Depth=3
	s_or_b64 exec, exec, s[34:35]
	v_lshlrev_b32_e32 v21, 16, v18
	s_waitcnt vmcnt(1)
	v_lshlrev_b32_e32 v22, 16, v19
	v_max_f32_e32 v22, v22, v22
	v_max_f32_e32 v21, v21, v21
	v_min_f32_e32 v23, v21, v22
	v_max_f32_e32 v21, v21, v22
	v_cndmask_b32_e64 v22, v21, v23, s[30:31]
	v_and_b32_e32 v21, 0x7f800000, v22
	v_cmp_ne_u32_e32 vcc, s92, v21
                                        ; implicit-def: $vgpr21
	s_and_saveexec_b64 s[34:35], vcc
	s_xor_b64 vcc, exec, s[34:35]
; %bb.1770:                             ;   in Loop: Header=BB12_1714 Depth=3
	v_bfe_u32 v21, v22, 16, 1
	v_add3_u32 v21, v22, v21, s93
                                        ; implicit-def: $vgpr22
; %bb.1771:                             ;   in Loop: Header=BB12_1714 Depth=3
	s_andn2_saveexec_b64 s[34:35], vcc
; %bb.1772:                             ;   in Loop: Header=BB12_1714 Depth=3
	v_or_b32_e32 v21, 0x10000, v22
	v_cmp_eq_u32_sdwa vcc, v22, v42 src0_sel:WORD_0 src1_sel:DWORD
	v_cndmask_b32_e32 v21, v21, v22, vcc
; %bb.1773:                             ;   in Loop: Header=BB12_1714 Depth=3
	s_or_b64 exec, exec, s[34:35]
	v_and_b32_e32 v18, 0xffff0000, v18
	v_and_b32_e32 v19, 0xffff0000, v19
	v_max_f32_e32 v19, v19, v19
	v_max_f32_e32 v18, v18, v18
	v_min_f32_e32 v22, v18, v19
	v_max_f32_e32 v18, v18, v19
	v_cndmask_b32_e64 v19, v18, v22, s[30:31]
	v_and_b32_e32 v18, 0x7f800000, v19
	v_cmp_ne_u32_e32 vcc, s92, v18
                                        ; implicit-def: $vgpr18
	s_and_saveexec_b64 s[34:35], vcc
	s_xor_b64 vcc, exec, s[34:35]
; %bb.1774:                             ;   in Loop: Header=BB12_1714 Depth=3
	v_bfe_u32 v18, v19, 16, 1
	v_add3_u32 v18, v19, v18, s93
                                        ; implicit-def: $vgpr19
; %bb.1775:                             ;   in Loop: Header=BB12_1714 Depth=3
	s_andn2_saveexec_b64 s[34:35], vcc
; %bb.1776:                             ;   in Loop: Header=BB12_1714 Depth=3
	v_or_b32_e32 v18, 0x10000, v19
	v_cmp_eq_u32_sdwa vcc, v19, v42 src0_sel:WORD_0 src1_sel:DWORD
	v_cndmask_b32_e32 v18, v18, v19, vcc
; %bb.1777:                             ;   in Loop: Header=BB12_1714 Depth=3
	s_or_b64 exec, exec, s[34:35]
	v_lshlrev_b32_e32 v19, 16, v12
	s_waitcnt vmcnt(0)
	v_lshlrev_b32_e32 v22, 16, v15
	v_max_f32_e32 v22, v22, v22
	v_max_f32_e32 v19, v19, v19
	v_min_f32_e32 v23, v19, v22
	v_max_f32_e32 v19, v19, v22
	v_cndmask_b32_e64 v22, v19, v23, s[30:31]
	v_and_b32_e32 v19, 0x7f800000, v22
	v_cmp_ne_u32_e32 vcc, s92, v19
                                        ; implicit-def: $vgpr19
	s_and_saveexec_b64 s[34:35], vcc
	s_xor_b64 vcc, exec, s[34:35]
; %bb.1778:                             ;   in Loop: Header=BB12_1714 Depth=3
	v_bfe_u32 v19, v22, 16, 1
	v_add3_u32 v19, v22, v19, s93
                                        ; implicit-def: $vgpr22
; %bb.1779:                             ;   in Loop: Header=BB12_1714 Depth=3
	s_andn2_saveexec_b64 s[34:35], vcc
; %bb.1780:                             ;   in Loop: Header=BB12_1714 Depth=3
	v_or_b32_e32 v19, 0x10000, v22
	v_cmp_eq_u32_sdwa vcc, v22, v42 src0_sel:WORD_0 src1_sel:DWORD
	v_cndmask_b32_e32 v19, v19, v22, vcc
; %bb.1781:                             ;   in Loop: Header=BB12_1714 Depth=3
	s_or_b64 exec, exec, s[34:35]
	v_and_b32_e32 v12, 0xffff0000, v12
	v_and_b32_e32 v15, 0xffff0000, v15
	v_max_f32_e32 v15, v15, v15
	v_max_f32_e32 v12, v12, v12
	v_min_f32_e32 v22, v12, v15
	v_max_f32_e32 v12, v12, v15
	v_cndmask_b32_e64 v15, v12, v22, s[30:31]
	v_and_b32_e32 v12, 0x7f800000, v15
	v_cmp_ne_u32_e32 vcc, s92, v12
                                        ; implicit-def: $vgpr12
	s_and_saveexec_b64 s[34:35], vcc
	s_xor_b64 vcc, exec, s[34:35]
; %bb.1782:                             ;   in Loop: Header=BB12_1714 Depth=3
	v_bfe_u32 v12, v15, 16, 1
	v_add3_u32 v12, v15, v12, s93
                                        ; implicit-def: $vgpr15
; %bb.1783:                             ;   in Loop: Header=BB12_1714 Depth=3
	s_andn2_saveexec_b64 s[34:35], vcc
; %bb.1784:                             ;   in Loop: Header=BB12_1714 Depth=3
	v_or_b32_e32 v12, 0x10000, v15
	v_cmp_eq_u32_sdwa vcc, v15, v42 src0_sel:WORD_0 src1_sel:DWORD
	v_cndmask_b32_e32 v12, v12, v15, vcc
; %bb.1785:                             ;   in Loop: Header=BB12_1714 Depth=3
	s_or_b64 exec, exec, s[34:35]
	v_lshrrev_b32_e32 v7, 16, v7
	v_and_or_b32 v16, v16, s94, v7
	v_lshrrev_b32_e32 v7, 16, v21
	v_lshrrev_b32_e32 v15, 16, v17
	v_and_or_b32 v18, v18, s94, v7
	v_lshrrev_b32_e32 v7, 16, v19
	v_and_or_b32 v17, v20, s94, v15
	v_and_or_b32 v19, v12, s94, v7
	v_accvgpr_read_b32 v22, a22
	buffer_store_dword v17, off, s[0:3], s33 offset:196
	buffer_store_dword v16, off, s[0:3], s33 offset:192
	;; [unrolled: 1-line block ×4, first 2 shown]
	global_store_dwordx4 v[2:3], v[16:19], off glc slc
	v_add_co_u32_e32 v2, vcc, 0x400, v2
	v_sub_u32_e32 v14, v14, v22
	v_addc_co_u32_e32 v3, vcc, 0, v3, vcc
	s_and_saveexec_b64 s[34:35], s[68:69]
	s_cbranch_execz .LBB12_1713
; %bb.1786:                             ;   in Loop: Header=BB12_1714 Depth=3
	v_accvgpr_read_b32 v12, a32
	v_add_co_u32_e32 v0, vcc, v0, v12
	v_accvgpr_read_b32 v7, a35
	v_addc_co_u32_e32 v5, vcc, v5, v7, vcc
	v_add_co_u32_e32 v4, vcc, v4, v12
	v_addc_co_u32_e32 v9, vcc, v9, v7, vcc
	v_add_co_u32_e32 v2, vcc, v2, v12
	v_addc_co_u32_e32 v3, vcc, v3, v7, vcc
	v_accvgpr_read_b32 v7, a17
	v_accvgpr_read_b32 v12, a22
	v_sub_u32_e32 v11, v11, v7
	v_sub_u32_e32 v14, v14, v12
	s_branch .LBB12_1713
.LBB12_1787:                            ;   in Loop: Header=BB12_955 Depth=2
	s_or_b64 exec, exec, s[64:65]
	s_and_b64 s[30:31], s[66:67], exec
.LBB12_1788:                            ;   in Loop: Header=BB12_955 Depth=2
	s_or_b64 exec, exec, s[62:63]
	s_and_saveexec_b64 s[34:35], s[30:31]
	s_cbranch_execz .LBB12_1822
; %bb.1789:                             ;   in Loop: Header=BB12_955 Depth=2
	buffer_load_dword v7, off, s[0:3], s33 offset:224
	buffer_load_dword v9, off, s[0:3], s33 offset:240
	;; [unrolled: 1-line block ×8, first 2 shown]
	v_cmp_eq_u16_e32 vcc, 0, v24
	s_waitcnt vmcnt(0)
	v_lshlrev_b32_e32 v0, 16, v7
	v_lshlrev_b32_e32 v17, 16, v9
	v_max_f32_e32 v17, v17, v17
	v_max_f32_e32 v0, v0, v0
	v_min_f32_e32 v18, v0, v17
	v_max_f32_e32 v0, v0, v17
	v_cndmask_b32_e32 v17, v0, v18, vcc
	v_and_b32_e32 v0, 0x7f800000, v17
	v_cmp_ne_u32_e64 s[30:31], s92, v0
                                        ; implicit-def: $vgpr0
	s_and_saveexec_b64 s[36:37], s[30:31]
	s_xor_b64 s[30:31], exec, s[36:37]
; %bb.1790:                             ;   in Loop: Header=BB12_955 Depth=2
	v_bfe_u32 v0, v17, 16, 1
	v_add3_u32 v0, v17, v0, s93
                                        ; implicit-def: $vgpr17
; %bb.1791:                             ;   in Loop: Header=BB12_955 Depth=2
	s_andn2_saveexec_b64 s[36:37], s[30:31]
; %bb.1792:                             ;   in Loop: Header=BB12_955 Depth=2
	v_or_b32_e32 v0, 0x10000, v17
	v_cmp_eq_u32_sdwa s[30:31], v17, v42 src0_sel:WORD_0 src1_sel:DWORD
	v_cndmask_b32_e64 v0, v0, v17, s[30:31]
; %bb.1793:                             ;   in Loop: Header=BB12_955 Depth=2
	s_or_b64 exec, exec, s[36:37]
	v_and_b32_e32 v7, 0xffff0000, v7
	v_and_b32_e32 v9, 0xffff0000, v9
	v_max_f32_e32 v9, v9, v9
	v_max_f32_e32 v7, v7, v7
	v_min_f32_e32 v17, v7, v9
	v_max_f32_e32 v7, v7, v9
	v_cndmask_b32_e32 v9, v7, v17, vcc
	v_and_b32_e32 v7, 0x7f800000, v9
	v_cmp_ne_u32_e64 s[30:31], s92, v7
                                        ; implicit-def: $vgpr7
	s_and_saveexec_b64 s[36:37], s[30:31]
	s_xor_b64 s[30:31], exec, s[36:37]
; %bb.1794:                             ;   in Loop: Header=BB12_955 Depth=2
	v_bfe_u32 v7, v9, 16, 1
	v_add3_u32 v7, v9, v7, s93
                                        ; implicit-def: $vgpr9
; %bb.1795:                             ;   in Loop: Header=BB12_955 Depth=2
	s_andn2_saveexec_b64 s[36:37], s[30:31]
; %bb.1796:                             ;   in Loop: Header=BB12_955 Depth=2
	v_or_b32_e32 v7, 0x10000, v9
	v_cmp_eq_u32_sdwa s[30:31], v9, v42 src0_sel:WORD_0 src1_sel:DWORD
	v_cndmask_b32_e64 v7, v7, v9, s[30:31]
; %bb.1797:                             ;   in Loop: Header=BB12_955 Depth=2
	s_or_b64 exec, exec, s[36:37]
	v_lshlrev_b32_e32 v9, 16, v15
	v_lshlrev_b32_e32 v17, 16, v16
	v_max_f32_e32 v17, v17, v17
	v_max_f32_e32 v9, v9, v9
	v_min_f32_e32 v18, v9, v17
	v_max_f32_e32 v9, v9, v17
	v_cndmask_b32_e32 v17, v9, v18, vcc
	v_and_b32_e32 v9, 0x7f800000, v17
	v_cmp_ne_u32_e64 s[30:31], s92, v9
                                        ; implicit-def: $vgpr9
	s_and_saveexec_b64 s[36:37], s[30:31]
	s_xor_b64 s[30:31], exec, s[36:37]
; %bb.1798:                             ;   in Loop: Header=BB12_955 Depth=2
	v_bfe_u32 v9, v17, 16, 1
	v_add3_u32 v9, v17, v9, s93
                                        ; implicit-def: $vgpr17
; %bb.1799:                             ;   in Loop: Header=BB12_955 Depth=2
	s_andn2_saveexec_b64 s[36:37], s[30:31]
; %bb.1800:                             ;   in Loop: Header=BB12_955 Depth=2
	v_or_b32_e32 v9, 0x10000, v17
	v_cmp_eq_u32_sdwa s[30:31], v17, v42 src0_sel:WORD_0 src1_sel:DWORD
	v_cndmask_b32_e64 v9, v9, v17, s[30:31]
; %bb.1801:                             ;   in Loop: Header=BB12_955 Depth=2
	s_or_b64 exec, exec, s[36:37]
	v_and_b32_e32 v15, 0xffff0000, v15
	v_and_b32_e32 v16, 0xffff0000, v16
	v_max_f32_e32 v16, v16, v16
	v_max_f32_e32 v15, v15, v15
	v_min_f32_e32 v17, v15, v16
	v_max_f32_e32 v15, v15, v16
	v_cndmask_b32_e32 v16, v15, v17, vcc
	v_and_b32_e32 v15, 0x7f800000, v16
	v_cmp_ne_u32_e64 s[30:31], s92, v15
                                        ; implicit-def: $vgpr15
	s_and_saveexec_b64 s[36:37], s[30:31]
	s_xor_b64 s[30:31], exec, s[36:37]
; %bb.1802:                             ;   in Loop: Header=BB12_955 Depth=2
	v_bfe_u32 v15, v16, 16, 1
	v_add3_u32 v15, v16, v15, s93
                                        ; implicit-def: $vgpr16
; %bb.1803:                             ;   in Loop: Header=BB12_955 Depth=2
	s_andn2_saveexec_b64 s[36:37], s[30:31]
; %bb.1804:                             ;   in Loop: Header=BB12_955 Depth=2
	v_or_b32_e32 v15, 0x10000, v16
	v_cmp_eq_u32_sdwa s[30:31], v16, v42 src0_sel:WORD_0 src1_sel:DWORD
	v_cndmask_b32_e64 v15, v15, v16, s[30:31]
; %bb.1805:                             ;   in Loop: Header=BB12_955 Depth=2
	s_or_b64 exec, exec, s[36:37]
	v_lshlrev_b32_e32 v16, 16, v11
	v_lshlrev_b32_e32 v17, 16, v12
	v_max_f32_e32 v17, v17, v17
	v_max_f32_e32 v16, v16, v16
	v_min_f32_e32 v18, v16, v17
	v_max_f32_e32 v16, v16, v17
	v_cndmask_b32_e32 v17, v16, v18, vcc
	v_and_b32_e32 v16, 0x7f800000, v17
	v_cmp_ne_u32_e64 s[30:31], s92, v16
                                        ; implicit-def: $vgpr16
	s_and_saveexec_b64 s[36:37], s[30:31]
	s_xor_b64 s[30:31], exec, s[36:37]
; %bb.1806:                             ;   in Loop: Header=BB12_955 Depth=2
	v_bfe_u32 v16, v17, 16, 1
	v_add3_u32 v16, v17, v16, s93
                                        ; implicit-def: $vgpr17
; %bb.1807:                             ;   in Loop: Header=BB12_955 Depth=2
	s_andn2_saveexec_b64 s[36:37], s[30:31]
; %bb.1808:                             ;   in Loop: Header=BB12_955 Depth=2
	v_or_b32_e32 v16, 0x10000, v17
	v_cmp_eq_u32_sdwa s[30:31], v17, v42 src0_sel:WORD_0 src1_sel:DWORD
	v_cndmask_b32_e64 v16, v16, v17, s[30:31]
; %bb.1809:                             ;   in Loop: Header=BB12_955 Depth=2
	s_or_b64 exec, exec, s[36:37]
	v_and_b32_e32 v11, 0xffff0000, v11
	v_and_b32_e32 v12, 0xffff0000, v12
	v_max_f32_e32 v12, v12, v12
	v_max_f32_e32 v11, v11, v11
	v_min_f32_e32 v17, v11, v12
	v_max_f32_e32 v11, v11, v12
	v_cndmask_b32_e32 v12, v11, v17, vcc
	v_and_b32_e32 v11, 0x7f800000, v12
	v_cmp_ne_u32_e64 s[30:31], s92, v11
                                        ; implicit-def: $vgpr11
	s_and_saveexec_b64 s[36:37], s[30:31]
	s_xor_b64 s[30:31], exec, s[36:37]
; %bb.1810:                             ;   in Loop: Header=BB12_955 Depth=2
	v_bfe_u32 v11, v12, 16, 1
	v_add3_u32 v11, v12, v11, s93
                                        ; implicit-def: $vgpr12
; %bb.1811:                             ;   in Loop: Header=BB12_955 Depth=2
	s_andn2_saveexec_b64 s[36:37], s[30:31]
; %bb.1812:                             ;   in Loop: Header=BB12_955 Depth=2
	v_or_b32_e32 v11, 0x10000, v12
	v_cmp_eq_u32_sdwa s[30:31], v12, v42 src0_sel:WORD_0 src1_sel:DWORD
	v_cndmask_b32_e64 v11, v11, v12, s[30:31]
; %bb.1813:                             ;   in Loop: Header=BB12_955 Depth=2
	s_or_b64 exec, exec, s[36:37]
	v_lshlrev_b32_e32 v12, 16, v4
	v_lshlrev_b32_e32 v17, 16, v5
	v_max_f32_e32 v17, v17, v17
	v_max_f32_e32 v12, v12, v12
	v_min_f32_e32 v18, v12, v17
	v_max_f32_e32 v12, v12, v17
	v_cndmask_b32_e32 v17, v12, v18, vcc
	v_and_b32_e32 v12, 0x7f800000, v17
	v_cmp_ne_u32_e64 s[30:31], s92, v12
                                        ; implicit-def: $vgpr12
	s_and_saveexec_b64 s[36:37], s[30:31]
	s_xor_b64 s[30:31], exec, s[36:37]
; %bb.1814:                             ;   in Loop: Header=BB12_955 Depth=2
	v_bfe_u32 v12, v17, 16, 1
	v_add3_u32 v12, v17, v12, s93
                                        ; implicit-def: $vgpr17
; %bb.1815:                             ;   in Loop: Header=BB12_955 Depth=2
	s_andn2_saveexec_b64 s[36:37], s[30:31]
; %bb.1816:                             ;   in Loop: Header=BB12_955 Depth=2
	v_or_b32_e32 v12, 0x10000, v17
	v_cmp_eq_u32_sdwa s[30:31], v17, v42 src0_sel:WORD_0 src1_sel:DWORD
	v_cndmask_b32_e64 v12, v12, v17, s[30:31]
; %bb.1817:                             ;   in Loop: Header=BB12_955 Depth=2
	s_or_b64 exec, exec, s[36:37]
	v_and_b32_e32 v4, 0xffff0000, v4
	v_and_b32_e32 v5, 0xffff0000, v5
	v_max_f32_e32 v5, v5, v5
	v_max_f32_e32 v4, v4, v4
	v_min_f32_e32 v17, v4, v5
	v_max_f32_e32 v4, v4, v5
	v_cndmask_b32_e32 v5, v4, v17, vcc
	v_and_b32_e32 v4, 0x7f800000, v5
	v_cmp_ne_u32_e32 vcc, s92, v4
                                        ; implicit-def: $vgpr4
	s_and_saveexec_b64 s[30:31], vcc
	s_xor_b64 vcc, exec, s[30:31]
; %bb.1818:                             ;   in Loop: Header=BB12_955 Depth=2
	v_bfe_u32 v4, v5, 16, 1
	v_add3_u32 v4, v5, v4, s93
                                        ; implicit-def: $vgpr5
; %bb.1819:                             ;   in Loop: Header=BB12_955 Depth=2
	s_andn2_saveexec_b64 s[30:31], vcc
; %bb.1820:                             ;   in Loop: Header=BB12_955 Depth=2
	v_or_b32_e32 v4, 0x10000, v5
	v_cmp_eq_u32_sdwa vcc, v5, v42 src0_sel:WORD_0 src1_sel:DWORD
	v_cndmask_b32_e32 v4, v4, v5, vcc
; %bb.1821:                             ;   in Loop: Header=BB12_955 Depth=2
	s_or_b64 exec, exec, s[30:31]
	v_lshrrev_b32_e32 v0, 16, v0
	v_and_or_b32 v18, v7, s94, v0
	v_lshrrev_b32_e32 v0, 16, v16
	v_lshrrev_b32_e32 v5, 16, v9
	v_and_or_b32 v20, v11, s94, v0
	v_lshrrev_b32_e32 v0, 16, v12
	v_and_or_b32 v19, v15, s94, v5
	v_and_or_b32 v21, v4, s94, v0
	global_store_dwordx4 v[2:3], v[18:21], off glc slc
.LBB12_1822:                            ;   in Loop: Header=BB12_955 Depth=2
	s_or_b64 exec, exec, s[34:35]
	v_and_b32_e32 v0, 14, v57
	v_cndmask_b32_e64 v57, v13, v0, s[28:29]
	v_cmp_ne_u32_e32 vcc, 0, v57
	s_mov_b64 s[30:31], s[58:59]
                                        ; implicit-def: $vgpr11
                                        ; implicit-def: $vgpr12
                                        ; implicit-def: $vgpr4
	s_and_saveexec_b64 s[34:35], vcc
	s_cbranch_execz .LBB12_1824
; %bb.1823:                             ;   in Loop: Header=BB12_955 Depth=2
	v_sub_u32_e32 v0, v13, v0
	v_cndmask_b32_e64 v0, 0, v0, s[28:29]
	v_add3_u32 v11, v10, v6, v0
	v_cmp_lt_i32_e32 vcc, 0, v14
	v_accvgpr_read_b32 v0, a22
	v_cndmask_b32_e32 v0, 0, v0, vcc
	v_sub_u32_e32 v0, v0, v14
	v_lshl_add_u32 v0, v0, 6, v8
	v_ashrrev_i32_e32 v2, 31, v0
	v_lshrrev_b32_e32 v2, 26, v2
	v_add_u32_e32 v2, v0, v2
	v_ashrrev_i32_e32 v4, 6, v2
	v_and_b32_e32 v2, 0xffffffc0, v2
	v_sub_u32_e32 v12, v0, v2
	s_or_b64 s[30:31], s[58:59], exec
.LBB12_1824:                            ;   in Loop: Header=BB12_955 Depth=2
	s_or_b64 exec, exec, s[34:35]
	s_andn2_b64 s[28:29], s[58:59], exec
	s_and_b64 vcc, s[30:31], exec
	s_or_b64 s[58:59], s[28:29], vcc
	v_mov_b32_e32 v10, v24
.LBB12_1825:                            ;   in Loop: Header=BB12_955 Depth=2
	s_or_b64 exec, exec, s[60:61]
	v_accvgpr_read_b32 v48, a62
	v_accvgpr_read_b32 v49, a9
	s_and_saveexec_b64 s[36:37], s[58:59]
	s_cbranch_execz .LBB12_1959
.LBB12_1826:                            ;   in Loop: Header=BB12_955 Depth=2
	v_lshlrev_b32_e32 v0, 10, v4
	v_lshlrev_b32_e32 v2, 1, v12
	v_add3_u32 v0, v11, v2, v0
	v_ashrrev_i32_e32 v2, 31, v57
	v_lshrrev_b32_e32 v2, 22, v2
	v_add_u32_e32 v5, v57, v2
	s_trap 2
	ds_read_b64 v[2:3], v0
	v_ashrrev_i32_e32 v13, 10, v5
	v_ashrrev_i32_e32 v9, 31, v0
	v_sub_u32_e32 v14, v13, v4
	s_mov_b64 s[28:29], 0
	s_waitcnt lgkmcnt(0)
	v_add_co_u32_e32 v4, vcc, v2, v0
	v_addc_co_u32_e32 v5, vcc, v3, v9, vcc
	v_cmp_lt_i32_e32 vcc, 0, v14
	v_mov_b32_e32 v36, 0
	v_mov_b32_e32 v28, 0
	;; [unrolled: 1-line block ×16, first 2 shown]
	s_and_saveexec_b64 s[30:31], vcc
	s_cbranch_execz .LBB12_1898
; %bb.1827:                             ;   in Loop: Header=BB12_955 Depth=2
	s_trap 2
	ds_read_b128 v[16:19], v0
	v_accvgpr_write_b32 a9, v49
	v_cmp_eq_u16_sdwa s[28:29], v10, v42 src0_sel:BYTE_0 src1_sel:DWORD
	s_mov_b64 s[60:61], 0
	s_mov_b64 s[58:59], 0
	s_waitcnt lgkmcnt(0)
	v_add_co_u32_e32 v6, vcc, v16, v0
	v_addc_co_u32_e32 v7, vcc, v17, v9, vcc
	v_add_co_u32_e32 v8, vcc, v18, v0
	v_addc_co_u32_e32 v9, vcc, v19, v9, vcc
                                        ; implicit-def: $sgpr34_sgpr35
                                        ; implicit-def: $vgpr49
                                        ; implicit-def: $vgpr38
                                        ; implicit-def: $vgpr35
                                        ; implicit-def: $vgpr32
                                        ; implicit-def: $vgpr27
                                        ; implicit-def: $vgpr24
                                        ; implicit-def: $vgpr23
                                        ; implicit-def: $vgpr22
                                        ; implicit-def: $vgpr0
                                        ; implicit-def: $vgpr15
                                        ; implicit-def: $vgpr16
                                        ; implicit-def: $vgpr17
                                        ; implicit-def: $vgpr18
                                        ; implicit-def: $vgpr19
                                        ; implicit-def: $vgpr20
                                        ; implicit-def: $vgpr21
	s_branch .LBB12_1829
.LBB12_1828:                            ;   in Loop: Header=BB12_1829 Depth=3
	s_or_b64 exec, exec, s[62:63]
	flat_store_short_d16_hi v[4:5], v54 glc slc
	flat_store_short_d16_hi v[4:5], v52 offset:128 glc slc
	flat_store_short_d16_hi v[4:5], v50 offset:256 glc slc
	flat_store_short_d16_hi v[4:5], v39 offset:384 glc slc
	flat_store_short_d16_hi v[4:5], v36 offset:512 glc slc
	flat_store_short_d16_hi v[4:5], v28 offset:640 glc slc
	flat_store_short_d16_hi v[4:5], v30 offset:768 glc slc
	flat_store_short_d16_hi v[4:5], v25 offset:896 glc slc
	v_accvgpr_read_b32 v28, a32
	v_add_co_u32_e32 v25, vcc, v6, v28
	v_accvgpr_read_b32 v31, a35
	v_addc_co_u32_e32 v26, vcc, v7, v31, vcc
	v_add_co_u32_e32 v28, vcc, v8, v28
	v_accvgpr_read_b32 v33, a39
	v_mov_b32_e32 v34, 0x400
	v_addc_co_u32_e32 v30, vcc, v9, v31, vcc
	v_accvgpr_read_b32 v31, a40
	v_cndmask_b32_e64 v33, v34, v33, s[60:61]
	v_cndmask_b32_e64 v7, v7, v26, s[60:61]
	v_accvgpr_read_b32 v26, a22
	v_cndmask_b32_e64 v31, 0, v31, s[60:61]
	v_add_co_u32_e32 v4, vcc, v4, v33
	v_cndmask_b32_e64 v6, v6, v25, s[60:61]
	v_cndmask_b32_e64 v25, 0, v26, s[60:61]
	v_addc_co_u32_e32 v5, vcc, v5, v31, vcc
	v_sub_u32_e32 v14, v14, v25
	v_cmp_gt_i32_e32 vcc, 1, v14
	s_or_b64 s[58:59], vcc, s[58:59]
	s_andn2_b64 vcc, s[34:35], exec
	s_and_b64 s[34:35], s[60:61], exec
	v_cndmask_b32_e64 v9, v9, v30, s[60:61]
	v_cndmask_b32_e64 v8, v8, v28, s[60:61]
	s_or_b64 s[34:35], vcc, s[34:35]
	s_andn2_b64 exec, exec, s[58:59]
	s_cbranch_execz .LBB12_1897
.LBB12_1829:                            ;   Parent Loop BB12_47 Depth=1
                                        ;     Parent Loop BB12_955 Depth=2
                                        ; =>    This Inner Loop Header: Depth=3
	flat_load_ushort v54, v[6:7] glc slc
	flat_load_ushort v52, v[6:7] offset:128 glc slc
	flat_load_ushort v50, v[6:7] offset:256 glc slc
	;; [unrolled: 1-line block ×7, first 2 shown]
	flat_load_ushort v55, v[8:9] glc slc
	flat_load_ushort v53, v[8:9] offset:128 glc slc
	flat_load_ushort v51, v[8:9] offset:256 glc slc
	;; [unrolled: 1-line block ×7, first 2 shown]
	s_and_saveexec_b64 s[62:63], s[60:61]
	s_cbranch_execz .LBB12_1863
; %bb.1830:                             ;   in Loop: Header=BB12_1829 Depth=3
	v_lshlrev_b32_e32 v28, 16, v49
	v_lshlrev_b32_e32 v49, 16, v0
	v_max_f32_e32 v49, v49, v49
	v_max_f32_e32 v28, v28, v28
	v_min_f32_e32 v40, v28, v49
	v_max_f32_e32 v28, v28, v49
	v_cndmask_b32_e64 v28, v28, v40, s[28:29]
	v_and_b32_e32 v49, 0x7f800000, v28
	v_cmp_ne_u32_e32 vcc, s92, v49
                                        ; implicit-def: $vgpr49
	s_and_saveexec_b64 s[60:61], vcc
	s_xor_b64 vcc, exec, s[60:61]
; %bb.1831:                             ;   in Loop: Header=BB12_1829 Depth=3
	v_bfe_u32 v49, v28, 16, 1
	v_add3_u32 v49, v28, v49, s93
                                        ; implicit-def: $vgpr28
; %bb.1832:                             ;   in Loop: Header=BB12_1829 Depth=3
	s_andn2_saveexec_b64 s[60:61], vcc
; %bb.1833:                             ;   in Loop: Header=BB12_1829 Depth=3
	v_or_b32_e32 v49, 0x10000, v28
	v_cmp_eq_u32_sdwa vcc, v28, v42 src0_sel:WORD_0 src1_sel:DWORD
	v_cndmask_b32_e32 v49, v49, v28, vcc
; %bb.1834:                             ;   in Loop: Header=BB12_1829 Depth=3
	s_or_b64 exec, exec, s[60:61]
	v_lshlrev_b32_e32 v28, 16, v38
	v_lshlrev_b32_e32 v38, 16, v15
	v_max_f32_e32 v38, v38, v38
	v_max_f32_e32 v28, v28, v28
	v_min_f32_e32 v40, v28, v38
	v_max_f32_e32 v28, v28, v38
	v_cndmask_b32_e64 v28, v28, v40, s[28:29]
	v_and_b32_e32 v38, 0x7f800000, v28
	v_cmp_ne_u32_e32 vcc, s92, v38
                                        ; implicit-def: $vgpr38
	s_and_saveexec_b64 s[60:61], vcc
	s_xor_b64 vcc, exec, s[60:61]
; %bb.1835:                             ;   in Loop: Header=BB12_1829 Depth=3
	v_bfe_u32 v38, v28, 16, 1
	v_add3_u32 v38, v28, v38, s93
                                        ; implicit-def: $vgpr28
; %bb.1836:                             ;   in Loop: Header=BB12_1829 Depth=3
	s_andn2_saveexec_b64 s[60:61], vcc
; %bb.1837:                             ;   in Loop: Header=BB12_1829 Depth=3
	v_or_b32_e32 v38, 0x10000, v28
	v_cmp_eq_u32_sdwa vcc, v28, v42 src0_sel:WORD_0 src1_sel:DWORD
	v_cndmask_b32_e32 v38, v38, v28, vcc
; %bb.1838:                             ;   in Loop: Header=BB12_1829 Depth=3
	s_or_b64 exec, exec, s[60:61]
	v_lshlrev_b32_e32 v28, 16, v35
	v_lshlrev_b32_e32 v35, 16, v16
	v_max_f32_e32 v35, v35, v35
	v_max_f32_e32 v28, v28, v28
	v_min_f32_e32 v40, v28, v35
	v_max_f32_e32 v28, v28, v35
	v_cndmask_b32_e64 v28, v28, v40, s[28:29]
	v_and_b32_e32 v35, 0x7f800000, v28
	v_cmp_ne_u32_e32 vcc, s92, v35
                                        ; implicit-def: $vgpr35
	s_and_saveexec_b64 s[60:61], vcc
	s_xor_b64 vcc, exec, s[60:61]
; %bb.1839:                             ;   in Loop: Header=BB12_1829 Depth=3
	v_bfe_u32 v35, v28, 16, 1
	v_add3_u32 v35, v28, v35, s93
                                        ; implicit-def: $vgpr28
; %bb.1840:                             ;   in Loop: Header=BB12_1829 Depth=3
	s_andn2_saveexec_b64 s[60:61], vcc
; %bb.1841:                             ;   in Loop: Header=BB12_1829 Depth=3
	v_or_b32_e32 v35, 0x10000, v28
	v_cmp_eq_u32_sdwa vcc, v28, v42 src0_sel:WORD_0 src1_sel:DWORD
	v_cndmask_b32_e32 v35, v35, v28, vcc
; %bb.1842:                             ;   in Loop: Header=BB12_1829 Depth=3
	s_or_b64 exec, exec, s[60:61]
	v_lshlrev_b32_e32 v28, 16, v32
	v_lshlrev_b32_e32 v32, 16, v17
	v_max_f32_e32 v32, v32, v32
	v_max_f32_e32 v28, v28, v28
	v_min_f32_e32 v40, v28, v32
	v_max_f32_e32 v28, v28, v32
	v_cndmask_b32_e64 v28, v28, v40, s[28:29]
	v_and_b32_e32 v32, 0x7f800000, v28
	v_cmp_ne_u32_e32 vcc, s92, v32
                                        ; implicit-def: $vgpr32
	s_and_saveexec_b64 s[60:61], vcc
	s_xor_b64 vcc, exec, s[60:61]
; %bb.1843:                             ;   in Loop: Header=BB12_1829 Depth=3
	v_bfe_u32 v32, v28, 16, 1
	v_add3_u32 v32, v28, v32, s93
                                        ; implicit-def: $vgpr28
; %bb.1844:                             ;   in Loop: Header=BB12_1829 Depth=3
	s_andn2_saveexec_b64 s[60:61], vcc
; %bb.1845:                             ;   in Loop: Header=BB12_1829 Depth=3
	v_or_b32_e32 v32, 0x10000, v28
	v_cmp_eq_u32_sdwa vcc, v28, v42 src0_sel:WORD_0 src1_sel:DWORD
	v_cndmask_b32_e32 v32, v32, v28, vcc
; %bb.1846:                             ;   in Loop: Header=BB12_1829 Depth=3
	s_or_b64 exec, exec, s[60:61]
	v_lshlrev_b32_e32 v27, 16, v27
	v_lshlrev_b32_e32 v28, 16, v18
	v_max_f32_e32 v28, v28, v28
	v_max_f32_e32 v27, v27, v27
	v_min_f32_e32 v40, v27, v28
	v_max_f32_e32 v27, v27, v28
	v_cndmask_b32_e64 v28, v27, v40, s[28:29]
	v_and_b32_e32 v27, 0x7f800000, v28
	v_cmp_ne_u32_e32 vcc, s92, v27
                                        ; implicit-def: $vgpr27
	s_and_saveexec_b64 s[60:61], vcc
	s_xor_b64 vcc, exec, s[60:61]
; %bb.1847:                             ;   in Loop: Header=BB12_1829 Depth=3
	v_bfe_u32 v27, v28, 16, 1
	v_add3_u32 v27, v28, v27, s93
                                        ; implicit-def: $vgpr28
; %bb.1848:                             ;   in Loop: Header=BB12_1829 Depth=3
	s_andn2_saveexec_b64 s[60:61], vcc
; %bb.1849:                             ;   in Loop: Header=BB12_1829 Depth=3
	v_or_b32_e32 v27, 0x10000, v28
	v_cmp_eq_u32_sdwa vcc, v28, v42 src0_sel:WORD_0 src1_sel:DWORD
	v_cndmask_b32_e32 v27, v27, v28, vcc
; %bb.1850:                             ;   in Loop: Header=BB12_1829 Depth=3
	s_or_b64 exec, exec, s[60:61]
	v_lshlrev_b32_e32 v24, 16, v24
	v_lshlrev_b32_e32 v28, 16, v19
	v_max_f32_e32 v28, v28, v28
	v_max_f32_e32 v24, v24, v24
	v_min_f32_e32 v40, v24, v28
	v_max_f32_e32 v24, v24, v28
	v_cndmask_b32_e64 v28, v24, v40, s[28:29]
	v_and_b32_e32 v24, 0x7f800000, v28
	v_cmp_ne_u32_e32 vcc, s92, v24
                                        ; implicit-def: $vgpr24
	s_and_saveexec_b64 s[60:61], vcc
	s_xor_b64 vcc, exec, s[60:61]
; %bb.1851:                             ;   in Loop: Header=BB12_1829 Depth=3
	v_bfe_u32 v24, v28, 16, 1
	v_add3_u32 v24, v28, v24, s93
                                        ; implicit-def: $vgpr28
; %bb.1852:                             ;   in Loop: Header=BB12_1829 Depth=3
	s_andn2_saveexec_b64 s[60:61], vcc
; %bb.1853:                             ;   in Loop: Header=BB12_1829 Depth=3
	v_or_b32_e32 v24, 0x10000, v28
	v_cmp_eq_u32_sdwa vcc, v28, v42 src0_sel:WORD_0 src1_sel:DWORD
	v_cndmask_b32_e32 v24, v24, v28, vcc
; %bb.1854:                             ;   in Loop: Header=BB12_1829 Depth=3
	s_or_b64 exec, exec, s[60:61]
	v_lshlrev_b32_e32 v23, 16, v23
	v_lshlrev_b32_e32 v28, 16, v20
	v_max_f32_e32 v28, v28, v28
	v_max_f32_e32 v23, v23, v23
	v_min_f32_e32 v40, v23, v28
	v_max_f32_e32 v23, v23, v28
	v_cndmask_b32_e64 v28, v23, v40, s[28:29]
	v_and_b32_e32 v23, 0x7f800000, v28
	v_cmp_ne_u32_e32 vcc, s92, v23
                                        ; implicit-def: $vgpr23
	s_and_saveexec_b64 s[60:61], vcc
	s_xor_b64 vcc, exec, s[60:61]
; %bb.1855:                             ;   in Loop: Header=BB12_1829 Depth=3
	v_bfe_u32 v23, v28, 16, 1
	v_add3_u32 v23, v28, v23, s93
                                        ; implicit-def: $vgpr28
; %bb.1856:                             ;   in Loop: Header=BB12_1829 Depth=3
	s_andn2_saveexec_b64 s[60:61], vcc
; %bb.1857:                             ;   in Loop: Header=BB12_1829 Depth=3
	v_or_b32_e32 v23, 0x10000, v28
	v_cmp_eq_u32_sdwa vcc, v28, v42 src0_sel:WORD_0 src1_sel:DWORD
	v_cndmask_b32_e32 v23, v23, v28, vcc
; %bb.1858:                             ;   in Loop: Header=BB12_1829 Depth=3
	s_or_b64 exec, exec, s[60:61]
	v_lshlrev_b32_e32 v22, 16, v22
	v_lshlrev_b32_e32 v28, 16, v21
	v_max_f32_e32 v28, v28, v28
	v_max_f32_e32 v22, v22, v22
	v_min_f32_e32 v40, v22, v28
	v_max_f32_e32 v22, v22, v28
	v_cndmask_b32_e64 v28, v22, v40, s[28:29]
	v_and_b32_e32 v22, 0x7f800000, v28
	v_cmp_ne_u32_e32 vcc, s92, v22
                                        ; implicit-def: $vgpr22
	s_and_saveexec_b64 s[60:61], vcc
	s_xor_b64 vcc, exec, s[60:61]
; %bb.1859:                             ;   in Loop: Header=BB12_1829 Depth=3
	v_bfe_u32 v22, v28, 16, 1
	v_add3_u32 v22, v28, v22, s93
                                        ; implicit-def: $vgpr28
; %bb.1860:                             ;   in Loop: Header=BB12_1829 Depth=3
	s_andn2_saveexec_b64 s[60:61], vcc
; %bb.1861:                             ;   in Loop: Header=BB12_1829 Depth=3
	v_or_b32_e32 v22, 0x10000, v28
	v_cmp_eq_u32_sdwa vcc, v28, v42 src0_sel:WORD_0 src1_sel:DWORD
	v_cndmask_b32_e32 v22, v22, v28, vcc
; %bb.1862:                             ;   in Loop: Header=BB12_1829 Depth=3
	s_or_b64 exec, exec, s[60:61]
	v_lshrrev_b32_e32 v49, 16, v49
	v_accvgpr_read_b32 v28, a39
	v_lshrrev_b32_e32 v23, 16, v23
	v_lshrrev_b32_e32 v24, 16, v24
	v_lshrrev_b32_e32 v27, 16, v27
	v_lshrrev_b32_e32 v32, 16, v32
	v_lshrrev_b32_e32 v35, 16, v35
	v_lshrrev_b32_e32 v38, 16, v38
	v_lshrrev_b32_e32 v22, 16, v22
	flat_store_short v[4:5], v49 glc slc
	flat_store_short v[4:5], v38 offset:128 glc slc
	flat_store_short v[4:5], v35 offset:256 glc slc
	;; [unrolled: 1-line block ×7, first 2 shown]
	v_add_co_u32_e32 v4, vcc, v4, v28
	v_accvgpr_read_b32 v28, a40
	v_addc_co_u32_e32 v5, vcc, v5, v28, vcc
.LBB12_1863:                            ;   in Loop: Header=BB12_1829 Depth=3
	s_or_b64 exec, exec, s[62:63]
	v_accvgpr_read_b32 v28, a39
	v_add_co_u32_e32 v6, vcc, v6, v28
	v_accvgpr_read_b32 v40, a40
	v_addc_co_u32_e32 v7, vcc, v7, v40, vcc
	v_add_co_u32_e32 v8, vcc, v8, v28
	v_accvgpr_read_b32 v28, a22
	v_sub_u32_e32 v14, v14, v28
	v_addc_co_u32_e32 v9, vcc, v9, v40, vcc
	v_cmp_lt_i32_e64 s[60:61], 0, v14
	s_and_saveexec_b64 s[62:63], s[60:61]
	s_cbranch_execz .LBB12_1865
; %bb.1864:                             ;   in Loop: Header=BB12_1829 Depth=3
	flat_load_ushort v49, v[6:7] glc slc
	flat_load_ushort v38, v[6:7] offset:128 glc slc
	flat_load_ushort v35, v[6:7] offset:256 glc slc
	;; [unrolled: 1-line block ×7, first 2 shown]
	flat_load_ushort v0, v[8:9] glc slc
	flat_load_ushort v15, v[8:9] offset:128 glc slc
	flat_load_ushort v16, v[8:9] offset:256 glc slc
	;; [unrolled: 1-line block ×7, first 2 shown]
	v_add_co_u32_e32 v6, vcc, 0x400, v6
	v_addc_co_u32_e32 v7, vcc, 0, v7, vcc
	v_add_co_u32_e32 v8, vcc, 0x400, v8
	v_addc_co_u32_e32 v9, vcc, 0, v9, vcc
.LBB12_1865:                            ;   in Loop: Header=BB12_1829 Depth=3
	s_or_b64 exec, exec, s[62:63]
	s_waitcnt vmcnt(0) lgkmcnt(0)
	v_lshlrev_b32_e32 v28, 16, v54
	v_lshlrev_b32_e32 v54, 16, v55
	v_max_f32_e32 v54, v54, v54
	v_max_f32_e32 v28, v28, v28
	v_min_f32_e32 v55, v28, v54
	v_max_f32_e32 v28, v28, v54
	v_cndmask_b32_e64 v28, v28, v55, s[28:29]
	v_and_b32_e32 v54, 0x7f800000, v28
	v_cmp_ne_u32_e32 vcc, s92, v54
                                        ; implicit-def: $vgpr54
	s_and_saveexec_b64 s[62:63], vcc
	s_xor_b64 vcc, exec, s[62:63]
; %bb.1866:                             ;   in Loop: Header=BB12_1829 Depth=3
	v_bfe_u32 v54, v28, 16, 1
	v_add3_u32 v54, v28, v54, s93
                                        ; implicit-def: $vgpr28
; %bb.1867:                             ;   in Loop: Header=BB12_1829 Depth=3
	s_andn2_saveexec_b64 s[62:63], vcc
; %bb.1868:                             ;   in Loop: Header=BB12_1829 Depth=3
	v_or_b32_e32 v54, 0x10000, v28
	v_cmp_eq_u32_sdwa vcc, v28, v42 src0_sel:WORD_0 src1_sel:DWORD
	v_cndmask_b32_e32 v54, v54, v28, vcc
; %bb.1869:                             ;   in Loop: Header=BB12_1829 Depth=3
	s_or_b64 exec, exec, s[62:63]
	v_lshlrev_b32_e32 v28, 16, v52
	v_lshlrev_b32_e32 v52, 16, v53
	v_max_f32_e32 v52, v52, v52
	v_max_f32_e32 v28, v28, v28
	v_min_f32_e32 v53, v28, v52
	v_max_f32_e32 v28, v28, v52
	v_cndmask_b32_e64 v28, v28, v53, s[28:29]
	v_and_b32_e32 v52, 0x7f800000, v28
	v_cmp_ne_u32_e32 vcc, s92, v52
                                        ; implicit-def: $vgpr52
	s_and_saveexec_b64 s[62:63], vcc
	s_xor_b64 vcc, exec, s[62:63]
; %bb.1870:                             ;   in Loop: Header=BB12_1829 Depth=3
	v_bfe_u32 v52, v28, 16, 1
	v_add3_u32 v52, v28, v52, s93
                                        ; implicit-def: $vgpr28
; %bb.1871:                             ;   in Loop: Header=BB12_1829 Depth=3
	s_andn2_saveexec_b64 s[62:63], vcc
; %bb.1872:                             ;   in Loop: Header=BB12_1829 Depth=3
	v_or_b32_e32 v52, 0x10000, v28
	v_cmp_eq_u32_sdwa vcc, v28, v42 src0_sel:WORD_0 src1_sel:DWORD
	v_cndmask_b32_e32 v52, v52, v28, vcc
; %bb.1873:                             ;   in Loop: Header=BB12_1829 Depth=3
	s_or_b64 exec, exec, s[62:63]
	v_lshlrev_b32_e32 v28, 16, v50
	v_lshlrev_b32_e32 v50, 16, v51
	v_max_f32_e32 v50, v50, v50
	v_max_f32_e32 v28, v28, v28
	v_min_f32_e32 v51, v28, v50
	v_max_f32_e32 v28, v28, v50
	v_cndmask_b32_e64 v28, v28, v51, s[28:29]
	v_and_b32_e32 v50, 0x7f800000, v28
	v_cmp_ne_u32_e32 vcc, s92, v50
                                        ; implicit-def: $vgpr50
	s_and_saveexec_b64 s[62:63], vcc
	s_xor_b64 vcc, exec, s[62:63]
; %bb.1874:                             ;   in Loop: Header=BB12_1829 Depth=3
	v_bfe_u32 v50, v28, 16, 1
	v_add3_u32 v50, v28, v50, s93
                                        ; implicit-def: $vgpr28
; %bb.1875:                             ;   in Loop: Header=BB12_1829 Depth=3
	s_andn2_saveexec_b64 s[62:63], vcc
; %bb.1876:                             ;   in Loop: Header=BB12_1829 Depth=3
	v_or_b32_e32 v50, 0x10000, v28
	v_cmp_eq_u32_sdwa vcc, v28, v42 src0_sel:WORD_0 src1_sel:DWORD
	v_cndmask_b32_e32 v50, v50, v28, vcc
; %bb.1877:                             ;   in Loop: Header=BB12_1829 Depth=3
	s_or_b64 exec, exec, s[62:63]
	v_lshlrev_b32_e32 v28, 16, v39
	v_lshlrev_b32_e32 v39, 16, v48
	v_max_f32_e32 v39, v39, v39
	v_max_f32_e32 v28, v28, v28
	v_min_f32_e32 v48, v28, v39
	v_max_f32_e32 v28, v28, v39
	v_cndmask_b32_e64 v28, v28, v48, s[28:29]
	v_and_b32_e32 v39, 0x7f800000, v28
	v_cmp_ne_u32_e32 vcc, s92, v39
                                        ; implicit-def: $vgpr39
	s_and_saveexec_b64 s[62:63], vcc
	s_xor_b64 vcc, exec, s[62:63]
; %bb.1878:                             ;   in Loop: Header=BB12_1829 Depth=3
	v_bfe_u32 v39, v28, 16, 1
	v_add3_u32 v39, v28, v39, s93
                                        ; implicit-def: $vgpr28
; %bb.1879:                             ;   in Loop: Header=BB12_1829 Depth=3
	s_andn2_saveexec_b64 s[62:63], vcc
; %bb.1880:                             ;   in Loop: Header=BB12_1829 Depth=3
	v_or_b32_e32 v39, 0x10000, v28
	v_cmp_eq_u32_sdwa vcc, v28, v42 src0_sel:WORD_0 src1_sel:DWORD
	v_cndmask_b32_e32 v39, v39, v28, vcc
; %bb.1881:                             ;   in Loop: Header=BB12_1829 Depth=3
	s_or_b64 exec, exec, s[62:63]
	v_lshlrev_b32_e32 v28, 16, v36
	v_lshlrev_b32_e32 v36, 16, v37
	v_max_f32_e32 v36, v36, v36
	v_max_f32_e32 v28, v28, v28
	v_min_f32_e32 v37, v28, v36
	v_max_f32_e32 v28, v28, v36
	v_cndmask_b32_e64 v28, v28, v37, s[28:29]
	v_and_b32_e32 v36, 0x7f800000, v28
	v_cmp_ne_u32_e32 vcc, s92, v36
                                        ; implicit-def: $vgpr36
	s_and_saveexec_b64 s[62:63], vcc
	s_xor_b64 vcc, exec, s[62:63]
; %bb.1882:                             ;   in Loop: Header=BB12_1829 Depth=3
	v_bfe_u32 v36, v28, 16, 1
	v_add3_u32 v36, v28, v36, s93
                                        ; implicit-def: $vgpr28
; %bb.1883:                             ;   in Loop: Header=BB12_1829 Depth=3
	s_andn2_saveexec_b64 s[62:63], vcc
; %bb.1884:                             ;   in Loop: Header=BB12_1829 Depth=3
	v_or_b32_e32 v36, 0x10000, v28
	v_cmp_eq_u32_sdwa vcc, v28, v42 src0_sel:WORD_0 src1_sel:DWORD
	v_cndmask_b32_e32 v36, v36, v28, vcc
; %bb.1885:                             ;   in Loop: Header=BB12_1829 Depth=3
	s_or_b64 exec, exec, s[62:63]
	v_lshlrev_b32_e32 v28, 16, v33
	v_lshlrev_b32_e32 v33, 16, v34
	v_max_f32_e32 v33, v33, v33
	v_max_f32_e32 v28, v28, v28
	v_min_f32_e32 v34, v28, v33
	v_max_f32_e32 v28, v28, v33
	v_cndmask_b32_e64 v33, v28, v34, s[28:29]
	v_and_b32_e32 v28, 0x7f800000, v33
	v_cmp_ne_u32_e32 vcc, s92, v28
                                        ; implicit-def: $vgpr28
	s_and_saveexec_b64 s[62:63], vcc
	s_xor_b64 vcc, exec, s[62:63]
; %bb.1886:                             ;   in Loop: Header=BB12_1829 Depth=3
	v_bfe_u32 v28, v33, 16, 1
	v_add3_u32 v28, v33, v28, s93
                                        ; implicit-def: $vgpr33
; %bb.1887:                             ;   in Loop: Header=BB12_1829 Depth=3
	s_andn2_saveexec_b64 s[62:63], vcc
; %bb.1888:                             ;   in Loop: Header=BB12_1829 Depth=3
	v_or_b32_e32 v28, 0x10000, v33
	v_cmp_eq_u32_sdwa vcc, v33, v42 src0_sel:WORD_0 src1_sel:DWORD
	v_cndmask_b32_e32 v28, v28, v33, vcc
; %bb.1889:                             ;   in Loop: Header=BB12_1829 Depth=3
	s_or_b64 exec, exec, s[62:63]
	v_lshlrev_b32_e32 v30, 16, v30
	v_lshlrev_b32_e32 v31, 16, v31
	v_max_f32_e32 v31, v31, v31
	v_max_f32_e32 v30, v30, v30
	v_min_f32_e32 v33, v30, v31
	v_max_f32_e32 v30, v30, v31
	v_cndmask_b32_e64 v31, v30, v33, s[28:29]
	v_and_b32_e32 v30, 0x7f800000, v31
	v_cmp_ne_u32_e32 vcc, s92, v30
                                        ; implicit-def: $vgpr30
	s_and_saveexec_b64 s[62:63], vcc
	s_xor_b64 vcc, exec, s[62:63]
; %bb.1890:                             ;   in Loop: Header=BB12_1829 Depth=3
	v_bfe_u32 v30, v31, 16, 1
	v_add3_u32 v30, v31, v30, s93
                                        ; implicit-def: $vgpr31
; %bb.1891:                             ;   in Loop: Header=BB12_1829 Depth=3
	s_andn2_saveexec_b64 s[62:63], vcc
; %bb.1892:                             ;   in Loop: Header=BB12_1829 Depth=3
	v_or_b32_e32 v30, 0x10000, v31
	v_cmp_eq_u32_sdwa vcc, v31, v42 src0_sel:WORD_0 src1_sel:DWORD
	v_cndmask_b32_e32 v30, v30, v31, vcc
; %bb.1893:                             ;   in Loop: Header=BB12_1829 Depth=3
	s_or_b64 exec, exec, s[62:63]
	v_lshlrev_b32_e32 v25, 16, v25
	v_lshlrev_b32_e32 v26, 16, v26
	v_max_f32_e32 v26, v26, v26
	v_max_f32_e32 v25, v25, v25
	v_min_f32_e32 v31, v25, v26
	v_max_f32_e32 v25, v25, v26
	v_cndmask_b32_e64 v26, v25, v31, s[28:29]
	v_and_b32_e32 v25, 0x7f800000, v26
	v_cmp_ne_u32_e32 vcc, s92, v25
                                        ; implicit-def: $vgpr25
	s_and_saveexec_b64 s[62:63], vcc
	s_xor_b64 vcc, exec, s[62:63]
; %bb.1894:                             ;   in Loop: Header=BB12_1829 Depth=3
	v_bfe_u32 v25, v26, 16, 1
	v_add3_u32 v25, v26, v25, s93
                                        ; implicit-def: $vgpr26
; %bb.1895:                             ;   in Loop: Header=BB12_1829 Depth=3
	s_andn2_saveexec_b64 s[62:63], vcc
	s_cbranch_execz .LBB12_1828
; %bb.1896:                             ;   in Loop: Header=BB12_1829 Depth=3
	v_or_b32_e32 v25, 0x10000, v26
	v_cmp_eq_u32_sdwa vcc, v26, v42 src0_sel:WORD_0 src1_sel:DWORD
	v_cndmask_b32_e32 v25, v25, v26, vcc
	s_branch .LBB12_1828
.LBB12_1897:                            ;   in Loop: Header=BB12_955 Depth=2
	s_or_b64 exec, exec, s[58:59]
	v_lshlrev_b32_e32 v36, 16, v49
	v_lshlrev_b32_e32 v37, 16, v0
	;; [unrolled: 1-line block ×16, first 2 shown]
	s_and_b64 s[28:29], s[34:35], exec
	v_accvgpr_read_b32 v48, a62
	v_accvgpr_read_b32 v49, a9
.LBB12_1898:                            ;   in Loop: Header=BB12_955 Depth=2
	s_or_b64 exec, exec, s[30:31]
	s_and_saveexec_b64 s[30:31], s[28:29]
	s_cbranch_execz .LBB12_1932
; %bb.1899:                             ;   in Loop: Header=BB12_955 Depth=2
	v_max_f32_e32 v0, v37, v37
	v_max_f32_e32 v9, v36, v36
	v_min_f32_e32 v19, v9, v0
	v_max_f32_e32 v0, v9, v0
	v_cmp_eq_u16_sdwa vcc, v10, v42 src0_sel:BYTE_0 src1_sel:DWORD
	v_cndmask_b32_e32 v9, v0, v19, vcc
	v_and_b32_e32 v0, 0x7f800000, v9
	v_cmp_ne_u32_e64 s[28:29], s92, v0
                                        ; implicit-def: $vgpr0
	s_and_saveexec_b64 s[34:35], s[28:29]
	s_xor_b64 s[28:29], exec, s[34:35]
; %bb.1900:                             ;   in Loop: Header=BB12_955 Depth=2
	v_bfe_u32 v0, v9, 16, 1
	v_add3_u32 v0, v9, v0, s93
                                        ; implicit-def: $vgpr9
; %bb.1901:                             ;   in Loop: Header=BB12_955 Depth=2
	s_andn2_saveexec_b64 s[34:35], s[28:29]
; %bb.1902:                             ;   in Loop: Header=BB12_955 Depth=2
	v_or_b32_e32 v0, 0x10000, v9
	v_cmp_eq_u32_sdwa s[28:29], v9, v42 src0_sel:WORD_0 src1_sel:DWORD
	v_cndmask_b32_e64 v0, v0, v9, s[28:29]
; %bb.1903:                             ;   in Loop: Header=BB12_955 Depth=2
	s_or_b64 exec, exec, s[34:35]
	v_max_f32_e32 v9, v34, v34
	v_max_f32_e32 v19, v28, v28
	v_min_f32_e32 v20, v19, v9
	v_max_f32_e32 v9, v19, v9
	v_cndmask_b32_e32 v19, v9, v20, vcc
	v_and_b32_e32 v9, 0x7f800000, v19
	v_cmp_ne_u32_e64 s[28:29], s92, v9
                                        ; implicit-def: $vgpr9
	s_and_saveexec_b64 s[34:35], s[28:29]
	s_xor_b64 s[28:29], exec, s[34:35]
; %bb.1904:                             ;   in Loop: Header=BB12_955 Depth=2
	v_bfe_u32 v9, v19, 16, 1
	v_add3_u32 v9, v19, v9, s93
                                        ; implicit-def: $vgpr19
; %bb.1905:                             ;   in Loop: Header=BB12_955 Depth=2
	s_andn2_saveexec_b64 s[34:35], s[28:29]
; %bb.1906:                             ;   in Loop: Header=BB12_955 Depth=2
	v_or_b32_e32 v9, 0x10000, v19
	v_cmp_eq_u32_sdwa s[28:29], v19, v42 src0_sel:WORD_0 src1_sel:DWORD
	v_cndmask_b32_e64 v9, v9, v19, s[28:29]
; %bb.1907:                             ;   in Loop: Header=BB12_955 Depth=2
	s_or_b64 exec, exec, s[34:35]
	v_max_f32_e32 v19, v33, v33
	v_max_f32_e32 v20, v31, v31
	v_min_f32_e32 v21, v20, v19
	v_max_f32_e32 v19, v20, v19
	v_cndmask_b32_e32 v20, v19, v21, vcc
	v_and_b32_e32 v19, 0x7f800000, v20
	v_cmp_ne_u32_e64 s[28:29], s92, v19
                                        ; implicit-def: $vgpr19
	s_and_saveexec_b64 s[34:35], s[28:29]
	s_xor_b64 s[28:29], exec, s[34:35]
; %bb.1908:                             ;   in Loop: Header=BB12_955 Depth=2
	v_bfe_u32 v19, v20, 16, 1
	v_add3_u32 v19, v20, v19, s93
                                        ; implicit-def: $vgpr20
; %bb.1909:                             ;   in Loop: Header=BB12_955 Depth=2
	s_andn2_saveexec_b64 s[34:35], s[28:29]
; %bb.1910:                             ;   in Loop: Header=BB12_955 Depth=2
	v_or_b32_e32 v19, 0x10000, v20
	v_cmp_eq_u32_sdwa s[28:29], v20, v42 src0_sel:WORD_0 src1_sel:DWORD
	v_cndmask_b32_e64 v19, v19, v20, s[28:29]
; %bb.1911:                             ;   in Loop: Header=BB12_955 Depth=2
	s_or_b64 exec, exec, s[34:35]
	v_max_f32_e32 v20, v30, v30
	v_max_f32_e32 v21, v26, v26
	v_min_f32_e32 v22, v21, v20
	v_max_f32_e32 v20, v21, v20
	v_cndmask_b32_e32 v21, v20, v22, vcc
	v_and_b32_e32 v20, 0x7f800000, v21
	v_cmp_ne_u32_e64 s[28:29], s92, v20
                                        ; implicit-def: $vgpr20
	s_and_saveexec_b64 s[34:35], s[28:29]
	s_xor_b64 s[28:29], exec, s[34:35]
; %bb.1912:                             ;   in Loop: Header=BB12_955 Depth=2
	v_bfe_u32 v20, v21, 16, 1
	v_add3_u32 v20, v21, v20, s93
                                        ; implicit-def: $vgpr21
; %bb.1913:                             ;   in Loop: Header=BB12_955 Depth=2
	s_andn2_saveexec_b64 s[34:35], s[28:29]
; %bb.1914:                             ;   in Loop: Header=BB12_955 Depth=2
	v_or_b32_e32 v20, 0x10000, v21
	v_cmp_eq_u32_sdwa s[28:29], v21, v42 src0_sel:WORD_0 src1_sel:DWORD
	v_cndmask_b32_e64 v20, v20, v21, s[28:29]
; %bb.1915:                             ;   in Loop: Header=BB12_955 Depth=2
	s_or_b64 exec, exec, s[34:35]
	v_max_f32_e32 v18, v18, v18
	v_max_f32_e32 v21, v25, v25
	v_min_f32_e32 v22, v21, v18
	v_max_f32_e32 v18, v21, v18
	v_cndmask_b32_e32 v21, v18, v22, vcc
	v_and_b32_e32 v18, 0x7f800000, v21
	v_cmp_ne_u32_e64 s[28:29], s92, v18
                                        ; implicit-def: $vgpr18
	s_and_saveexec_b64 s[34:35], s[28:29]
	s_xor_b64 s[28:29], exec, s[34:35]
; %bb.1916:                             ;   in Loop: Header=BB12_955 Depth=2
	v_bfe_u32 v18, v21, 16, 1
	v_add3_u32 v18, v21, v18, s93
                                        ; implicit-def: $vgpr21
; %bb.1917:                             ;   in Loop: Header=BB12_955 Depth=2
	s_andn2_saveexec_b64 s[34:35], s[28:29]
; %bb.1918:                             ;   in Loop: Header=BB12_955 Depth=2
	v_or_b32_e32 v18, 0x10000, v21
	v_cmp_eq_u32_sdwa s[28:29], v21, v42 src0_sel:WORD_0 src1_sel:DWORD
	v_cndmask_b32_e64 v18, v18, v21, s[28:29]
; %bb.1919:                             ;   in Loop: Header=BB12_955 Depth=2
	s_or_b64 exec, exec, s[34:35]
	v_max_f32_e32 v17, v17, v17
	v_max_f32_e32 v16, v16, v16
	v_min_f32_e32 v21, v16, v17
	v_max_f32_e32 v16, v16, v17
	v_cndmask_b32_e32 v17, v16, v21, vcc
	v_and_b32_e32 v16, 0x7f800000, v17
	v_cmp_ne_u32_e64 s[28:29], s92, v16
                                        ; implicit-def: $vgpr16
	s_and_saveexec_b64 s[34:35], s[28:29]
	s_xor_b64 s[28:29], exec, s[34:35]
; %bb.1920:                             ;   in Loop: Header=BB12_955 Depth=2
	v_bfe_u32 v16, v17, 16, 1
	v_add3_u32 v16, v17, v16, s93
                                        ; implicit-def: $vgpr17
; %bb.1921:                             ;   in Loop: Header=BB12_955 Depth=2
	s_andn2_saveexec_b64 s[34:35], s[28:29]
; %bb.1922:                             ;   in Loop: Header=BB12_955 Depth=2
	v_or_b32_e32 v16, 0x10000, v17
	v_cmp_eq_u32_sdwa s[28:29], v17, v42 src0_sel:WORD_0 src1_sel:DWORD
	v_cndmask_b32_e64 v16, v16, v17, s[28:29]
; %bb.1923:                             ;   in Loop: Header=BB12_955 Depth=2
	s_or_b64 exec, exec, s[34:35]
	v_max_f32_e32 v15, v15, v15
	v_max_f32_e32 v8, v8, v8
	v_min_f32_e32 v17, v8, v15
	v_max_f32_e32 v8, v8, v15
	v_cndmask_b32_e32 v15, v8, v17, vcc
	v_and_b32_e32 v8, 0x7f800000, v15
	v_cmp_ne_u32_e64 s[28:29], s92, v8
                                        ; implicit-def: $vgpr8
	s_and_saveexec_b64 s[34:35], s[28:29]
	s_xor_b64 s[28:29], exec, s[34:35]
; %bb.1924:                             ;   in Loop: Header=BB12_955 Depth=2
	v_bfe_u32 v8, v15, 16, 1
	v_add3_u32 v8, v15, v8, s93
                                        ; implicit-def: $vgpr15
; %bb.1925:                             ;   in Loop: Header=BB12_955 Depth=2
	s_andn2_saveexec_b64 s[34:35], s[28:29]
; %bb.1926:                             ;   in Loop: Header=BB12_955 Depth=2
	v_or_b32_e32 v8, 0x10000, v15
	v_cmp_eq_u32_sdwa s[28:29], v15, v42 src0_sel:WORD_0 src1_sel:DWORD
	v_cndmask_b32_e64 v8, v8, v15, s[28:29]
; %bb.1927:                             ;   in Loop: Header=BB12_955 Depth=2
	s_or_b64 exec, exec, s[34:35]
	v_max_f32_e32 v7, v7, v7
	v_max_f32_e32 v6, v6, v6
	v_min_f32_e32 v15, v6, v7
	v_max_f32_e32 v6, v6, v7
	v_cndmask_b32_e32 v7, v6, v15, vcc
	v_and_b32_e32 v6, 0x7f800000, v7
	v_cmp_ne_u32_e32 vcc, s92, v6
                                        ; implicit-def: $vgpr6
	s_and_saveexec_b64 s[28:29], vcc
	s_xor_b64 s[28:29], exec, s[28:29]
; %bb.1928:                             ;   in Loop: Header=BB12_955 Depth=2
	v_bfe_u32 v6, v7, 16, 1
	v_add3_u32 v6, v7, v6, s93
                                        ; implicit-def: $vgpr7
; %bb.1929:                             ;   in Loop: Header=BB12_955 Depth=2
	s_andn2_saveexec_b64 s[28:29], s[28:29]
; %bb.1930:                             ;   in Loop: Header=BB12_955 Depth=2
	v_or_b32_e32 v6, 0x10000, v7
	v_cmp_eq_u32_sdwa vcc, v7, v42 src0_sel:WORD_0 src1_sel:DWORD
	v_cndmask_b32_e32 v6, v6, v7, vcc
; %bb.1931:                             ;   in Loop: Header=BB12_955 Depth=2
	s_or_b64 exec, exec, s[28:29]
	flat_store_short_d16_hi v[4:5], v0 glc slc
	flat_store_short_d16_hi v[4:5], v9 offset:128 glc slc
	flat_store_short_d16_hi v[4:5], v19 offset:256 glc slc
	;; [unrolled: 1-line block ×7, first 2 shown]
.LBB12_1932:                            ;   in Loop: Header=BB12_955 Depth=2
	s_or_b64 exec, exec, s[30:31]
	v_lshlrev_b32_e32 v0, 10, v13
	v_cmp_ne_u32_e32 vcc, v57, v0
	s_and_saveexec_b64 s[58:59], vcc
	s_cbranch_execz .LBB12_1958
; %bb.1933:                             ;   in Loop: Header=BB12_955 Depth=2
	v_lshlrev_b32_e32 v4, 6, v14
	v_sub_u32_e32 v4, v12, v4
	v_ashrrev_i32_e32 v5, 31, v4
	v_lshrrev_b32_e32 v5, 26, v5
	v_add_u32_e32 v5, v4, v5
	v_and_b32_e32 v6, 0x7fffffc0, v5
	v_sub_u32_e32 v4, v4, v6
	v_lshlrev_b32_e32 v5, 1, v5
	v_and_b32_e32 v5, 0xffffff80, v5
	v_lshlrev_b32_e32 v4, 1, v4
	v_add3_u32 v0, v5, v4, v0
	v_add_u32_e32 v6, v0, v11
	v_ashrrev_i32_e32 v7, 31, v6
	v_add_co_u32_e32 v4, vcc, v6, v2
	v_sub_u32_e32 v8, v57, v0
	v_addc_co_u32_e32 v5, vcc, v7, v3, vcc
	v_cmp_lt_i32_e32 vcc, 1, v8
	s_mov_b64 s[28:29], 0
	s_and_saveexec_b64 s[60:61], vcc
	s_cbranch_execz .LBB12_1952
; %bb.1934:                             ;   in Loop: Header=BB12_955 Depth=2
	s_trap 2
	ds_read_b128 v[12:15], v0
	v_cmp_eq_u16_sdwa s[28:29], v10, v42 src0_sel:BYTE_0 src1_sel:DWORD
	s_mov_b64 s[66:67], 0
	s_mov_b64 s[62:63], 0
                                        ; implicit-def: $sgpr64_sgpr65
	s_waitcnt lgkmcnt(0)
	v_add_co_u32_e32 v0, vcc, v12, v6
	v_addc_co_u32_e32 v9, vcc, v13, v7, vcc
	v_add_co_u32_e32 v2, vcc, v14, v6
	v_addc_co_u32_e32 v3, vcc, v15, v7, vcc
	s_branch .LBB12_1936
.LBB12_1935:                            ;   in Loop: Header=BB12_1936 Depth=3
	s_or_b64 exec, exec, s[30:31]
	v_lshrrev_b32_e32 v7, 16, v8
	v_accvgpr_read_b32 v12, a50
	buffer_store_short v7, off, s[0:3], s33 offset:192
	flat_store_short v[4:5], v7 glc slc
	v_accvgpr_read_b32 v13, a51
	v_add_co_u32_e32 v7, vcc, v0, v12
	v_addc_co_u32_e32 v8, vcc, v9, v13, vcc
	v_add_co_u32_e32 v11, vcc, v2, v12
	v_accvgpr_read_b32 v14, a52
	v_mov_b32_e32 v15, 0x80
	v_addc_co_u32_e32 v12, vcc, v3, v13, vcc
	v_accvgpr_read_b32 v13, a53
	v_cndmask_b32_e64 v14, v15, v14, s[66:67]
	v_cndmask_b32_e64 v0, v0, v7, s[66:67]
	v_accvgpr_read_b32 v7, a49
	v_cndmask_b32_e64 v13, 0, v13, s[66:67]
	v_add_co_u32_e32 v4, vcc, v4, v14
	v_cndmask_b32_e64 v7, 0, v7, s[66:67]
	v_addc_co_u32_e32 v5, vcc, v5, v13, vcc
	v_cndmask_b32_e64 v9, v9, v8, s[66:67]
	v_sub_u32_e32 v8, v6, v7
	v_cmp_gt_i32_e32 vcc, 2, v8
	s_or_b64 s[62:63], vcc, s[62:63]
	s_andn2_b64 vcc, s[64:65], exec
	s_and_b64 s[30:31], s[66:67], exec
	v_cndmask_b32_e64 v3, v3, v12, s[66:67]
	v_cndmask_b32_e64 v2, v2, v11, s[66:67]
	s_or_b64 s[64:65], vcc, s[30:31]
	s_andn2_b64 exec, exec, s[62:63]
	s_cbranch_execz .LBB12_1951
.LBB12_1936:                            ;   Parent Loop BB12_47 Depth=1
                                        ;     Parent Loop BB12_955 Depth=2
                                        ; =>    This Loop Header: Depth=3
                                        ;         Child Loop BB12_1937 Depth 4
                                        ;         Child Loop BB12_1946 Depth 4
	v_lshrrev_b32_e64 v6, 6, s33
	v_add_u32_e32 v6, 0xc0, v6
	s_mov_b64 s[68:69], -1
	s_mov_b64 s[70:71], 0
.LBB12_1937:                            ;   Parent Loop BB12_47 Depth=1
                                        ;     Parent Loop BB12_955 Depth=2
                                        ;       Parent Loop BB12_1936 Depth=3
                                        ; =>      This Inner Loop Header: Depth=4
	s_cmp_eq_u32 s70, 1
	s_cselect_b64 s[30:31], -1, 0
	v_cndmask_b32_e64 v13, v9, v3, s[30:31]
	v_cndmask_b32_e64 v12, v0, v2, s[30:31]
	flat_load_ushort v7, v[12:13] glc slc
	v_add_co_u32_e32 v11, vcc, 0x80, v12
	s_cmp_eq_u32 s70, 0
	v_addc_co_u32_e32 v12, vcc, 0, v13, vcc
	s_cselect_b64 vcc, -1, 0
	s_and_b64 s[34:35], exec, s[68:69]
	s_mov_b64 s[70:71], 1
	v_cndmask_b32_e64 v2, v2, v11, s[30:31]
	s_mov_b64 s[68:69], 0
	v_cndmask_b32_e64 v3, v3, v12, s[30:31]
	v_cndmask_b32_e32 v9, v9, v12, vcc
	v_cndmask_b32_e32 v0, v0, v11, vcc
	s_mov_b64 vcc, s[34:35]
	s_waitcnt vmcnt(0) lgkmcnt(0)
	buffer_store_short v7, v6, s[0:3], 0 offen
	v_lshrrev_b32_e64 v6, 6, s33
	v_add_u32_e32 v6, 0xe0, v6
	s_cbranch_vccnz .LBB12_1937
; %bb.1938:                             ;   in Loop: Header=BB12_1936 Depth=3
	s_and_saveexec_b64 s[30:31], s[66:67]
	s_cbranch_execz .LBB12_1944
; %bb.1939:                             ;   in Loop: Header=BB12_1936 Depth=3
	buffer_load_ushort v6, off, s[0:3], s33 offset:184
	buffer_load_ushort v7, off, s[0:3], s33 offset:186
	s_waitcnt vmcnt(1)
	v_lshlrev_b32_e32 v6, 16, v6
	s_waitcnt vmcnt(0)
	v_lshlrev_b32_e32 v7, 16, v7
	v_max_f32_e32 v7, v7, v7
	v_max_f32_e32 v6, v6, v6
	v_min_f32_e32 v11, v6, v7
	v_max_f32_e32 v6, v6, v7
	v_cndmask_b32_e64 v6, v6, v11, s[28:29]
	v_and_b32_e32 v7, 0x7f800000, v6
	v_cmp_ne_u32_e32 vcc, s92, v7
                                        ; implicit-def: $vgpr7
	s_and_saveexec_b64 s[34:35], vcc
	s_xor_b64 vcc, exec, s[34:35]
; %bb.1940:                             ;   in Loop: Header=BB12_1936 Depth=3
	v_bfe_u32 v7, v6, 16, 1
	v_add3_u32 v7, v6, v7, s93
                                        ; implicit-def: $vgpr6
; %bb.1941:                             ;   in Loop: Header=BB12_1936 Depth=3
	s_andn2_saveexec_b64 s[34:35], vcc
; %bb.1942:                             ;   in Loop: Header=BB12_1936 Depth=3
	v_or_b32_e32 v7, 0x10000, v6
	v_cmp_eq_u32_sdwa vcc, v6, v42 src0_sel:WORD_0 src1_sel:DWORD
	v_cndmask_b32_e32 v7, v7, v6, vcc
; %bb.1943:                             ;   in Loop: Header=BB12_1936 Depth=3
	s_or_b64 exec, exec, s[34:35]
	v_lshrrev_b32_e32 v6, 16, v7
	buffer_store_short v6, off, s[0:3], s33 offset:184
	flat_store_short v[4:5], v6 glc slc
	v_accvgpr_read_b32 v6, a52
	v_add_co_u32_e32 v4, vcc, v4, v6
	v_accvgpr_read_b32 v6, a53
	v_addc_co_u32_e32 v5, vcc, v5, v6, vcc
.LBB12_1944:                            ;   in Loop: Header=BB12_1936 Depth=3
	s_or_b64 exec, exec, s[30:31]
	v_accvgpr_read_b32 v6, a50
	v_accvgpr_read_b32 v7, a51
	v_add_co_u32_e32 v0, vcc, v0, v6
	v_addc_co_u32_e32 v9, vcc, v9, v7, vcc
	v_add_co_u32_e32 v2, vcc, v2, v6
	v_accvgpr_read_b32 v6, a49
	v_sub_u32_e32 v6, v8, v6
	v_addc_co_u32_e32 v3, vcc, v3, v7, vcc
	v_cmp_lt_i32_e64 s[66:67], 1, v6
	s_and_saveexec_b64 s[68:69], s[66:67]
	s_cbranch_execz .LBB12_1947
; %bb.1945:                             ;   in Loop: Header=BB12_1936 Depth=3
	v_lshrrev_b32_e64 v7, 6, s33
	v_add_u32_e32 v7, 0xb8, v7
	s_mov_b64 s[72:73], 0
	s_mov_b64 s[70:71], -1
.LBB12_1946:                            ;   Parent Loop BB12_47 Depth=1
                                        ;     Parent Loop BB12_955 Depth=2
                                        ;       Parent Loop BB12_1936 Depth=3
                                        ; =>      This Inner Loop Header: Depth=4
	s_cmp_eq_u32 s72, 1
	s_cselect_b64 s[30:31], -1, 0
	v_cndmask_b32_e64 v13, v9, v3, s[30:31]
	v_cndmask_b32_e64 v12, v0, v2, s[30:31]
	flat_load_ushort v8, v[12:13] glc slc
	v_add_co_u32_e32 v11, vcc, 0x80, v12
	s_cmp_eq_u32 s72, 0
	v_addc_co_u32_e32 v12, vcc, 0, v13, vcc
	s_cselect_b64 vcc, -1, 0
	s_and_b64 s[34:35], exec, s[70:71]
	s_mov_b64 s[72:73], 1
	v_cndmask_b32_e64 v2, v2, v11, s[30:31]
	s_mov_b64 s[70:71], 0
	v_cndmask_b32_e32 v9, v9, v12, vcc
	v_cndmask_b32_e32 v0, v0, v11, vcc
	v_cndmask_b32_e64 v3, v3, v12, s[30:31]
	s_mov_b64 vcc, s[34:35]
	s_waitcnt vmcnt(0) lgkmcnt(0)
	buffer_store_short v8, v7, s[0:3], 0 offen
	v_lshrrev_b32_e64 v7, 6, s33
	v_add_u32_e32 v7, 0xba, v7
	s_cbranch_vccnz .LBB12_1946
.LBB12_1947:                            ;   in Loop: Header=BB12_1936 Depth=3
	s_or_b64 exec, exec, s[68:69]
	buffer_load_ushort v7, off, s[0:3], s33 offset:192
	buffer_load_ushort v8, off, s[0:3], s33 offset:224
	s_waitcnt vmcnt(0)
	v_lshlrev_b32_e32 v7, 16, v7
	v_lshlrev_b32_e32 v8, 16, v8
	v_max_f32_e32 v8, v8, v8
	v_max_f32_e32 v7, v7, v7
	v_min_f32_e32 v11, v7, v8
	v_max_f32_e32 v7, v7, v8
	v_cndmask_b32_e64 v7, v7, v11, s[28:29]
	v_and_b32_e32 v8, 0x7f800000, v7
	v_cmp_ne_u32_e32 vcc, s92, v8
                                        ; implicit-def: $vgpr8
	s_and_saveexec_b64 s[30:31], vcc
	s_xor_b64 vcc, exec, s[30:31]
; %bb.1948:                             ;   in Loop: Header=BB12_1936 Depth=3
	v_bfe_u32 v8, v7, 16, 1
	v_add3_u32 v8, v7, v8, s93
                                        ; implicit-def: $vgpr7
; %bb.1949:                             ;   in Loop: Header=BB12_1936 Depth=3
	s_andn2_saveexec_b64 s[30:31], vcc
	s_cbranch_execz .LBB12_1935
; %bb.1950:                             ;   in Loop: Header=BB12_1936 Depth=3
	v_or_b32_e32 v8, 0x10000, v7
	v_cmp_eq_u32_sdwa vcc, v7, v42 src0_sel:WORD_0 src1_sel:DWORD
	v_cndmask_b32_e32 v8, v8, v7, vcc
	s_branch .LBB12_1935
.LBB12_1951:                            ;   in Loop: Header=BB12_955 Depth=2
	s_or_b64 exec, exec, s[62:63]
	s_and_b64 s[28:29], s[64:65], exec
.LBB12_1952:                            ;   in Loop: Header=BB12_955 Depth=2
	s_or_b64 exec, exec, s[60:61]
	s_and_b64 exec, exec, s[28:29]
	s_cbranch_execz .LBB12_1958
; %bb.1953:                             ;   in Loop: Header=BB12_955 Depth=2
	buffer_load_ushort v0, off, s[0:3], s33 offset:184
	buffer_load_ushort v2, off, s[0:3], s33 offset:186
	v_cmp_eq_u16_sdwa vcc, v10, v42 src0_sel:BYTE_0 src1_sel:DWORD
	s_waitcnt vmcnt(0)
	v_lshlrev_b32_e32 v0, 16, v0
	v_lshlrev_b32_e32 v2, 16, v2
	v_max_f32_e32 v2, v2, v2
	v_max_f32_e32 v0, v0, v0
	v_min_f32_e32 v3, v0, v2
	v_max_f32_e32 v0, v0, v2
	v_cndmask_b32_e32 v0, v0, v3, vcc
	v_and_b32_e32 v2, 0x7f800000, v0
	v_cmp_ne_u32_e32 vcc, s92, v2
                                        ; implicit-def: $vgpr2
	s_and_saveexec_b64 s[28:29], vcc
	s_xor_b64 s[28:29], exec, s[28:29]
; %bb.1954:                             ;   in Loop: Header=BB12_955 Depth=2
	v_bfe_u32 v2, v0, 16, 1
	v_add3_u32 v2, v0, v2, s93
                                        ; implicit-def: $vgpr0
; %bb.1955:                             ;   in Loop: Header=BB12_955 Depth=2
	s_andn2_saveexec_b64 s[28:29], s[28:29]
; %bb.1956:                             ;   in Loop: Header=BB12_955 Depth=2
	v_or_b32_e32 v2, 0x10000, v0
	v_cmp_eq_u32_sdwa vcc, v0, v42 src0_sel:WORD_0 src1_sel:DWORD
	v_cndmask_b32_e32 v2, v2, v0, vcc
; %bb.1957:                             ;   in Loop: Header=BB12_955 Depth=2
	s_or_b64 exec, exec, s[28:29]
	flat_store_short_d16_hi v[4:5], v2 glc slc
.LBB12_1958:                            ;   in Loop: Header=BB12_955 Depth=2
	s_or_b64 exec, exec, s[58:59]
.LBB12_1959:                            ;   in Loop: Header=BB12_955 Depth=2
	s_or_b64 exec, exec, s[36:37]
.LBB12_1960:                            ;   in Loop: Header=BB12_955 Depth=2
	s_and_saveexec_b64 s[28:29], s[10:11]
	s_cbranch_execz .LBB12_1979
; %bb.1961:                             ;   in Loop: Header=BB12_955 Depth=2
	s_and_saveexec_b64 vcc, s[44:45]
	s_xor_b64 s[30:31], exec, vcc
	s_cbranch_execz .LBB12_1976
; %bb.1962:                             ;   in Loop: Header=BB12_955 Depth=2
	s_and_saveexec_b64 s[34:35], s[16:17]
	s_cbranch_execz .LBB12_1975
; %bb.1963:                             ;   in Loop: Header=BB12_955 Depth=2
	s_mov_b64 s[58:59], exec
	v_mbcnt_lo_u32_b32 v0, s58, 0
	v_mbcnt_hi_u32_b32 v0, s59, v0
	v_cmp_eq_u32_e32 vcc, 0, v0
	s_waitcnt vmcnt(0) lgkmcnt(0)
	buffer_wbinvl1_vol
	s_and_saveexec_b64 s[36:37], vcc
	s_cbranch_execz .LBB12_1965
; %bb.1964:                             ;   in Loop: Header=BB12_955 Depth=2
	s_bcnt1_i32_b64 vcc_lo, s[58:59]
	v_mov_b32_e32 v2, vcc_lo
	v_mov_b32_e32 v3, v42
	ds_add_u64 v0, v[2:3]
	s_trap 2
.LBB12_1965:                            ;   in Loop: Header=BB12_955 Depth=2
	s_or_b64 exec, exec, s[36:37]
	s_trap 2
	ds_read_b64 v[2:3], v0
	v_accvgpr_read_b32 v4, a14
	v_accvgpr_read_b32 v0, a22
	;; [unrolled: 1-line block ×3, first 2 shown]
	v_add_co_u32_e32 v4, vcc, v4, v0
	v_addc_co_u32_e32 v5, vcc, 0, v5, vcc
	v_accvgpr_write_b32 a15, v5
	v_accvgpr_write_b32 a14, v4
	s_waitcnt lgkmcnt(0)
	v_cmp_lt_u64_e32 vcc, v[2:3], v[4:5]
	s_and_saveexec_b64 s[36:37], vcc
	s_cbranch_execz .LBB12_1974
; %bb.1966:                             ;   in Loop: Header=BB12_955 Depth=2
	s_mov_b32 s68, 0
	s_mov_b64 s[58:59], 0
                                        ; implicit-def: $sgpr60_sgpr61
                                        ; implicit-def: $sgpr62_sgpr63
	s_branch .LBB12_1968
.LBB12_1967:                            ;   in Loop: Header=BB12_1968 Depth=3
	s_or_b64 exec, exec, s[66:67]
	s_and_b64 vcc, exec, vcc
	s_or_b64 s[58:59], vcc, s[58:59]
	s_andn2_b64 vcc, s[60:61], exec
	s_and_b64 s[60:61], s[62:63], exec
	s_or_b64 s[60:61], vcc, s[60:61]
	s_andn2_b64 exec, exec, s[58:59]
	s_cbranch_execz .LBB12_1972
.LBB12_1968:                            ;   Parent Loop BB12_47 Depth=1
                                        ;     Parent Loop BB12_955 Depth=2
                                        ; =>    This Inner Loop Header: Depth=3
	s_add_i32 s68, s68, 1
	s_cmpk_lg_i32 s68, 0x2710
	s_cselect_b64 s[64:65], -1, 0
	s_and_b64 vcc, exec, s[64:65]
                                        ; implicit-def: $sgpr66_sgpr67
	s_cbranch_vccnz .LBB12_1970
; %bb.1969:                             ;   in Loop: Header=BB12_1968 Depth=3
	s_trap 2
	ds_read_b64 v[2:3], v0
	s_andn2_b64 s[64:65], s[64:65], exec
	s_mov_b32 s68, 0
	s_mov_b64 s[66:67], -1
	s_waitcnt lgkmcnt(0)
	flat_load_dword v0, v[2:3] glc
	s_waitcnt vmcnt(0) lgkmcnt(0)
	buffer_invl2
	buffer_wbinvl1_vol
	v_cmp_eq_u32_e32 vcc, 0, v0
	s_and_b64 vcc, vcc, exec
	s_or_b64 s[64:65], s[64:65], vcc
.LBB12_1970:                            ;   in Loop: Header=BB12_1968 Depth=3
	s_andn2_b64 s[62:63], s[62:63], exec
	s_and_b64 s[66:67], s[66:67], exec
	s_mov_b64 vcc, -1
	s_or_b64 s[62:63], s[62:63], s[66:67]
	s_and_saveexec_b64 s[66:67], s[64:65]
	s_cbranch_execz .LBB12_1967
; %bb.1971:                             ;   in Loop: Header=BB12_1968 Depth=3
	s_sleep 1
	s_trap 2
	ds_read_b64 v[2:3], v0
	v_accvgpr_read_b32 v4, a14
	v_accvgpr_read_b32 v5, a15
	s_andn2_b64 s[62:63], s[62:63], exec
	s_waitcnt lgkmcnt(0)
	v_cmp_ge_u64_e32 vcc, v[2:3], v[4:5]
	s_orn2_b64 vcc, vcc, exec
	s_branch .LBB12_1967
.LBB12_1972:                            ;   in Loop: Header=BB12_955 Depth=2
	s_or_b64 exec, exec, s[58:59]
	s_and_saveexec_b64 vcc, s[60:61]
	s_xor_b64 vcc, exec, vcc
	s_cbranch_execz .LBB12_1974
; %bb.1973:                             ;   in Loop: Header=BB12_955 Depth=2
	v_mov_b32_e32 v0, 1
	ds_write_b32 v0, v0
	s_trap 2
.LBB12_1974:                            ;   in Loop: Header=BB12_955 Depth=2
	s_or_b64 exec, exec, s[36:37]
	;;#ASMSTART
	s_wakeup
	;;#ASMEND
.LBB12_1975:                            ;   in Loop: Header=BB12_955 Depth=2
	s_or_b64 exec, exec, s[34:35]
.LBB12_1976:                            ;   in Loop: Header=BB12_955 Depth=2
	s_andn2_saveexec_b64 vcc, s[30:31]
	s_cbranch_execz .LBB12_1978
; %bb.1977:                             ;   in Loop: Header=BB12_955 Depth=2
	s_waitcnt vmcnt(0) lgkmcnt(0)
	buffer_wbinvl1_vol
	s_barrier
.LBB12_1978:                            ;   in Loop: Header=BB12_955 Depth=2
	s_or_b64 exec, exec, vcc
.LBB12_1979:                            ;   in Loop: Header=BB12_955 Depth=2
	s_or_b64 exec, exec, s[28:29]
	v_and_b32_e32 v0, 16, v29
	s_and_saveexec_b64 s[28:29], s[24:25]
	s_xor_b64 s[30:31], exec, s[28:29]
	s_cbranch_execz .LBB12_1983
; %bb.1980:                             ;   in Loop: Header=BB12_955 Depth=2
	v_and_b32_e32 v2, 16, v29
	v_cmp_lt_i32_e32 vcc, 0, v49
	v_cmp_ne_u32_e64 s[28:29], 0, v2
	v_and_b32_e32 v0, 16, v29
	s_and_b64 vcc, s[28:29], vcc
	s_and_saveexec_b64 s[28:29], vcc
	s_cbranch_execz .LBB12_1982
; %bb.1981:                             ;   in Loop: Header=BB12_955 Depth=2
	v_mov_b32_e32 v0, 1
	s_waitcnt vmcnt(0) lgkmcnt(0)
	buffer_wbinvl1_vol
.LBB12_1982:                            ;   in Loop: Header=BB12_955 Depth=2
	s_or_b64 exec, exec, s[28:29]
.LBB12_1983:                            ;   in Loop: Header=BB12_955 Depth=2
	s_andn2_saveexec_b64 s[28:29], s[30:31]
	s_cbranch_execz .LBB12_2002
; %bb.1984:                             ;   in Loop: Header=BB12_955 Depth=2
	s_and_saveexec_b64 vcc, s[44:45]
	s_xor_b64 s[30:31], exec, vcc
	s_cbranch_execz .LBB12_1999
; %bb.1985:                             ;   in Loop: Header=BB12_955 Depth=2
	s_and_saveexec_b64 s[34:35], s[16:17]
	s_cbranch_execz .LBB12_1998
; %bb.1986:                             ;   in Loop: Header=BB12_955 Depth=2
	s_mov_b64 s[58:59], exec
	v_mbcnt_lo_u32_b32 v2, s58, 0
	v_mbcnt_hi_u32_b32 v2, s59, v2
	v_cmp_eq_u32_e32 vcc, 0, v2
	;;#ASMSTART
	s_waitcnt lgkmcnt(0) vmcnt(0)
	;;#ASMEND
	s_and_saveexec_b64 s[36:37], vcc
	s_cbranch_execz .LBB12_1988
; %bb.1987:                             ;   in Loop: Header=BB12_955 Depth=2
	s_bcnt1_i32_b64 vcc_lo, s[58:59]
	v_mov_b32_e32 v2, vcc_lo
	v_mov_b32_e32 v3, v42
	ds_add_u64 v0, v[2:3]
	s_trap 2
.LBB12_1988:                            ;   in Loop: Header=BB12_955 Depth=2
	s_or_b64 exec, exec, s[36:37]
	s_trap 2
	ds_read_b64 v[2:3], v0
	v_accvgpr_read_b32 v4, a14
	v_accvgpr_read_b32 v6, a22
	;; [unrolled: 1-line block ×3, first 2 shown]
	v_add_co_u32_e32 v4, vcc, v4, v6
	v_addc_co_u32_e32 v5, vcc, 0, v5, vcc
	v_accvgpr_write_b32 a15, v5
	v_accvgpr_write_b32 a14, v4
	s_waitcnt lgkmcnt(0)
	v_cmp_lt_u64_e32 vcc, v[2:3], v[4:5]
	s_and_saveexec_b64 s[36:37], vcc
	s_cbranch_execz .LBB12_1997
; %bb.1989:                             ;   in Loop: Header=BB12_955 Depth=2
	s_mov_b32 s68, 0
	s_mov_b64 s[58:59], 0
                                        ; implicit-def: $sgpr60_sgpr61
                                        ; implicit-def: $sgpr62_sgpr63
	s_branch .LBB12_1991
.LBB12_1990:                            ;   in Loop: Header=BB12_1991 Depth=3
	s_or_b64 exec, exec, s[66:67]
	s_and_b64 vcc, exec, vcc
	s_or_b64 s[58:59], vcc, s[58:59]
	s_andn2_b64 vcc, s[60:61], exec
	s_and_b64 s[60:61], s[62:63], exec
	s_or_b64 s[60:61], vcc, s[60:61]
	s_andn2_b64 exec, exec, s[58:59]
	s_cbranch_execz .LBB12_1995
.LBB12_1991:                            ;   Parent Loop BB12_47 Depth=1
                                        ;     Parent Loop BB12_955 Depth=2
                                        ; =>    This Inner Loop Header: Depth=3
	s_add_i32 s68, s68, 1
	s_cmpk_lg_i32 s68, 0x2710
	s_cselect_b64 s[64:65], -1, 0
	s_and_b64 vcc, exec, s[64:65]
                                        ; implicit-def: $sgpr66_sgpr67
	s_cbranch_vccnz .LBB12_1993
; %bb.1992:                             ;   in Loop: Header=BB12_1991 Depth=3
	s_trap 2
	ds_read_b64 v[2:3], v0
	s_andn2_b64 s[64:65], s[64:65], exec
	s_mov_b32 s68, 0
	s_mov_b64 s[66:67], -1
	s_waitcnt vmcnt(0) lgkmcnt(0)
	flat_load_dword v2, v[2:3] glc
	s_waitcnt vmcnt(0) lgkmcnt(0)
	buffer_invl2
	buffer_wbinvl1_vol
	v_cmp_eq_u32_e32 vcc, 0, v2
	s_and_b64 vcc, vcc, exec
	s_or_b64 s[64:65], s[64:65], vcc
.LBB12_1993:                            ;   in Loop: Header=BB12_1991 Depth=3
	s_andn2_b64 s[62:63], s[62:63], exec
	s_and_b64 s[66:67], s[66:67], exec
	s_mov_b64 vcc, -1
	s_or_b64 s[62:63], s[62:63], s[66:67]
	s_and_saveexec_b64 s[66:67], s[64:65]
	s_cbranch_execz .LBB12_1990
; %bb.1994:                             ;   in Loop: Header=BB12_1991 Depth=3
	s_sleep 1
	s_trap 2
	ds_read_b64 v[2:3], v0
	v_accvgpr_read_b32 v4, a14
	v_accvgpr_read_b32 v5, a15
	s_andn2_b64 s[62:63], s[62:63], exec
	s_waitcnt lgkmcnt(0)
	v_cmp_ge_u64_e32 vcc, v[2:3], v[4:5]
	s_orn2_b64 vcc, vcc, exec
	s_branch .LBB12_1990
.LBB12_1995:                            ;   in Loop: Header=BB12_955 Depth=2
	s_or_b64 exec, exec, s[58:59]
	s_and_saveexec_b64 vcc, s[60:61]
	s_xor_b64 vcc, exec, vcc
	s_cbranch_execz .LBB12_1997
; %bb.1996:                             ;   in Loop: Header=BB12_955 Depth=2
	v_mov_b32_e32 v2, 1
	ds_write_b32 v0, v2
	s_trap 2
.LBB12_1997:                            ;   in Loop: Header=BB12_955 Depth=2
	s_or_b64 exec, exec, s[36:37]
	;;#ASMSTART
	s_wakeup
	;;#ASMEND
.LBB12_1998:                            ;   in Loop: Header=BB12_955 Depth=2
	s_or_b64 exec, exec, s[34:35]
.LBB12_1999:                            ;   in Loop: Header=BB12_955 Depth=2
	s_andn2_saveexec_b64 vcc, s[30:31]
	s_cbranch_execz .LBB12_2001
; %bb.2000:                             ;   in Loop: Header=BB12_955 Depth=2
	;;#ASMSTART
	s_waitcnt lgkmcnt(0) vmcnt(0)
	;;#ASMEND
	s_barrier
.LBB12_2001:                            ;   in Loop: Header=BB12_955 Depth=2
	s_or_b64 exec, exec, vcc
.LBB12_2002:                            ;   in Loop: Header=BB12_955 Depth=2
	s_or_b64 exec, exec, s[28:29]
	v_cmp_ne_u32_e32 vcc, 0, v0
	s_xor_b64 s[28:29], s[12:13], -1
	s_and_b64 vcc, vcc, s[28:29]
	s_and_saveexec_b64 s[28:29], vcc
	s_cbranch_execz .LBB12_2004
; %bb.2003:                             ;   in Loop: Header=BB12_955 Depth=2
	v_accvgpr_read_b32 v2, a20
	v_accvgpr_read_b32 v3, a21
	v_mov_b32_e32 v0, 1
	flat_store_dword v[2:3], v0
.LBB12_2004:                            ;   in Loop: Header=BB12_955 Depth=2
	s_or_b64 exec, exec, s[28:29]
	v_and_b32_e32 v0, 48, v29
	v_cmp_ne_u32_e32 vcc, 0, v0
	s_and_saveexec_b64 s[28:29], vcc
	s_cbranch_execz .LBB12_954
; %bb.2005:                             ;   in Loop: Header=BB12_955 Depth=2
	v_add_co_u32_e32 v44, vcc, 2, v44
	v_addc_co_u32_e32 v45, vcc, 0, v45, vcc
	flat_store_dwordx2 v[46:47], v[44:45]
	s_branch .LBB12_954
.LBB12_2006:                            ;   in Loop: Header=BB12_47 Depth=1
	s_or_b64 exec, exec, s[52:53]
	v_cmp_gt_i32_e32 vcc, 2, v0
	s_and_saveexec_b64 s[30:31], vcc
	s_cbranch_execz .LBB12_2082
.LBB12_2007:                            ;   in Loop: Header=BB12_47 Depth=1
	v_cmp_eq_u32_e64 s[28:29], 0, v0
	s_mov_b64 s[34:35], 0
	s_branch .LBB12_2009
.LBB12_2008:                            ;   in Loop: Header=BB12_2009 Depth=2
	s_or_b64 exec, exec, s[28:29]
	v_accvgpr_read_b32 v0, a8
	v_add_u32_e32 v56, v0, v56
	s_mov_b64 s[28:29], 0
	s_andn2_b64 exec, exec, s[34:35]
	s_cbranch_execz .LBB12_2083
.LBB12_2009:                            ;   Parent Loop BB12_47 Depth=1
                                        ; =>  This Loop Header: Depth=2
                                        ;       Child Loop BB12_2015 Depth 3
                                        ;       Child Loop BB12_2043 Depth 3
	;; [unrolled: 1-line block ×3, first 2 shown]
	v_and_b32_e32 v0, 12, v29
	s_mov_b64 s[52:53], -1
	v_cmp_ne_u32_e32 vcc, 0, v0
	s_and_saveexec_b64 s[36:37], vcc
	s_cbranch_execz .LBB12_2021
; %bb.2010:                             ;   in Loop: Header=BB12_2009 Depth=2
	v_and_b32_e32 v0, 8, v29
	v_add_co_u32_e32 v4, vcc, v60, v0
	v_addc_co_u32_e32 v5, vcc, 0, v61, vcc
	v_add_co_u32_e32 v2, vcc, 2, v44
	v_addc_co_u32_e32 v3, vcc, 0, v45, vcc
	v_cmp_lt_u64_e32 vcc, v[4:5], v[2:3]
	v_mov_b32_e32 v4, 1
	s_and_saveexec_b64 s[52:53], vcc
	s_cbranch_execz .LBB12_2020
; %bb.2011:                             ;   in Loop: Header=BB12_2009 Depth=2
	s_mov_b64 s[54:55], 0
	v_mov_b32_e32 v4, 0
                                        ; implicit-def: $sgpr56_sgpr57
	s_branch .LBB12_2015
.LBB12_2012:                            ;   in Loop: Header=BB12_2015 Depth=3
	s_or_b64 exec, exec, s[64:65]
	v_mov_b32_e32 v5, 0
	s_orn2_b64 s[62:63], s[62:63], exec
.LBB12_2013:                            ;   in Loop: Header=BB12_2015 Depth=3
	s_or_b64 exec, exec, s[60:61]
	s_andn2_b64 vcc, s[56:57], exec
	s_and_b64 s[56:57], s[62:63], exec
	s_or_b64 s[56:57], vcc, s[56:57]
	v_mov_b32_e32 v4, v5
.LBB12_2014:                            ;   in Loop: Header=BB12_2015 Depth=3
	s_or_b64 exec, exec, s[58:59]
	s_waitcnt vmcnt(0) lgkmcnt(0)
	v_add_co_u32_e32 v6, vcc, v60, v0
	v_addc_co_u32_e32 v7, vcc, 0, v61, vcc
	v_cmp_ge_u64_e32 vcc, v[6:7], v[2:3]
	s_xor_b64 s[58:59], s[56:57], -1
	s_or_b64 vcc, s[58:59], vcc
	s_and_b64 vcc, exec, vcc
	s_or_b64 s[54:55], vcc, s[54:55]
	s_andn2_b64 exec, exec, s[54:55]
	s_cbranch_execz .LBB12_2019
.LBB12_2015:                            ;   Parent Loop BB12_47 Depth=1
                                        ;     Parent Loop BB12_2009 Depth=2
                                        ; =>    This Inner Loop Header: Depth=3
	s_sleep 1
	flat_load_dwordx2 v[60:61], v[46:47] glc
	v_and_b32_e32 v5, 64, v29
	v_cmp_eq_u32_e32 vcc, 0, v5
	s_andn2_b64 s[56:57], s[56:57], exec
	s_and_saveexec_b64 s[58:59], vcc
	s_cbranch_execz .LBB12_2014
; %bb.2016:                             ;   in Loop: Header=BB12_2015 Depth=3
	v_add_u32_e32 v5, 1, v4
	v_cmp_lt_i32_e32 vcc, s90, v4
	s_mov_b64 s[62:63], -1
	s_and_saveexec_b64 s[60:61], vcc
	s_cbranch_execz .LBB12_2013
; %bb.2017:                             ;   in Loop: Header=BB12_2015 Depth=3
	s_trap 2
	ds_read_b64 v[4:5], v0
	s_waitcnt vmcnt(0) lgkmcnt(0)
	flat_load_dword v4, v[4:5] glc
	s_waitcnt vmcnt(0) lgkmcnt(0)
	buffer_invl2
	buffer_wbinvl1_vol
	v_cmp_ne_u32_e32 vcc, 0, v4
	s_and_saveexec_b64 s[64:65], vcc
	s_cbranch_execz .LBB12_2012
; %bb.2018:                             ;   in Loop: Header=BB12_2015 Depth=3
	v_or_b32_e32 v29, 64, v29
	s_xor_b64 s[62:63], exec, -1
	ds_write_b32 v0, v4
	s_trap 2
	s_branch .LBB12_2012
.LBB12_2019:                            ;   in Loop: Header=BB12_2009 Depth=2
	s_or_b64 exec, exec, s[54:55]
	v_and_b32_e32 v4, 12, v29
.LBB12_2020:                            ;   in Loop: Header=BB12_2009 Depth=2
	s_or_b64 exec, exec, s[52:53]
	v_cmp_eq_u32_e32 vcc, 0, v4
	s_orn2_b64 s[52:53], vcc, exec
	;;#ASMSTART
	s_wakeup
	;;#ASMEND
.LBB12_2021:                            ;   in Loop: Header=BB12_2009 Depth=2
	s_or_b64 exec, exec, s[36:37]
	s_xor_b64 s[28:29], s[28:29], -1
	v_mov_b32_e32 v0, v56
	s_and_b64 s[28:29], exec, s[28:29]
	v_sub_u32_e32 v0, v48, v0
	v_accvgpr_read_b32 v2, a8
	s_or_b64 s[34:35], s[28:29], s[34:35]
	v_min_i32_e32 v2, v2, v0
	s_xor_b64 s[28:29], s[52:53], -1
	v_accvgpr_write_b32 a8, v2
	s_and_saveexec_b64 s[36:37], s[28:29]
	s_cbranch_execz .LBB12_2035
; %bb.2022:                             ;   in Loop: Header=BB12_2009 Depth=2
	v_and_b32_e32 v0, 0x108, v29
	v_cmp_ne_u32_e32 vcc, s91, v0
	v_and_b32_e32 v0, 7, v44
	s_and_saveexec_b64 s[28:29], vcc
	s_xor_b64 s[28:29], exec, s[28:29]
                                        ; implicit-def: $vgpr2_vgpr3
; %bb.2023:                             ;   in Loop: Header=BB12_2009 Depth=2
	v_mov_b32_e32 v3, v42
; %bb.2024:                             ;   in Loop: Header=BB12_2009 Depth=2
	s_andn2_saveexec_b64 s[28:29], s[28:29]
	s_cbranch_execz .LBB12_2026
; %bb.2025:                             ;   in Loop: Header=BB12_2009 Depth=2
	v_accvgpr_read_b32 v4, a12
	v_accvgpr_read_b32 v6, a8
	;; [unrolled: 1-line block ×3, first 2 shown]
	v_ashrrev_i32_e32 v7, 31, v6
	v_mov_b32_e32 v3, v42
	v_mad_u64_u32 v[4:5], vcc, v0, 24, v[4:5]
	v_lshlrev_b64 v[6:7], 1, v[6:7]
	flat_store_dwordx2 v[4:5], v[6:7] offset:8
.LBB12_2026:                            ;   in Loop: Header=BB12_2009 Depth=2
	s_or_b64 exec, exec, s[28:29]
	v_and_b32_e32 v2, 0x100, v29
	v_cmp_ne_u32_e32 vcc, 0, v2
	s_mov_b64 s[28:29], -1
                                        ; implicit-def: $vgpr4_vgpr5
	s_and_saveexec_b64 s[52:53], vcc
	s_cbranch_execz .LBB12_2030
; %bb.2027:                             ;   in Loop: Header=BB12_2009 Depth=2
	v_accvgpr_read_b32 v4, a12
	v_accvgpr_read_b32 v5, a13
	v_mad_u64_u32 v[6:7], s[28:29], v0, 24, v[4:5]
	v_mov_b32_e32 v2, v7
	v_mad_u64_u32 v[4:5], s[28:29], v3, 24, v[2:3]
	v_mov_b32_e32 v7, v4
	flat_load_dword v2, v[6:7]
                                        ; implicit-def: $vgpr4_vgpr5
	s_waitcnt vmcnt(0) lgkmcnt(0)
	v_cmp_ne_u32_e32 vcc, 1, v2
	v_cmp_eq_u32_e64 s[28:29], 1, v2
	s_and_saveexec_b64 s[54:55], s[28:29]
	s_cbranch_execz .LBB12_2029
; %bb.2028:                             ;   in Loop: Header=BB12_2009 Depth=2
	flat_load_dword v4, v[6:7] offset:4 glc
	s_waitcnt vmcnt(0) lgkmcnt(0)
	v_ashrrev_i32_e32 v5, 31, v4
	v_lshrrev_b64 v[4:5], 1, v[4:5]
.LBB12_2029:                            ;   in Loop: Header=BB12_2009 Depth=2
	s_or_b64 exec, exec, s[54:55]
	s_orn2_b64 s[28:29], vcc, exec
.LBB12_2030:                            ;   in Loop: Header=BB12_2009 Depth=2
	s_or_b64 exec, exec, s[52:53]
	s_and_saveexec_b64 vcc, s[28:29]
; %bb.2031:                             ;   in Loop: Header=BB12_2009 Depth=2
	v_accvgpr_read_b32 v4, a16
	v_mul_lo_u32 v2, v3, v4
	v_accvgpr_read_b32 v3, a3
	v_mul_lo_u32 v3, v0, v3
	v_mad_u64_u32 v[4:5], s[28:29], v0, v4, 0
	v_add3_u32 v5, v5, v3, v2
; %bb.2032:                             ;   in Loop: Header=BB12_2009 Depth=2
	s_or_b64 exec, exec, vcc
	v_lshlrev_b64 v[2:3], 1, v[4:5]
	v_accvgpr_read_b32 v4, a18
	v_accvgpr_read_b32 v5, a19
	v_add_co_u32_e32 v2, vcc, v4, v2
	v_addc_co_u32_e32 v3, vcc, v5, v3, vcc
	s_trap 2
	ds_write_b64 v0, v[2:3]
	v_and_b32_e32 v0, 0x2000, v29
	v_cmp_ne_u32_e32 vcc, 0, v0
	s_and_saveexec_b64 s[28:29], vcc
	s_cbranch_execz .LBB12_2034
; %bb.2033:                             ;   in Loop: Header=BB12_2009 Depth=2
	ds_read_b64 v[2:3], v0 offset:584
	s_waitcnt lgkmcnt(0)
	v_add_co_u32_e32 v2, vcc, 1, v2
	v_addc_co_u32_e32 v3, vcc, 0, v3, vcc
	ds_write_b64 v0, v[2:3] offset:584
.LBB12_2034:                            ;   in Loop: Header=BB12_2009 Depth=2
	s_or_b64 exec, exec, s[28:29]
	v_add_co_u32_e32 v44, vcc, 2, v44
	v_addc_co_u32_e32 v45, vcc, 0, v45, vcc
.LBB12_2035:                            ;   in Loop: Header=BB12_2009 Depth=2
	s_or_b64 exec, exec, s[36:37]
	s_and_saveexec_b64 s[28:29], s[10:11]
	s_cbranch_execz .LBB12_2054
; %bb.2036:                             ;   in Loop: Header=BB12_2009 Depth=2
	s_and_saveexec_b64 vcc, s[44:45]
	s_xor_b64 s[36:37], exec, vcc
	s_cbranch_execz .LBB12_2051
; %bb.2037:                             ;   in Loop: Header=BB12_2009 Depth=2
	s_and_saveexec_b64 s[52:53], s[16:17]
	s_cbranch_execz .LBB12_2050
; %bb.2038:                             ;   in Loop: Header=BB12_2009 Depth=2
	s_mov_b64 s[56:57], exec
	v_mbcnt_lo_u32_b32 v0, s56, 0
	v_mbcnt_hi_u32_b32 v0, s57, v0
	v_cmp_eq_u32_e32 vcc, 0, v0
	s_waitcnt vmcnt(0) lgkmcnt(0)
	buffer_wbinvl1_vol
	s_and_saveexec_b64 s[54:55], vcc
	s_cbranch_execz .LBB12_2040
; %bb.2039:                             ;   in Loop: Header=BB12_2009 Depth=2
	s_bcnt1_i32_b64 vcc_lo, s[56:57]
	v_mov_b32_e32 v2, vcc_lo
	v_mov_b32_e32 v3, v42
	ds_add_u64 v0, v[2:3]
	s_trap 2
.LBB12_2040:                            ;   in Loop: Header=BB12_2009 Depth=2
	s_or_b64 exec, exec, s[54:55]
	s_trap 2
	ds_read_b64 v[2:3], v0
	v_accvgpr_read_b32 v4, a14
	v_accvgpr_read_b32 v0, a22
	;; [unrolled: 1-line block ×3, first 2 shown]
	v_add_co_u32_e32 v4, vcc, v4, v0
	v_addc_co_u32_e32 v5, vcc, 0, v5, vcc
	v_accvgpr_write_b32 a15, v5
	v_accvgpr_write_b32 a14, v4
	s_waitcnt lgkmcnt(0)
	v_cmp_lt_u64_e32 vcc, v[2:3], v[4:5]
	s_and_saveexec_b64 s[54:55], vcc
	s_cbranch_execz .LBB12_2049
; %bb.2041:                             ;   in Loop: Header=BB12_2009 Depth=2
	s_mov_b32 s66, 0
	s_mov_b64 s[56:57], 0
                                        ; implicit-def: $sgpr58_sgpr59
                                        ; implicit-def: $sgpr60_sgpr61
	s_branch .LBB12_2043
.LBB12_2042:                            ;   in Loop: Header=BB12_2043 Depth=3
	s_or_b64 exec, exec, s[64:65]
	s_and_b64 vcc, exec, vcc
	s_or_b64 s[56:57], vcc, s[56:57]
	s_andn2_b64 vcc, s[58:59], exec
	s_and_b64 s[58:59], s[60:61], exec
	s_or_b64 s[58:59], vcc, s[58:59]
	s_andn2_b64 exec, exec, s[56:57]
	s_cbranch_execz .LBB12_2047
.LBB12_2043:                            ;   Parent Loop BB12_47 Depth=1
                                        ;     Parent Loop BB12_2009 Depth=2
                                        ; =>    This Inner Loop Header: Depth=3
	s_add_i32 s66, s66, 1
	s_cmpk_lg_i32 s66, 0x2710
	s_cselect_b64 s[62:63], -1, 0
	s_and_b64 vcc, exec, s[62:63]
                                        ; implicit-def: $sgpr64_sgpr65
	s_cbranch_vccnz .LBB12_2045
; %bb.2044:                             ;   in Loop: Header=BB12_2043 Depth=3
	s_trap 2
	ds_read_b64 v[2:3], v0
	s_andn2_b64 s[62:63], s[62:63], exec
	s_mov_b32 s66, 0
	s_mov_b64 s[64:65], -1
	s_waitcnt lgkmcnt(0)
	flat_load_dword v0, v[2:3] glc
	s_waitcnt vmcnt(0) lgkmcnt(0)
	buffer_invl2
	buffer_wbinvl1_vol
	v_cmp_eq_u32_e32 vcc, 0, v0
	s_and_b64 vcc, vcc, exec
	s_or_b64 s[62:63], s[62:63], vcc
.LBB12_2045:                            ;   in Loop: Header=BB12_2043 Depth=3
	s_andn2_b64 s[60:61], s[60:61], exec
	s_and_b64 s[64:65], s[64:65], exec
	s_mov_b64 vcc, -1
	s_or_b64 s[60:61], s[60:61], s[64:65]
	s_and_saveexec_b64 s[64:65], s[62:63]
	s_cbranch_execz .LBB12_2042
; %bb.2046:                             ;   in Loop: Header=BB12_2043 Depth=3
	s_sleep 1
	s_trap 2
	ds_read_b64 v[2:3], v0
	v_accvgpr_read_b32 v4, a14
	v_accvgpr_read_b32 v5, a15
	s_andn2_b64 s[60:61], s[60:61], exec
	s_waitcnt lgkmcnt(0)
	v_cmp_ge_u64_e32 vcc, v[2:3], v[4:5]
	s_orn2_b64 vcc, vcc, exec
	s_branch .LBB12_2042
.LBB12_2047:                            ;   in Loop: Header=BB12_2009 Depth=2
	s_or_b64 exec, exec, s[56:57]
	s_and_saveexec_b64 vcc, s[58:59]
	s_xor_b64 vcc, exec, vcc
	s_cbranch_execz .LBB12_2049
; %bb.2048:                             ;   in Loop: Header=BB12_2009 Depth=2
	v_mov_b32_e32 v0, 1
	ds_write_b32 v0, v0
	s_trap 2
.LBB12_2049:                            ;   in Loop: Header=BB12_2009 Depth=2
	s_or_b64 exec, exec, s[54:55]
	;;#ASMSTART
	s_wakeup
	;;#ASMEND
.LBB12_2050:                            ;   in Loop: Header=BB12_2009 Depth=2
	s_or_b64 exec, exec, s[52:53]
.LBB12_2051:                            ;   in Loop: Header=BB12_2009 Depth=2
	s_andn2_saveexec_b64 vcc, s[36:37]
	s_cbranch_execz .LBB12_2053
; %bb.2052:                             ;   in Loop: Header=BB12_2009 Depth=2
	s_waitcnt vmcnt(0) lgkmcnt(0)
	buffer_wbinvl1_vol
	s_barrier
.LBB12_2053:                            ;   in Loop: Header=BB12_2009 Depth=2
	s_or_b64 exec, exec, vcc
.LBB12_2054:                            ;   in Loop: Header=BB12_2009 Depth=2
	s_or_b64 exec, exec, s[28:29]
	v_and_b32_e32 v0, 16, v29
	s_and_saveexec_b64 s[28:29], s[24:25]
	s_xor_b64 s[28:29], exec, s[28:29]
	s_cbranch_execz .LBB12_2058
; %bb.2055:                             ;   in Loop: Header=BB12_2009 Depth=2
	s_trap 2
	ds_read_b32 v2, v0
	v_accvgpr_read_b32 v0, a8
	v_cmp_lt_i32_e32 vcc, 0, v0
	v_and_b32_e32 v3, 16, v29
	v_and_b32_e32 v0, 16, v29
	s_waitcnt lgkmcnt(0)
	v_readfirstlane_b32 s36, v2
	s_cmp_eq_u32 s36, 0
	s_cselect_b64 s[36:37], -1, 0
	s_and_b64 s[36:37], vcc, s[36:37]
	v_cmp_ne_u32_e32 vcc, 0, v3
	s_and_b64 s[36:37], vcc, s[36:37]
	s_and_saveexec_b64 vcc, s[36:37]
	s_cbranch_execz .LBB12_2057
; %bb.2056:                             ;   in Loop: Header=BB12_2009 Depth=2
	v_mov_b32_e32 v0, 1
	s_waitcnt vmcnt(0)
	buffer_wbinvl1_vol
.LBB12_2057:                            ;   in Loop: Header=BB12_2009 Depth=2
	s_or_b64 exec, exec, vcc
.LBB12_2058:                            ;   in Loop: Header=BB12_2009 Depth=2
	s_andn2_saveexec_b64 s[28:29], s[28:29]
	s_cbranch_execz .LBB12_2077
; %bb.2059:                             ;   in Loop: Header=BB12_2009 Depth=2
	s_and_saveexec_b64 vcc, s[44:45]
	s_xor_b64 s[36:37], exec, vcc
	s_cbranch_execz .LBB12_2074
; %bb.2060:                             ;   in Loop: Header=BB12_2009 Depth=2
	s_and_saveexec_b64 s[52:53], s[16:17]
	s_cbranch_execz .LBB12_2073
; %bb.2061:                             ;   in Loop: Header=BB12_2009 Depth=2
	s_mov_b64 s[56:57], exec
	v_mbcnt_lo_u32_b32 v2, s56, 0
	v_mbcnt_hi_u32_b32 v2, s57, v2
	v_cmp_eq_u32_e32 vcc, 0, v2
	;;#ASMSTART
	s_waitcnt lgkmcnt(0) vmcnt(0)
	;;#ASMEND
	s_and_saveexec_b64 s[54:55], vcc
	s_cbranch_execz .LBB12_2063
; %bb.2062:                             ;   in Loop: Header=BB12_2009 Depth=2
	s_bcnt1_i32_b64 vcc_lo, s[56:57]
	v_mov_b32_e32 v2, vcc_lo
	v_mov_b32_e32 v3, v42
	ds_add_u64 v0, v[2:3]
	s_trap 2
.LBB12_2063:                            ;   in Loop: Header=BB12_2009 Depth=2
	s_or_b64 exec, exec, s[54:55]
	s_trap 2
	ds_read_b64 v[2:3], v0
	v_accvgpr_read_b32 v4, a14
	v_accvgpr_read_b32 v6, a22
	;; [unrolled: 1-line block ×3, first 2 shown]
	v_add_co_u32_e32 v4, vcc, v4, v6
	v_addc_co_u32_e32 v5, vcc, 0, v5, vcc
	v_accvgpr_write_b32 a15, v5
	v_accvgpr_write_b32 a14, v4
	s_waitcnt lgkmcnt(0)
	v_cmp_lt_u64_e32 vcc, v[2:3], v[4:5]
	s_and_saveexec_b64 s[54:55], vcc
	s_cbranch_execz .LBB12_2072
; %bb.2064:                             ;   in Loop: Header=BB12_2009 Depth=2
	s_mov_b32 s66, 0
	s_mov_b64 s[56:57], 0
                                        ; implicit-def: $sgpr58_sgpr59
                                        ; implicit-def: $sgpr60_sgpr61
	s_branch .LBB12_2066
.LBB12_2065:                            ;   in Loop: Header=BB12_2066 Depth=3
	s_or_b64 exec, exec, s[64:65]
	s_and_b64 vcc, exec, vcc
	s_or_b64 s[56:57], vcc, s[56:57]
	s_andn2_b64 vcc, s[58:59], exec
	s_and_b64 s[58:59], s[60:61], exec
	s_or_b64 s[58:59], vcc, s[58:59]
	s_andn2_b64 exec, exec, s[56:57]
	s_cbranch_execz .LBB12_2070
.LBB12_2066:                            ;   Parent Loop BB12_47 Depth=1
                                        ;     Parent Loop BB12_2009 Depth=2
                                        ; =>    This Inner Loop Header: Depth=3
	s_add_i32 s66, s66, 1
	s_cmpk_lg_i32 s66, 0x2710
	s_cselect_b64 s[62:63], -1, 0
	s_and_b64 vcc, exec, s[62:63]
                                        ; implicit-def: $sgpr64_sgpr65
	s_cbranch_vccnz .LBB12_2068
; %bb.2067:                             ;   in Loop: Header=BB12_2066 Depth=3
	s_trap 2
	ds_read_b64 v[2:3], v0
	s_andn2_b64 s[62:63], s[62:63], exec
	s_mov_b32 s66, 0
	s_mov_b64 s[64:65], -1
	s_waitcnt vmcnt(0) lgkmcnt(0)
	flat_load_dword v2, v[2:3] glc
	s_waitcnt vmcnt(0) lgkmcnt(0)
	buffer_invl2
	buffer_wbinvl1_vol
	v_cmp_eq_u32_e32 vcc, 0, v2
	s_and_b64 vcc, vcc, exec
	s_or_b64 s[62:63], s[62:63], vcc
.LBB12_2068:                            ;   in Loop: Header=BB12_2066 Depth=3
	s_andn2_b64 s[60:61], s[60:61], exec
	s_and_b64 s[64:65], s[64:65], exec
	s_mov_b64 vcc, -1
	s_or_b64 s[60:61], s[60:61], s[64:65]
	s_and_saveexec_b64 s[64:65], s[62:63]
	s_cbranch_execz .LBB12_2065
; %bb.2069:                             ;   in Loop: Header=BB12_2066 Depth=3
	s_sleep 1
	s_trap 2
	ds_read_b64 v[2:3], v0
	v_accvgpr_read_b32 v4, a14
	v_accvgpr_read_b32 v5, a15
	s_andn2_b64 s[60:61], s[60:61], exec
	s_waitcnt lgkmcnt(0)
	v_cmp_ge_u64_e32 vcc, v[2:3], v[4:5]
	s_orn2_b64 vcc, vcc, exec
	s_branch .LBB12_2065
.LBB12_2070:                            ;   in Loop: Header=BB12_2009 Depth=2
	s_or_b64 exec, exec, s[56:57]
	s_and_saveexec_b64 vcc, s[58:59]
	s_xor_b64 vcc, exec, vcc
	s_cbranch_execz .LBB12_2072
; %bb.2071:                             ;   in Loop: Header=BB12_2009 Depth=2
	v_mov_b32_e32 v2, 1
	ds_write_b32 v0, v2
	s_trap 2
.LBB12_2072:                            ;   in Loop: Header=BB12_2009 Depth=2
	s_or_b64 exec, exec, s[54:55]
	;;#ASMSTART
	s_wakeup
	;;#ASMEND
.LBB12_2073:                            ;   in Loop: Header=BB12_2009 Depth=2
	s_or_b64 exec, exec, s[52:53]
.LBB12_2074:                            ;   in Loop: Header=BB12_2009 Depth=2
	s_andn2_saveexec_b64 vcc, s[36:37]
	s_cbranch_execz .LBB12_2076
; %bb.2075:                             ;   in Loop: Header=BB12_2009 Depth=2
	;;#ASMSTART
	s_waitcnt lgkmcnt(0) vmcnt(0)
	;;#ASMEND
	s_barrier
.LBB12_2076:                            ;   in Loop: Header=BB12_2009 Depth=2
	s_or_b64 exec, exec, vcc
.LBB12_2077:                            ;   in Loop: Header=BB12_2009 Depth=2
	s_or_b64 exec, exec, s[28:29]
	v_cmp_ne_u32_e32 vcc, 0, v0
	s_xor_b64 s[28:29], s[12:13], -1
	s_and_b64 vcc, vcc, s[28:29]
	s_and_saveexec_b64 s[28:29], vcc
	s_cbranch_execz .LBB12_2079
; %bb.2078:                             ;   in Loop: Header=BB12_2009 Depth=2
	v_accvgpr_read_b32 v2, a20
	v_accvgpr_read_b32 v3, a21
	v_mov_b32_e32 v0, 1
	flat_store_dword v[2:3], v0
.LBB12_2079:                            ;   in Loop: Header=BB12_2009 Depth=2
	s_or_b64 exec, exec, s[28:29]
	v_and_b32_e32 v0, 48, v29
	v_cmp_ne_u32_e32 vcc, 0, v0
	s_and_saveexec_b64 s[28:29], vcc
	s_cbranch_execz .LBB12_2008
; %bb.2080:                             ;   in Loop: Header=BB12_2009 Depth=2
	v_add_co_u32_e32 v44, vcc, 2, v44
	v_addc_co_u32_e32 v45, vcc, 0, v45, vcc
	flat_store_dwordx2 v[46:47], v[44:45]
	s_branch .LBB12_2008
.LBB12_2081:                            ;   in Loop: Header=BB12_47 Depth=1
	s_or_b64 exec, exec, s[54:55]
	s_or_b64 exec, exec, s[52:53]
	v_cmp_gt_i32_e32 vcc, 2, v0
	s_and_saveexec_b64 s[30:31], vcc
	s_cbranch_execnz .LBB12_2007
.LBB12_2082:                            ;   in Loop: Header=BB12_47 Depth=1
	s_or_b64 exec, exec, s[30:31]
	s_and_b64 vcc, exec, s[26:27]
	s_cbranch_vccz .LBB12_2084
	s_branch .LBB12_2409
.LBB12_2083:                            ;   in Loop: Header=BB12_47 Depth=1
	s_or_b64 exec, exec, s[34:35]
	s_or_b64 exec, exec, s[30:31]
	s_and_b64 vcc, exec, s[26:27]
	s_cbranch_vccnz .LBB12_2409
.LBB12_2084:                            ;   in Loop: Header=BB12_47 Depth=1
	s_mov_b32 s70, 1
.LBB12_2085:                            ;   Parent Loop BB12_47 Depth=1
                                        ; =>  This Loop Header: Depth=2
                                        ;       Child Loop BB12_2088 Depth 3
                                        ;         Child Loop BB12_2096 Depth 4
                                        ;         Child Loop BB12_2124 Depth 4
	;; [unrolled: 1-line block ×9, first 2 shown]
                                        ;           Child Loop BB12_2181 Depth 5
                                        ;           Child Loop BB12_2186 Depth 5
                                        ;         Child Loop BB12_2192 Depth 4
                                        ;         Child Loop BB12_2200 Depth 4
	;; [unrolled: 1-line block ×3, first 2 shown]
                                        ;           Child Loop BB12_2212 Depth 5
                                        ;           Child Loop BB12_2217 Depth 5
                                        ;         Child Loop BB12_2222 Depth 4
                                        ;         Child Loop BB12_2292 Depth 4
	;; [unrolled: 1-line block ×3, first 2 shown]
                                        ;       Child Loop BB12_2333 Depth 3
                                        ;         Child Loop BB12_2339 Depth 4
                                        ;         Child Loop BB12_2367 Depth 4
	;; [unrolled: 1-line block ×3, first 2 shown]
	s_sub_i32 s26, s83, s70
	s_cmp_le_i32 s76, s26
	s_cselect_b32 s27, s76, 0
	s_sub_i32 s26, s26, s27
	v_accvgpr_read_b32 v6, a56
	s_ashr_i32 s27, s26, 31
	v_accvgpr_read_b32 v7, a57
	v_mul_lo_u32 v0, v6, s27
	v_mul_lo_u32 v4, v7, s26
	v_mad_u64_u32 v[2:3], s[26:27], v6, s26, 0
	v_add3_u32 v3, v3, v0, v4
	v_accvgpr_read_b32 v4, a58
	v_accvgpr_read_b32 v5, a59
	v_sub_co_u32_e32 v4, vcc, v4, v2
	v_subb_co_u32_e32 v5, vcc, v5, v3, vcc
	v_cmp_lt_i64_e32 vcc, v[6:7], v[4:5]
	v_cndmask_b32_e32 v0, v4, v6, vcc
	v_max_i32_e32 v10, 0, v0
	v_add_u32_e32 v4, 31, v10
	v_lshrrev_b32_e32 v4, 1, v4
	v_and_b32_e32 v4, 0x3ffffff0, v4
	v_cmp_lt_i32_e32 vcc, 0, v0
	s_waitcnt lgkmcnt(0)
	v_max_i32_e32 v30, s86, v4
	s_and_b64 s[26:27], s[50:51], vcc
	v_mov_b32_e32 v0, 0
	v_mov_b32_e32 v4, 0
	s_and_saveexec_b64 s[34:35], s[26:27]
	s_cbranch_execz .LBB12_2330
; %bb.2086:                             ;   in Loop: Header=BB12_2085 Depth=2
	v_accvgpr_read_b32 v4, a60
	v_accvgpr_read_b32 v5, a61
	v_add_co_u32_e32 v2, vcc, v2, v4
	v_addc_co_u32_e32 v3, vcc, v3, v5, vcc
	v_lshlrev_b64 v[2:3], 1, v[2:3]
	v_accvgpr_write_b32 a9, v3
	s_mov_b32 s71, 1
	s_mov_b64 s[52:53], -1
	s_mov_b64 s[36:37], 0
	v_mov_b32_e32 v4, 0
	v_accvgpr_write_b32 a8, v2
	s_branch .LBB12_2088
.LBB12_2087:                            ;   in Loop: Header=BB12_2088 Depth=3
	s_or_b64 exec, exec, s[26:27]
	v_add_u32_e32 v4, v30, v4
	v_cmp_ge_i32_e32 vcc, v4, v10
	s_xor_b64 s[26:27], s[52:53], -1
	s_or_b64 s[26:27], s[26:27], vcc
	s_and_b64 s[26:27], exec, s[26:27]
	s_or_b64 s[36:37], s[26:27], s[36:37]
	s_mov_b64 s[52:53], 0
	v_mov_b32_e32 v0, s71
	s_mov_b32 s71, 2
	s_andn2_b64 exec, exec, s[36:37]
	s_cbranch_execz .LBB12_2405
.LBB12_2088:                            ;   Parent Loop BB12_47 Depth=1
                                        ;     Parent Loop BB12_2085 Depth=2
                                        ; =>    This Loop Header: Depth=3
                                        ;         Child Loop BB12_2096 Depth 4
                                        ;         Child Loop BB12_2124 Depth 4
	;; [unrolled: 1-line block ×9, first 2 shown]
                                        ;           Child Loop BB12_2181 Depth 5
                                        ;           Child Loop BB12_2186 Depth 5
                                        ;         Child Loop BB12_2192 Depth 4
                                        ;         Child Loop BB12_2200 Depth 4
	;; [unrolled: 1-line block ×3, first 2 shown]
                                        ;           Child Loop BB12_2212 Depth 5
                                        ;           Child Loop BB12_2217 Depth 5
                                        ;         Child Loop BB12_2222 Depth 4
                                        ;         Child Loop BB12_2292 Depth 4
	;; [unrolled: 1-line block ×3, first 2 shown]
	s_and_saveexec_b64 s[26:27], s[4:5]
	s_cbranch_execz .LBB12_2090
; %bb.2089:                             ;   in Loop: Header=BB12_2088 Depth=3
	s_trap 2
	ds_read_b128 v[6:9], v0
	v_accvgpr_read_b32 v13, a9
	v_accvgpr_read_b32 v12, a8
	v_ashrrev_i32_e32 v5, 31, v4
	v_lshlrev_b64 v[2:3], 1, v[4:5]
	s_waitcnt lgkmcnt(0)
	v_add_co_u32_e32 v0, vcc, v6, v12
	v_addc_co_u32_e32 v7, vcc, v7, v13, vcc
	v_add_co_u32_e32 v6, vcc, v0, v2
	v_addc_co_u32_e32 v7, vcc, v7, v3, vcc
	ds_write_b64 v0, v[6:7]
	v_add_co_u32_e32 v0, vcc, v8, v12
	v_addc_co_u32_e32 v5, vcc, v9, v13, vcc
	v_add_co_u32_e32 v0, vcc, v0, v2
	v_addc_co_u32_e32 v2, vcc, v5, v3, vcc
	v_cmp_ne_u64_e32 vcc, 0, v[8:9]
	v_cndmask_b32_e32 v3, 0, v2, vcc
	v_cndmask_b32_e32 v2, 0, v0, vcc
	ds_write_b64 v0, v[2:3]
.LBB12_2090:                            ;   in Loop: Header=BB12_2088 Depth=3
	s_or_b64 exec, exec, s[26:27]
	v_and_b32_e32 v0, 12, v29
	v_cmp_ne_u32_e32 vcc, 0, v0
	s_mov_b64 s[28:29], -1
	s_and_saveexec_b64 s[26:27], vcc
	s_cbranch_execz .LBB12_2102
; %bb.2091:                             ;   in Loop: Header=BB12_2088 Depth=3
	v_and_b32_e32 v0, 8, v29
	v_add_co_u32_e32 v6, vcc, v60, v0
	v_addc_co_u32_e32 v7, vcc, 0, v61, vcc
	v_add_co_u32_e32 v2, vcc, 2, v44
	v_addc_co_u32_e32 v3, vcc, 0, v45, vcc
	v_cmp_lt_u64_e32 vcc, v[6:7], v[2:3]
	v_mov_b32_e32 v5, 1
	s_and_saveexec_b64 s[28:29], vcc
	s_cbranch_execz .LBB12_2101
; %bb.2092:                             ;   in Loop: Header=BB12_2088 Depth=3
	s_mov_b64 s[30:31], 0
	v_mov_b32_e32 v5, 0
                                        ; implicit-def: $sgpr54_sgpr55
	s_branch .LBB12_2096
.LBB12_2093:                            ;   in Loop: Header=BB12_2096 Depth=4
	s_or_b64 exec, exec, s[62:63]
	v_mov_b32_e32 v6, 0
	s_orn2_b64 s[60:61], s[60:61], exec
.LBB12_2094:                            ;   in Loop: Header=BB12_2096 Depth=4
	s_or_b64 exec, exec, s[58:59]
	s_andn2_b64 vcc, s[54:55], exec
	s_and_b64 s[54:55], s[60:61], exec
	s_or_b64 s[54:55], vcc, s[54:55]
	v_mov_b32_e32 v5, v6
.LBB12_2095:                            ;   in Loop: Header=BB12_2096 Depth=4
	s_or_b64 exec, exec, s[56:57]
	s_waitcnt vmcnt(0) lgkmcnt(0)
	v_add_co_u32_e32 v6, vcc, v60, v0
	v_addc_co_u32_e32 v7, vcc, 0, v61, vcc
	v_cmp_ge_u64_e32 vcc, v[6:7], v[2:3]
	s_xor_b64 s[56:57], s[54:55], -1
	s_or_b64 vcc, s[56:57], vcc
	s_and_b64 vcc, exec, vcc
	s_or_b64 s[30:31], vcc, s[30:31]
	s_andn2_b64 exec, exec, s[30:31]
	s_cbranch_execz .LBB12_2100
.LBB12_2096:                            ;   Parent Loop BB12_47 Depth=1
                                        ;     Parent Loop BB12_2085 Depth=2
                                        ;       Parent Loop BB12_2088 Depth=3
                                        ; =>      This Inner Loop Header: Depth=4
	s_sleep 1
	flat_load_dwordx2 v[60:61], v[46:47] glc
	v_and_b32_e32 v6, 64, v29
	v_cmp_eq_u32_e32 vcc, 0, v6
	s_andn2_b64 s[54:55], s[54:55], exec
	s_and_saveexec_b64 s[56:57], vcc
	s_cbranch_execz .LBB12_2095
; %bb.2097:                             ;   in Loop: Header=BB12_2096 Depth=4
	v_add_u32_e32 v6, 1, v5
	v_cmp_lt_i32_e32 vcc, s90, v5
	s_mov_b64 s[60:61], -1
	s_and_saveexec_b64 s[58:59], vcc
	s_cbranch_execz .LBB12_2094
; %bb.2098:                             ;   in Loop: Header=BB12_2096 Depth=4
	s_trap 2
	ds_read_b64 v[6:7], v0
	s_waitcnt vmcnt(0) lgkmcnt(0)
	flat_load_dword v5, v[6:7] glc
	s_waitcnt vmcnt(0) lgkmcnt(0)
	buffer_invl2
	buffer_wbinvl1_vol
	v_cmp_ne_u32_e32 vcc, 0, v5
	s_and_saveexec_b64 s[62:63], vcc
	s_cbranch_execz .LBB12_2093
; %bb.2099:                             ;   in Loop: Header=BB12_2096 Depth=4
	v_or_b32_e32 v29, 64, v29
	s_xor_b64 s[60:61], exec, -1
	ds_write_b32 v0, v5
	s_trap 2
	s_branch .LBB12_2093
.LBB12_2100:                            ;   in Loop: Header=BB12_2088 Depth=3
	s_or_b64 exec, exec, s[30:31]
	v_and_b32_e32 v5, 12, v29
.LBB12_2101:                            ;   in Loop: Header=BB12_2088 Depth=3
	s_or_b64 exec, exec, s[28:29]
	v_cmp_eq_u32_e32 vcc, 0, v5
	s_orn2_b64 s[28:29], vcc, exec
	;;#ASMSTART
	s_wakeup
	;;#ASMEND
.LBB12_2102:                            ;   in Loop: Header=BB12_2088 Depth=3
	s_or_b64 exec, exec, s[26:27]
	v_sub_u32_e32 v0, v10, v4
	s_xor_b64 s[26:27], s[28:29], -1
	v_min_i32_e32 v30, v30, v0
	s_and_saveexec_b64 s[28:29], s[26:27]
	s_cbranch_execz .LBB12_2116
; %bb.2103:                             ;   in Loop: Header=BB12_2088 Depth=3
	v_and_b32_e32 v0, 0x108, v29
	v_cmp_ne_u32_e32 vcc, s91, v0
	v_and_b32_e32 v0, 7, v44
	s_and_saveexec_b64 s[26:27], vcc
	s_xor_b64 s[26:27], exec, s[26:27]
                                        ; implicit-def: $vgpr2_vgpr3
; %bb.2104:                             ;   in Loop: Header=BB12_2088 Depth=3
	v_mov_b32_e32 v3, v42
; %bb.2105:                             ;   in Loop: Header=BB12_2088 Depth=3
	s_andn2_saveexec_b64 s[26:27], s[26:27]
	s_cbranch_execz .LBB12_2107
; %bb.2106:                             ;   in Loop: Header=BB12_2088 Depth=3
	v_accvgpr_read_b32 v6, a12
	v_accvgpr_read_b32 v7, a13
	v_ashrrev_i32_e32 v31, 31, v30
	v_mov_b32_e32 v3, v42
	v_mad_u64_u32 v[6:7], vcc, v0, 24, v[6:7]
	v_lshlrev_b64 v[8:9], 1, v[30:31]
	flat_store_dwordx2 v[6:7], v[8:9] offset:8
.LBB12_2107:                            ;   in Loop: Header=BB12_2088 Depth=3
	s_or_b64 exec, exec, s[26:27]
	v_and_b32_e32 v2, 0x100, v29
	v_cmp_ne_u32_e32 vcc, 0, v2
	s_mov_b64 s[26:27], -1
                                        ; implicit-def: $vgpr6_vgpr7
	s_and_saveexec_b64 s[30:31], vcc
	s_cbranch_execz .LBB12_2111
; %bb.2108:                             ;   in Loop: Header=BB12_2088 Depth=3
	v_accvgpr_read_b32 v6, a12
	v_accvgpr_read_b32 v7, a13
	v_mad_u64_u32 v[8:9], s[26:27], v0, 24, v[6:7]
	v_mov_b32_e32 v2, v9
	v_mad_u64_u32 v[6:7], s[26:27], v3, 24, v[2:3]
	v_mov_b32_e32 v9, v6
	flat_load_dword v2, v[8:9]
                                        ; implicit-def: $vgpr6_vgpr7
	s_waitcnt vmcnt(0) lgkmcnt(0)
	v_cmp_ne_u32_e32 vcc, 1, v2
	v_cmp_eq_u32_e64 s[26:27], 1, v2
	s_and_saveexec_b64 s[54:55], s[26:27]
	s_cbranch_execz .LBB12_2110
; %bb.2109:                             ;   in Loop: Header=BB12_2088 Depth=3
	flat_load_dword v6, v[8:9] offset:4 glc
	s_waitcnt vmcnt(0) lgkmcnt(0)
	v_ashrrev_i32_e32 v7, 31, v6
	v_lshrrev_b64 v[6:7], 1, v[6:7]
.LBB12_2110:                            ;   in Loop: Header=BB12_2088 Depth=3
	s_or_b64 exec, exec, s[54:55]
	s_orn2_b64 s[26:27], vcc, exec
.LBB12_2111:                            ;   in Loop: Header=BB12_2088 Depth=3
	s_or_b64 exec, exec, s[30:31]
	s_and_saveexec_b64 vcc, s[26:27]
; %bb.2112:                             ;   in Loop: Header=BB12_2088 Depth=3
	v_accvgpr_read_b32 v6, a16
	v_mul_lo_u32 v2, v3, v6
	v_accvgpr_read_b32 v3, a3
	v_mul_lo_u32 v3, v0, v3
	v_mad_u64_u32 v[6:7], s[26:27], v0, v6, 0
	v_add3_u32 v7, v7, v3, v2
; %bb.2113:                             ;   in Loop: Header=BB12_2088 Depth=3
	s_or_b64 exec, exec, vcc
	v_lshlrev_b64 v[2:3], 1, v[6:7]
	v_accvgpr_read_b32 v6, a18
	v_accvgpr_read_b32 v7, a19
	v_add_co_u32_e32 v2, vcc, v6, v2
	v_addc_co_u32_e32 v3, vcc, v7, v3, vcc
	s_trap 2
	ds_write_b64 v0, v[2:3]
	v_and_b32_e32 v0, 0x2000, v29
	v_cmp_ne_u32_e32 vcc, 0, v0
	s_and_saveexec_b64 s[26:27], vcc
	s_cbranch_execz .LBB12_2115
; %bb.2114:                             ;   in Loop: Header=BB12_2088 Depth=3
	ds_read_b64 v[2:3], v0 offset:584
	s_waitcnt lgkmcnt(0)
	v_add_co_u32_e32 v2, vcc, 1, v2
	v_addc_co_u32_e32 v3, vcc, 0, v3, vcc
	ds_write_b64 v0, v[2:3] offset:584
.LBB12_2115:                            ;   in Loop: Header=BB12_2088 Depth=3
	s_or_b64 exec, exec, s[26:27]
	v_add_co_u32_e32 v44, vcc, 2, v44
	v_addc_co_u32_e32 v45, vcc, 0, v45, vcc
.LBB12_2116:                            ;   in Loop: Header=BB12_2088 Depth=3
	s_or_b64 exec, exec, s[28:29]
	s_and_saveexec_b64 s[26:27], s[10:11]
	s_cbranch_execz .LBB12_2135
; %bb.2117:                             ;   in Loop: Header=BB12_2088 Depth=3
	s_and_saveexec_b64 s[28:29], s[44:45]
	s_xor_b64 s[28:29], exec, s[28:29]
	s_cbranch_execz .LBB12_2132
; %bb.2118:                             ;   in Loop: Header=BB12_2088 Depth=3
	s_and_saveexec_b64 s[30:31], s[16:17]
	s_cbranch_execz .LBB12_2131
; %bb.2119:                             ;   in Loop: Header=BB12_2088 Depth=3
	s_mov_b64 s[56:57], exec
	v_mbcnt_lo_u32_b32 v0, s56, 0
	v_mbcnt_hi_u32_b32 v0, s57, v0
	v_cmp_eq_u32_e32 vcc, 0, v0
	s_waitcnt vmcnt(0) lgkmcnt(0)
	buffer_wbinvl1_vol
	s_and_saveexec_b64 s[54:55], vcc
	s_cbranch_execz .LBB12_2121
; %bb.2120:                             ;   in Loop: Header=BB12_2088 Depth=3
	s_bcnt1_i32_b64 vcc_lo, s[56:57]
	v_mov_b32_e32 v2, vcc_lo
	v_mov_b32_e32 v3, v42
	ds_add_u64 v0, v[2:3]
	s_trap 2
.LBB12_2121:                            ;   in Loop: Header=BB12_2088 Depth=3
	s_or_b64 exec, exec, s[54:55]
	s_trap 2
	ds_read_b64 v[2:3], v0
	v_accvgpr_read_b32 v6, a14
	v_accvgpr_read_b32 v0, a22
	;; [unrolled: 1-line block ×3, first 2 shown]
	v_add_co_u32_e32 v6, vcc, v6, v0
	v_addc_co_u32_e32 v7, vcc, 0, v7, vcc
	v_accvgpr_write_b32 a15, v7
	v_accvgpr_write_b32 a14, v6
	s_waitcnt lgkmcnt(0)
	v_cmp_lt_u64_e32 vcc, v[2:3], v[6:7]
	s_and_saveexec_b64 s[54:55], vcc
	s_cbranch_execz .LBB12_2130
; %bb.2122:                             ;   in Loop: Header=BB12_2088 Depth=3
	s_mov_b32 s66, 0
	s_mov_b64 s[56:57], 0
                                        ; implicit-def: $sgpr58_sgpr59
                                        ; implicit-def: $sgpr60_sgpr61
	s_branch .LBB12_2124
.LBB12_2123:                            ;   in Loop: Header=BB12_2124 Depth=4
	s_or_b64 exec, exec, s[64:65]
	s_and_b64 vcc, exec, vcc
	s_or_b64 s[56:57], vcc, s[56:57]
	s_andn2_b64 vcc, s[58:59], exec
	s_and_b64 s[58:59], s[60:61], exec
	s_or_b64 s[58:59], vcc, s[58:59]
	s_andn2_b64 exec, exec, s[56:57]
	s_cbranch_execz .LBB12_2128
.LBB12_2124:                            ;   Parent Loop BB12_47 Depth=1
                                        ;     Parent Loop BB12_2085 Depth=2
                                        ;       Parent Loop BB12_2088 Depth=3
                                        ; =>      This Inner Loop Header: Depth=4
	s_add_i32 s66, s66, 1
	s_cmpk_lg_i32 s66, 0x2710
	s_cselect_b64 s[62:63], -1, 0
	s_and_b64 vcc, exec, s[62:63]
                                        ; implicit-def: $sgpr64_sgpr65
	s_cbranch_vccnz .LBB12_2126
; %bb.2125:                             ;   in Loop: Header=BB12_2124 Depth=4
	s_trap 2
	ds_read_b64 v[2:3], v0
	s_andn2_b64 s[62:63], s[62:63], exec
	s_mov_b32 s66, 0
	s_mov_b64 s[64:65], -1
	s_waitcnt lgkmcnt(0)
	flat_load_dword v0, v[2:3] glc
	s_waitcnt vmcnt(0) lgkmcnt(0)
	buffer_invl2
	buffer_wbinvl1_vol
	v_cmp_eq_u32_e32 vcc, 0, v0
	s_and_b64 vcc, vcc, exec
	s_or_b64 s[62:63], s[62:63], vcc
.LBB12_2126:                            ;   in Loop: Header=BB12_2124 Depth=4
	s_andn2_b64 s[60:61], s[60:61], exec
	s_and_b64 s[64:65], s[64:65], exec
	s_mov_b64 vcc, -1
	s_or_b64 s[60:61], s[60:61], s[64:65]
	s_and_saveexec_b64 s[64:65], s[62:63]
	s_cbranch_execz .LBB12_2123
; %bb.2127:                             ;   in Loop: Header=BB12_2124 Depth=4
	s_sleep 1
	s_trap 2
	ds_read_b64 v[2:3], v0
	v_accvgpr_read_b32 v6, a14
	v_accvgpr_read_b32 v7, a15
	s_andn2_b64 s[60:61], s[60:61], exec
	s_waitcnt lgkmcnt(0)
	v_cmp_ge_u64_e32 vcc, v[2:3], v[6:7]
	s_orn2_b64 vcc, vcc, exec
	s_branch .LBB12_2123
.LBB12_2128:                            ;   in Loop: Header=BB12_2088 Depth=3
	s_or_b64 exec, exec, s[56:57]
	s_and_saveexec_b64 vcc, s[58:59]
	s_xor_b64 vcc, exec, vcc
	s_cbranch_execz .LBB12_2130
; %bb.2129:                             ;   in Loop: Header=BB12_2088 Depth=3
	v_mov_b32_e32 v0, 1
	ds_write_b32 v0, v0
	s_trap 2
.LBB12_2130:                            ;   in Loop: Header=BB12_2088 Depth=3
	s_or_b64 exec, exec, s[54:55]
	;;#ASMSTART
	s_wakeup
	;;#ASMEND
.LBB12_2131:                            ;   in Loop: Header=BB12_2088 Depth=3
	s_or_b64 exec, exec, s[30:31]
.LBB12_2132:                            ;   in Loop: Header=BB12_2088 Depth=3
	s_andn2_saveexec_b64 s[28:29], s[28:29]
	s_cbranch_execz .LBB12_2134
; %bb.2133:                             ;   in Loop: Header=BB12_2088 Depth=3
	s_waitcnt vmcnt(0) lgkmcnt(0)
	buffer_wbinvl1_vol
	s_barrier
.LBB12_2134:                            ;   in Loop: Header=BB12_2088 Depth=3
	s_or_b64 exec, exec, s[28:29]
.LBB12_2135:                            ;   in Loop: Header=BB12_2088 Depth=3
	s_or_b64 exec, exec, s[26:27]
	s_trap 2
	ds_read_b32 v0, v0
	v_and_b32_e32 v2, 0x4000, v29
	v_cmp_ne_u32_e32 vcc, 0, v2
	s_xor_b64 s[26:27], s[6:7], -1
	s_and_b64 s[28:29], s[26:27], vcc
	s_and_saveexec_b64 s[26:27], s[28:29]
	s_cbranch_execz .LBB12_2154
; %bb.2136:                             ;   in Loop: Header=BB12_2088 Depth=3
	s_and_saveexec_b64 s[28:29], s[44:45]
	s_xor_b64 s[28:29], exec, s[28:29]
	s_cbranch_execz .LBB12_2151
; %bb.2137:                             ;   in Loop: Header=BB12_2088 Depth=3
	s_and_saveexec_b64 s[30:31], s[16:17]
	s_cbranch_execz .LBB12_2150
; %bb.2138:                             ;   in Loop: Header=BB12_2088 Depth=3
	s_mov_b64 s[56:57], exec
	v_mbcnt_lo_u32_b32 v2, s56, 0
	v_mbcnt_hi_u32_b32 v2, s57, v2
	v_cmp_eq_u32_e32 vcc, 0, v2
	s_waitcnt vmcnt(0) lgkmcnt(0)
	buffer_wbinvl1_vol
	s_and_saveexec_b64 s[54:55], vcc
	s_cbranch_execz .LBB12_2140
; %bb.2139:                             ;   in Loop: Header=BB12_2088 Depth=3
	s_bcnt1_i32_b64 vcc_lo, s[56:57]
	v_mov_b32_e32 v2, vcc_lo
	v_mov_b32_e32 v3, v42
	ds_add_u64 v0, v[2:3]
	s_trap 2
.LBB12_2140:                            ;   in Loop: Header=BB12_2088 Depth=3
	s_or_b64 exec, exec, s[54:55]
	s_trap 2
	ds_read_b64 v[2:3], v0
	v_accvgpr_read_b32 v6, a14
	v_accvgpr_read_b32 v8, a22
	;; [unrolled: 1-line block ×3, first 2 shown]
	v_add_co_u32_e32 v6, vcc, v6, v8
	v_addc_co_u32_e32 v7, vcc, 0, v7, vcc
	v_accvgpr_write_b32 a15, v7
	v_accvgpr_write_b32 a14, v6
	s_waitcnt lgkmcnt(0)
	v_cmp_lt_u64_e32 vcc, v[2:3], v[6:7]
	s_and_saveexec_b64 s[54:55], vcc
	s_cbranch_execz .LBB12_2149
; %bb.2141:                             ;   in Loop: Header=BB12_2088 Depth=3
	s_mov_b32 s66, 0
	s_mov_b64 s[56:57], 0
                                        ; implicit-def: $sgpr58_sgpr59
                                        ; implicit-def: $sgpr60_sgpr61
	s_branch .LBB12_2143
.LBB12_2142:                            ;   in Loop: Header=BB12_2143 Depth=4
	s_or_b64 exec, exec, s[64:65]
	s_and_b64 vcc, exec, vcc
	s_or_b64 s[56:57], vcc, s[56:57]
	s_andn2_b64 vcc, s[58:59], exec
	s_and_b64 s[58:59], s[60:61], exec
	s_or_b64 s[58:59], vcc, s[58:59]
	s_andn2_b64 exec, exec, s[56:57]
	s_cbranch_execz .LBB12_2147
.LBB12_2143:                            ;   Parent Loop BB12_47 Depth=1
                                        ;     Parent Loop BB12_2085 Depth=2
                                        ;       Parent Loop BB12_2088 Depth=3
                                        ; =>      This Inner Loop Header: Depth=4
	s_add_i32 s66, s66, 1
	s_cmpk_lg_i32 s66, 0x2710
	s_cselect_b64 s[62:63], -1, 0
	s_and_b64 vcc, exec, s[62:63]
                                        ; implicit-def: $sgpr64_sgpr65
	s_cbranch_vccnz .LBB12_2145
; %bb.2144:                             ;   in Loop: Header=BB12_2143 Depth=4
	s_trap 2
	ds_read_b64 v[2:3], v0
	s_andn2_b64 s[62:63], s[62:63], exec
	s_mov_b32 s66, 0
	s_mov_b64 s[64:65], -1
	s_waitcnt lgkmcnt(0)
	flat_load_dword v2, v[2:3] glc
	s_waitcnt vmcnt(0) lgkmcnt(0)
	buffer_invl2
	buffer_wbinvl1_vol
	v_cmp_eq_u32_e32 vcc, 0, v2
	s_and_b64 vcc, vcc, exec
	s_or_b64 s[62:63], s[62:63], vcc
.LBB12_2145:                            ;   in Loop: Header=BB12_2143 Depth=4
	s_andn2_b64 s[60:61], s[60:61], exec
	s_and_b64 s[64:65], s[64:65], exec
	s_mov_b64 vcc, -1
	s_or_b64 s[60:61], s[60:61], s[64:65]
	s_and_saveexec_b64 s[64:65], s[62:63]
	s_cbranch_execz .LBB12_2142
; %bb.2146:                             ;   in Loop: Header=BB12_2143 Depth=4
	s_sleep 1
	s_trap 2
	ds_read_b64 v[2:3], v0
	v_accvgpr_read_b32 v6, a14
	v_accvgpr_read_b32 v7, a15
	s_andn2_b64 s[60:61], s[60:61], exec
	s_waitcnt lgkmcnt(0)
	v_cmp_ge_u64_e32 vcc, v[2:3], v[6:7]
	s_orn2_b64 vcc, vcc, exec
	s_branch .LBB12_2142
.LBB12_2147:                            ;   in Loop: Header=BB12_2088 Depth=3
	s_or_b64 exec, exec, s[56:57]
	s_and_saveexec_b64 vcc, s[58:59]
	s_xor_b64 vcc, exec, vcc
	s_cbranch_execz .LBB12_2149
; %bb.2148:                             ;   in Loop: Header=BB12_2088 Depth=3
	v_mov_b32_e32 v2, 1
	ds_write_b32 v0, v2
	s_trap 2
.LBB12_2149:                            ;   in Loop: Header=BB12_2088 Depth=3
	s_or_b64 exec, exec, s[54:55]
	;;#ASMSTART
	s_wakeup
	;;#ASMEND
.LBB12_2150:                            ;   in Loop: Header=BB12_2088 Depth=3
	s_or_b64 exec, exec, s[30:31]
.LBB12_2151:                            ;   in Loop: Header=BB12_2088 Depth=3
	s_andn2_saveexec_b64 s[28:29], s[28:29]
	s_cbranch_execz .LBB12_2153
; %bb.2152:                             ;   in Loop: Header=BB12_2088 Depth=3
	s_waitcnt vmcnt(0) lgkmcnt(0)
	buffer_wbinvl1_vol
	s_barrier
.LBB12_2153:                            ;   in Loop: Header=BB12_2088 Depth=3
	s_or_b64 exec, exec, s[28:29]
.LBB12_2154:                            ;   in Loop: Header=BB12_2088 Depth=3
	s_or_b64 exec, exec, s[26:27]
	s_trap 2
	s_waitcnt lgkmcnt(0)
	ds_read_b64 v[2:3], v0
	v_mov_b32_e32 v31, 0
	s_waitcnt lgkmcnt(0)
	v_readfirstlane_b32 s26, v2
	v_readfirstlane_b32 s27, v3
	s_cmp_eq_u64 s[26:27], 0
	s_cselect_b64 s[26:27], -1, 0
	s_or_b64 s[26:27], s[26:27], s[26:27]
	s_and_b64 vcc, exec, s[26:27]
	s_cbranch_vccnz .LBB12_2284
; %bb.2155:                             ;   in Loop: Header=BB12_2088 Depth=3
	s_trap 2
	ds_read_b64 v[2:3], v0
	v_cmp_eq_u32_e32 vcc, 0, v0
	v_cndmask_b32_e32 v31, 0, v30, vcc
	v_accvgpr_write_b32 a0, v10
	v_lshlrev_b32_e32 v43, 1, v31
	s_waitcnt lgkmcnt(0)
	v_cmp_ne_u64_e32 vcc, 0, v[2:3]
	s_cbranch_vccz .LBB12_2169
; %bb.2156:                             ;   in Loop: Header=BB12_2088 Depth=3
	s_mov_b64 s[28:29], -1
	s_and_saveexec_b64 s[26:27], s[20:21]
	s_cbranch_execz .LBB12_2158
; %bb.2157:                             ;   in Loop: Header=BB12_2088 Depth=3
	ds_read_b32 v0, v0 offset:720
	s_waitcnt lgkmcnt(0)
	v_and_b32_e32 v0, 15, v0
	v_cmp_eq_u32_e32 vcc, 0, v0
	s_orn2_b64 s[28:29], vcc, exec
.LBB12_2158:                            ;   in Loop: Header=BB12_2088 Depth=3
	s_or_b64 exec, exec, s[26:27]
	s_and_saveexec_b64 s[26:27], s[22:23]
	s_cbranch_execz .LBB12_2160
; %bb.2159:                             ;   in Loop: Header=BB12_2088 Depth=3
	ds_read_b32 v0, v0 offset:784
	s_waitcnt lgkmcnt(0)
	v_and_b32_e32 v0, 15, v0
	v_cmp_eq_u32_e32 vcc, 0, v0
	s_and_b64 vcc, s[28:29], vcc
	s_andn2_b64 s[28:29], s[28:29], exec
	s_and_b64 vcc, vcc, exec
	s_or_b64 s[28:29], s[28:29], vcc
.LBB12_2160:                            ;   in Loop: Header=BB12_2088 Depth=3
	s_or_b64 exec, exec, s[26:27]
	s_xor_b64 s[28:29], s[28:29], -1
	v_cndmask_b32_e64 v0, 0, 1, s[28:29]
	s_mov_b64 s[26:27], -1
	;;#ASMSTART
	;;#ASMEND
	v_cmp_ne_u32_e32 vcc, 0, v0
	s_cbranch_vccz .LBB12_2170
; %bb.2161:                             ;   in Loop: Header=BB12_2088 Depth=3
	s_trap 2
	ds_read_b128 v[8:11], v0
	s_mov_b64 s[54:55], -1
	s_mov_b32 s28, 0
	s_cbranch_execnz .LBB12_2171
.LBB12_2162:                            ;   in Loop: Header=BB12_2088 Depth=3
	v_ashrrev_i32_e32 v0, 31, v43
	v_lshrrev_b32_e32 v0, 20, v0
	s_trap 2
	s_waitcnt lgkmcnt(0)
	ds_read_b128 v[8:11], v0
	v_add_u32_e32 v0, v43, v0
	v_ashrrev_i32_e32 v0, 12, v0
	v_accvgpr_read_b32 v2, a31
	v_sub_u32_e32 v5, v0, v2
	v_accvgpr_read_b32 v2, a42
	s_waitcnt lgkmcnt(0)
	v_add_co_u32_e32 v6, vcc, v8, v2
	v_accvgpr_read_b32 v3, a43
	v_addc_co_u32_e32 v7, vcc, v9, v3, vcc
	v_add_co_u32_e32 v2, vcc, v10, v2
	v_addc_co_u32_e32 v3, vcc, v11, v3, vcc
	v_cmp_lt_i32_e32 vcc, 0, v5
	s_mov_b64 s[28:29], 0
                                        ; implicit-def: $vgpr12_vgpr13
                                        ; implicit-def: $vgpr16_vgpr17
                                        ; implicit-def: $vgpr20_vgpr21
                                        ; implicit-def: $vgpr24_vgpr25
	s_and_saveexec_b64 s[26:27], vcc
	s_cbranch_execz .LBB12_2173
; %bb.2163:                             ;   in Loop: Header=BB12_2088 Depth=3
	s_trap 2
	ds_read_b64 v[12:13], v0
	v_accvgpr_read_b32 v14, a42
	v_accvgpr_read_b32 v15, a43
	s_mov_b64 s[56:57], 0
                                        ; implicit-def: $sgpr30_sgpr31
                                        ; implicit-def: $vgpr16_vgpr17
                                        ; implicit-def: $vgpr20_vgpr21
                                        ; implicit-def: $vgpr24_vgpr25
	s_waitcnt lgkmcnt(0)
	v_add_co_u32_e32 v56, vcc, v12, v14
	v_addc_co_u32_e32 v57, vcc, v13, v15, vcc
                                        ; implicit-def: $vgpr12_vgpr13
	s_branch .LBB12_2165
.LBB12_2164:                            ;   in Loop: Header=BB12_2165 Depth=4
	s_or_b64 exec, exec, s[58:59]
	s_waitcnt vmcnt(0)
	global_store_dwordx4 v[6:7], v[32:35], off glc slc
	global_store_dwordx4 v[6:7], v[36:39], off offset:1024 glc slc
	global_store_dwordx4 v[6:7], v[48:51], off offset:2048 glc slc
	global_store_dwordx4 v[6:7], v[52:55], off offset:3072 glc slc
	v_add_co_u32_e32 v6, vcc, s78, v6
	v_addc_co_u32_e32 v7, vcc, 0, v7, vcc
	global_store_dwordx4 v[2:3], v[32:35], off glc slc
	global_store_dwordx4 v[2:3], v[36:39], off offset:1024 glc slc
	global_store_dwordx4 v[2:3], v[48:51], off offset:2048 glc slc
	;; [unrolled: 1-line block ×3, first 2 shown]
	v_add_co_u32_e32 v2, vcc, s78, v2
	v_accvgpr_read_b32 v35, a27
	v_addc_co_u32_e32 v3, vcc, 0, v3, vcc
	v_accvgpr_read_b32 v34, a26
	v_add_co_u32_e32 v32, vcc, v6, v34
	v_addc_co_u32_e32 v33, vcc, v7, v35, vcc
	v_add_co_u32_e32 v34, vcc, v2, v34
	v_addc_co_u32_e32 v35, vcc, v3, v35, vcc
	;; [unrolled: 2-line block ×3, first 2 shown]
	v_sub_u32_e32 v5, v5, v28
	v_cmp_gt_i32_e32 vcc, 1, v5
	s_or_b64 s[28:29], vcc, s[28:29]
	s_andn2_b64 vcc, s[30:31], exec
	s_and_b64 s[30:31], s[56:57], exec
	v_cndmask_b32_e64 v7, v7, v33, s[56:57]
	v_cndmask_b32_e64 v6, v6, v32, s[56:57]
	v_cndmask_b32_e64 v3, v3, v35, s[56:57]
	v_cndmask_b32_e64 v2, v2, v34, s[56:57]
	s_or_b64 s[30:31], vcc, s[30:31]
	s_andn2_b64 exec, exec, s[28:29]
	s_cbranch_execz .LBB12_2172
.LBB12_2165:                            ;   Parent Loop BB12_47 Depth=1
                                        ;     Parent Loop BB12_2085 Depth=2
                                        ;       Parent Loop BB12_2088 Depth=3
                                        ; =>      This Inner Loop Header: Depth=4
	global_load_dwordx4 v[32:35], v[56:57], off glc slc
	global_load_dwordx4 v[36:39], v[56:57], off offset:1024 glc slc
	global_load_dwordx4 v[48:51], v[56:57], off offset:2048 glc slc
	;; [unrolled: 1-line block ×3, first 2 shown]
	s_and_saveexec_b64 s[58:59], s[56:57]
	s_cbranch_execz .LBB12_2167
; %bb.2166:                             ;   in Loop: Header=BB12_2165 Depth=4
	v_accvgpr_read_b32 v28, a33
	global_store_dwordx4 v[6:7], v[12:15], off glc slc
	global_store_dwordx4 v[6:7], v[16:19], off offset:1024 glc slc
	global_store_dwordx4 v[6:7], v[20:23], off offset:2048 glc slc
	;; [unrolled: 1-line block ×3, first 2 shown]
	global_store_dwordx4 v[2:3], v[12:15], off glc slc
	global_store_dwordx4 v[2:3], v[16:19], off offset:1024 glc slc
	global_store_dwordx4 v[2:3], v[20:23], off offset:2048 glc slc
	;; [unrolled: 1-line block ×3, first 2 shown]
	v_add_co_u32_e32 v6, vcc, v6, v28
	v_accvgpr_read_b32 v40, a34
	v_addc_co_u32_e32 v7, vcc, v7, v40, vcc
	v_add_co_u32_e32 v2, vcc, v2, v28
	v_addc_co_u32_e32 v3, vcc, v3, v40, vcc
.LBB12_2167:                            ;   in Loop: Header=BB12_2165 Depth=4
	s_or_b64 exec, exec, s[58:59]
	v_accvgpr_read_b32 v28, a33
	v_add_co_u32_e32 v56, vcc, v56, v28
	v_accvgpr_read_b32 v28, a34
	v_addc_co_u32_e32 v57, vcc, v57, v28, vcc
	v_accvgpr_read_b32 v28, a22
	v_sub_u32_e32 v5, v5, v28
	v_cmp_lt_i32_e64 s[56:57], 0, v5
	v_mov_b32_e32 v28, 0
	v_pk_mov_b32 v[58:59], 0, 0
	s_and_saveexec_b64 s[58:59], s[56:57]
	s_cbranch_execz .LBB12_2164
; %bb.2168:                             ;   in Loop: Header=BB12_2165 Depth=4
	global_load_dwordx4 v[12:15], v[56:57], off glc slc
	global_load_dwordx4 v[16:19], v[56:57], off offset:1024 glc slc
	global_load_dwordx4 v[20:23], v[56:57], off offset:2048 glc slc
	;; [unrolled: 1-line block ×3, first 2 shown]
	v_add_co_u32_e32 v56, vcc, 0x1000, v56
	v_accvgpr_read_b32 v59, a27
	v_addc_co_u32_e32 v57, vcc, 0, v57, vcc
	v_accvgpr_read_b32 v28, a22
	v_accvgpr_read_b32 v58, a26
	s_branch .LBB12_2164
.LBB12_2169:                            ;   in Loop: Header=BB12_2088 Depth=3
	s_cbranch_execnz .LBB12_2225
	s_branch .LBB12_2283
.LBB12_2170:                            ;   in Loop: Header=BB12_2088 Depth=3
	s_mov_b64 s[54:55], 0
                                        ; implicit-def: $sgpr28
                                        ; implicit-def: $vgpr8_vgpr9
	s_andn2_b64 vcc, exec, s[26:27]
	s_cbranch_vccz .LBB12_2162
.LBB12_2171:                            ;   in Loop: Header=BB12_2088 Depth=3
	v_mov_b32_e32 v17, s28
	v_mov_b32_e32 v16, v43
	v_accvgpr_read_b32 v18, a38
	v_accvgpr_read_b32 v2, a31
	;; [unrolled: 1-line block ×3, first 2 shown]
	s_and_saveexec_b64 s[30:31], s[54:55]
	s_cbranch_execnz .LBB12_2197
	s_branch .LBB12_2224
.LBB12_2172:                            ;   in Loop: Header=BB12_2088 Depth=3
	s_or_b64 exec, exec, s[28:29]
	s_and_b64 s[28:29], s[30:31], exec
.LBB12_2173:                            ;   in Loop: Header=BB12_2088 Depth=3
	s_or_b64 exec, exec, s[26:27]
	s_and_saveexec_b64 s[26:27], s[28:29]
	s_cbranch_execz .LBB12_2175
; %bb.2174:                             ;   in Loop: Header=BB12_2088 Depth=3
	global_store_dwordx4 v[6:7], v[12:15], off glc slc
	global_store_dwordx4 v[6:7], v[16:19], off offset:1024 glc slc
	global_store_dwordx4 v[6:7], v[20:23], off offset:2048 glc slc
	;; [unrolled: 1-line block ×3, first 2 shown]
	global_store_dwordx4 v[2:3], v[12:15], off glc slc
	global_store_dwordx4 v[2:3], v[16:19], off offset:1024 glc slc
	global_store_dwordx4 v[2:3], v[20:23], off offset:2048 glc slc
	;; [unrolled: 1-line block ×3, first 2 shown]
.LBB12_2175:                            ;   in Loop: Header=BB12_2088 Depth=3
	s_or_b64 exec, exec, s[26:27]
	v_lshlrev_b32_e32 v12, 12, v0
	v_cmp_ne_u32_e32 vcc, v43, v12
                                        ; implicit-def: $vgpr16
                                        ; implicit-def: $vgpr17
                                        ; implicit-def: $vgpr18
                                        ; implicit-def: $vgpr2
                                        ; implicit-def: $vgpr0
	s_and_saveexec_b64 s[56:57], vcc
	s_cbranch_execz .LBB12_2196
; %bb.2176:                             ;   in Loop: Header=BB12_2088 Depth=3
	v_lshlrev_b32_e32 v2, 6, v5
	v_accvgpr_read_b32 v3, a38
	v_sub_u32_e32 v2, v3, v2
	v_ashrrev_i32_e32 v3, 31, v2
	v_lshrrev_b32_e32 v3, 26, v3
	v_add_u32_e32 v3, v2, v3
	v_ashrrev_i32_e32 v7, 6, v3
	v_and_b32_e32 v3, 0xffffffc0, v3
	v_sub_u32_e32 v22, v2, v3
	v_lshlrev_b32_e32 v2, 4, v22
	v_sub_u32_e32 v0, v43, v12
	v_lshl_add_u32 v2, v7, 10, v2
	v_add_u32_e32 v6, v2, v12
	v_sub_u32_e32 v26, v0, v2
	v_ashrrev_i32_e32 v2, 31, v0
	v_lshrrev_b32_e32 v2, 22, v2
	v_add_u32_e32 v2, v0, v2
	v_and_b32_e32 v23, 0xfffffc00, v2
	v_sub_u32_e32 v24, v0, v23
	v_ashrrev_i32_e32 v3, 10, v2
	v_cmp_lt_i32_e64 s[26:27], 15, v24
	v_addc_co_u32_e64 v14, vcc, 0, v3, s[26:27]
	v_ashrrev_i32_e32 v5, 31, v6
	v_add_co_u32_e32 v0, vcc, v6, v8
	v_addc_co_u32_e32 v3, vcc, v5, v9, vcc
	v_add_co_u32_e32 v2, vcc, v6, v10
	v_addc_co_u32_e32 v13, vcc, v5, v11, vcc
	v_sub_u32_e32 v25, v14, v7
	v_cmp_lt_i32_e32 vcc, 15, v26
	s_mov_b64 s[28:29], 0
                                        ; implicit-def: $vgpr14_vgpr15
	s_and_saveexec_b64 s[58:59], vcc
	s_cbranch_execz .LBB12_2190
; %bb.2177:                             ;   in Loop: Header=BB12_2088 Depth=3
	s_trap 2
	ds_read_b64 v[14:15], v0
	s_mov_b64 s[64:65], 0
	s_mov_b64 s[60:61], 0
                                        ; implicit-def: $sgpr62_sgpr63
	s_waitcnt lgkmcnt(0)
	v_add_co_u32_e32 v6, vcc, v14, v6
	v_addc_co_u32_e32 v7, vcc, v15, v5, vcc
                                        ; implicit-def: $vgpr14_vgpr15
	s_branch .LBB12_2179
.LBB12_2178:                            ;   in Loop: Header=BB12_2179 Depth=4
	s_or_b64 exec, exec, s[28:29]
	v_cmp_gt_i32_e32 vcc, 16, v26
	s_or_b64 s[60:61], vcc, s[60:61]
	s_andn2_b64 s[28:29], s[62:63], exec
	s_and_b64 vcc, s[64:65], exec
	s_or_b64 s[62:63], s[28:29], vcc
	s_andn2_b64 exec, exec, s[60:61]
	s_cbranch_execz .LBB12_2189
.LBB12_2179:                            ;   Parent Loop BB12_47 Depth=1
                                        ;     Parent Loop BB12_2085 Depth=2
                                        ;       Parent Loop BB12_2088 Depth=3
                                        ; =>      This Loop Header: Depth=4
                                        ;           Child Loop BB12_2181 Depth 5
                                        ;           Child Loop BB12_2186 Depth 5
	global_load_dwordx4 v[18:21], v[6:7], off glc slc
	s_and_saveexec_b64 s[66:67], s[64:65]
	s_cbranch_execz .LBB12_2183
; %bb.2180:                             ;   in Loop: Header=BB12_2179 Depth=4
	s_mov_b64 s[68:69], 0
	s_mov_b64 s[64:65], -1
.LBB12_2181:                            ;   Parent Loop BB12_47 Depth=1
                                        ;     Parent Loop BB12_2085 Depth=2
                                        ;       Parent Loop BB12_2088 Depth=3
                                        ;         Parent Loop BB12_2179 Depth=4
                                        ; =>        This Inner Loop Header: Depth=5
	s_cmp_eq_u32 s68, 1
	s_cselect_b64 s[28:29], -1, 0
	v_cndmask_b32_e64 v32, v0, v2, s[28:29]
	v_cndmask_b32_e64 v33, v3, v13, s[28:29]
	v_add_co_u32_e32 v5, vcc, 0x400, v32
	s_cmp_eq_u32 s68, 0
	v_addc_co_u32_e32 v27, vcc, 0, v33, vcc
	s_cselect_b64 vcc, -1, 0
	s_and_b64 s[30:31], exec, s[64:65]
	s_mov_b64 s[68:69], 1
	v_cndmask_b32_e64 v2, v2, v5, s[28:29]
	s_mov_b64 s[64:65], 0
	v_cndmask_b32_e64 v13, v13, v27, s[28:29]
	v_cndmask_b32_e32 v3, v3, v27, vcc
	v_cndmask_b32_e32 v0, v0, v5, vcc
	s_mov_b64 vcc, s[30:31]
	global_store_dwordx4 v[32:33], v[14:17], off glc slc
	s_cbranch_vccnz .LBB12_2181
; %bb.2182:                             ;   in Loop: Header=BB12_2179 Depth=4
	v_accvgpr_read_b32 v28, a32
	v_add_co_u32_e32 v0, vcc, v0, v28
	v_accvgpr_read_b32 v5, a35
	v_addc_co_u32_e32 v3, vcc, v3, v5, vcc
	v_add_co_u32_e32 v2, vcc, v2, v28
	v_addc_co_u32_e32 v13, vcc, v13, v5, vcc
.LBB12_2183:                            ;   in Loop: Header=BB12_2179 Depth=4
	s_or_b64 exec, exec, s[66:67]
	v_accvgpr_read_b32 v5, a39
	v_add_co_u32_e32 v6, vcc, v5, v6
	v_accvgpr_read_b32 v5, a40
	v_addc_co_u32_e32 v7, vcc, v5, v7, vcc
	v_accvgpr_read_b32 v5, a17
	v_sub_u32_e32 v26, v26, v5
	v_cmp_lt_i32_e64 s[64:65], 15, v26
	s_and_saveexec_b64 s[28:29], s[64:65]
	s_cbranch_execz .LBB12_2185
; %bb.2184:                             ;   in Loop: Header=BB12_2179 Depth=4
	global_load_dwordx4 v[14:17], v[6:7], off glc slc
	v_add_co_u32_e32 v6, vcc, 0x400, v6
	v_addc_co_u32_e32 v7, vcc, 0, v7, vcc
.LBB12_2185:                            ;   in Loop: Header=BB12_2179 Depth=4
	s_or_b64 exec, exec, s[28:29]
	s_mov_b64 s[68:69], 0
	s_mov_b64 s[66:67], -1
	s_waitcnt vmcnt(0)
.LBB12_2186:                            ;   Parent Loop BB12_47 Depth=1
                                        ;     Parent Loop BB12_2085 Depth=2
                                        ;       Parent Loop BB12_2088 Depth=3
                                        ;         Parent Loop BB12_2179 Depth=4
                                        ; =>        This Inner Loop Header: Depth=5
	s_cmp_eq_u32 s68, 1
	s_cselect_b64 s[28:29], -1, 0
	v_cndmask_b32_e64 v32, v0, v2, s[28:29]
	v_cndmask_b32_e64 v33, v3, v13, s[28:29]
	v_add_co_u32_e32 v5, vcc, 0x400, v32
	s_cmp_eq_u32 s68, 0
	v_addc_co_u32_e32 v27, vcc, 0, v33, vcc
	s_cselect_b64 vcc, -1, 0
	s_and_b64 s[30:31], exec, s[66:67]
	s_mov_b64 s[68:69], 1
	v_cndmask_b32_e64 v2, v2, v5, s[28:29]
	s_mov_b64 s[66:67], 0
	v_cndmask_b32_e64 v13, v13, v27, s[28:29]
	v_cndmask_b32_e32 v3, v3, v27, vcc
	v_cndmask_b32_e32 v0, v0, v5, vcc
	s_mov_b64 vcc, s[30:31]
	global_store_dwordx4 v[32:33], v[18:21], off glc slc
	s_cbranch_vccnz .LBB12_2186
; %bb.2187:                             ;   in Loop: Header=BB12_2179 Depth=4
	v_accvgpr_read_b32 v18, a22
	v_sub_u32_e32 v25, v25, v18
	s_and_saveexec_b64 s[28:29], s[64:65]
	s_cbranch_execz .LBB12_2178
; %bb.2188:                             ;   in Loop: Header=BB12_2179 Depth=4
	v_accvgpr_read_b32 v18, a32
	v_add_co_u32_e32 v0, vcc, v0, v18
	v_accvgpr_read_b32 v5, a35
	v_addc_co_u32_e32 v3, vcc, v3, v5, vcc
	v_add_co_u32_e32 v2, vcc, v2, v18
	v_addc_co_u32_e32 v13, vcc, v13, v5, vcc
	v_add_co_u32_e32 v6, vcc, v6, v18
	v_addc_co_u32_e32 v7, vcc, v7, v5, vcc
	v_accvgpr_read_b32 v5, a17
	v_accvgpr_read_b32 v18, a22
	v_sub_u32_e32 v26, v26, v5
	v_sub_u32_e32 v25, v25, v18
	s_branch .LBB12_2178
.LBB12_2189:                            ;   in Loop: Header=BB12_2088 Depth=3
	s_or_b64 exec, exec, s[60:61]
	s_and_b64 s[28:29], s[62:63], exec
.LBB12_2190:                            ;   in Loop: Header=BB12_2088 Depth=3
	s_or_b64 exec, exec, s[58:59]
	s_and_saveexec_b64 s[58:59], s[28:29]
	s_cbranch_execz .LBB12_2193
; %bb.2191:                             ;   in Loop: Header=BB12_2088 Depth=3
	s_mov_b64 s[62:63], 0
	s_mov_b64 s[60:61], -1
.LBB12_2192:                            ;   Parent Loop BB12_47 Depth=1
                                        ;     Parent Loop BB12_2085 Depth=2
                                        ;       Parent Loop BB12_2088 Depth=3
                                        ; =>      This Inner Loop Header: Depth=4
	s_cmp_eq_u32 s62, 1
	s_cselect_b64 s[28:29], -1, 0
	v_cndmask_b32_e64 v6, v0, v2, s[28:29]
	v_cndmask_b32_e64 v7, v3, v13, s[28:29]
	v_add_co_u32_e32 v5, vcc, 0x400, v6
	s_cmp_eq_u32 s62, 0
	global_store_dwordx4 v[6:7], v[14:17], off glc slc
	v_addc_co_u32_e32 v6, vcc, 0, v7, vcc
	s_cselect_b64 vcc, -1, 0
	s_and_b64 s[30:31], exec, s[60:61]
	s_mov_b64 s[62:63], 1
	v_cndmask_b32_e64 v2, v2, v5, s[28:29]
	s_mov_b64 s[60:61], 0
	v_cndmask_b32_e64 v13, v13, v6, s[28:29]
	v_cndmask_b32_e32 v3, v3, v6, vcc
	v_cndmask_b32_e32 v0, v0, v5, vcc
	s_mov_b64 vcc, s[30:31]
	s_cbranch_vccnz .LBB12_2192
.LBB12_2193:                            ;   in Loop: Header=BB12_2088 Depth=3
	s_or_b64 exec, exec, s[58:59]
	v_and_b32_e32 v3, 14, v43
	v_cndmask_b32_e64 v16, v24, v3, s[26:27]
	v_cmp_ne_u32_e32 vcc, 0, v16
	s_mov_b64 s[28:29], s[54:55]
                                        ; implicit-def: $vgpr17
                                        ; implicit-def: $vgpr18
                                        ; implicit-def: $vgpr2
                                        ; implicit-def: $vgpr0
	s_and_saveexec_b64 s[30:31], vcc
	s_cbranch_execz .LBB12_2195
; %bb.2194:                             ;   in Loop: Header=BB12_2088 Depth=3
	v_sub_u32_e32 v0, v24, v3
	v_cndmask_b32_e64 v0, 0, v0, s[26:27]
	v_add3_u32 v17, v23, v12, v0
	v_cmp_lt_i32_e32 vcc, 0, v25
	v_accvgpr_read_b32 v0, a22
	v_cndmask_b32_e32 v0, 0, v0, vcc
	v_sub_u32_e32 v0, v0, v25
	v_lshl_add_u32 v0, v0, 6, v22
	v_ashrrev_i32_e32 v2, 31, v0
	v_lshrrev_b32_e32 v2, 26, v2
	v_add_u32_e32 v3, v0, v2
	v_ashrrev_i32_e32 v2, 6, v3
	v_and_b32_e32 v3, 0xffffffc0, v3
	v_sub_u32_e32 v18, v0, v3
	v_lshlrev_b32_e32 v0, 11, v2
	s_or_b64 s[28:29], s[54:55], exec
.LBB12_2195:                            ;   in Loop: Header=BB12_2088 Depth=3
	s_or_b64 exec, exec, s[30:31]
	s_andn2_b64 s[26:27], s[54:55], exec
	s_and_b64 s[28:29], s[28:29], exec
	s_or_b64 s[54:55], s[26:27], s[28:29]
.LBB12_2196:                            ;   in Loop: Header=BB12_2088 Depth=3
	s_or_b64 exec, exec, s[56:57]
	s_and_saveexec_b64 s[30:31], s[54:55]
	s_cbranch_execz .LBB12_2224
.LBB12_2197:                            ;   in Loop: Header=BB12_2088 Depth=3
	v_lshlrev_b32_e32 v3, 1, v18
	v_add3_u32 v0, v17, v3, v0
	v_ashrrev_i32_e32 v3, 31, v16
	v_lshrrev_b32_e32 v3, 21, v3
	v_add_u32_e32 v3, v16, v3
	v_ashrrev_i32_e32 v5, 31, v0
	s_waitcnt lgkmcnt(0)
	v_add_co_u32_e32 v6, vcc, v8, v0
	v_ashrrev_i32_e32 v12, 11, v3
	v_addc_co_u32_e32 v7, vcc, v9, v5, vcc
	v_sub_u32_e32 v14, v12, v2
	v_add_co_u32_e32 v2, vcc, v10, v0
	v_addc_co_u32_e32 v3, vcc, v11, v5, vcc
	v_cmp_lt_i32_e32 vcc, 0, v14
	s_mov_b64 s[28:29], 0
                                        ; implicit-def: $vgpr20
                                        ; implicit-def: $vgpr21
                                        ; implicit-def: $vgpr22
                                        ; implicit-def: $vgpr23
                                        ; implicit-def: $vgpr24
                                        ; implicit-def: $vgpr25
                                        ; implicit-def: $vgpr26
                                        ; implicit-def: $vgpr27
                                        ; implicit-def: $vgpr32
                                        ; implicit-def: $vgpr33
                                        ; implicit-def: $vgpr34
                                        ; implicit-def: $vgpr35
                                        ; implicit-def: $vgpr36
                                        ; implicit-def: $vgpr37
                                        ; implicit-def: $vgpr38
                                        ; implicit-def: $vgpr39
	s_and_saveexec_b64 s[26:27], vcc
	s_cbranch_execz .LBB12_2205
; %bb.2198:                             ;   in Loop: Header=BB12_2088 Depth=3
	v_accvgpr_write_b32 a1, v12
	s_trap 2
	ds_read_b64 v[12:13], v0
	s_mov_b64 s[56:57], 0
                                        ; implicit-def: $sgpr54_sgpr55
                                        ; implicit-def: $vgpr20
                                        ; implicit-def: $vgpr21
                                        ; implicit-def: $vgpr22
                                        ; implicit-def: $vgpr23
                                        ; implicit-def: $vgpr24
                                        ; implicit-def: $vgpr25
                                        ; implicit-def: $vgpr26
                                        ; implicit-def: $vgpr27
                                        ; implicit-def: $vgpr32
                                        ; implicit-def: $vgpr33
                                        ; implicit-def: $vgpr34
                                        ; implicit-def: $vgpr35
                                        ; implicit-def: $vgpr36
                                        ; implicit-def: $vgpr37
                                        ; implicit-def: $vgpr38
                                        ; implicit-def: $vgpr39
	s_waitcnt lgkmcnt(0)
	v_add_co_u32_e32 v12, vcc, v12, v0
	v_addc_co_u32_e32 v13, vcc, v13, v5, vcc
	s_branch .LBB12_2200
.LBB12_2199:                            ;   in Loop: Header=BB12_2200 Depth=4
	s_or_b64 exec, exec, s[58:59]
	s_waitcnt vmcnt(0) lgkmcnt(0)
	flat_store_short v[6:7], v0 glc slc
	flat_store_short v[6:7], v5 offset:128 glc slc
	flat_store_short v[6:7], v48 offset:256 glc slc
	;; [unrolled: 1-line block ×15, first 2 shown]
	v_add_co_u32_e32 v6, vcc, s80, v6
	v_addc_co_u32_e32 v7, vcc, 0, v7, vcc
	flat_store_short v[2:3], v0 glc slc
	flat_store_short v[2:3], v5 offset:128 glc slc
	flat_store_short v[2:3], v48 offset:256 glc slc
	;; [unrolled: 1-line block ×15, first 2 shown]
	v_add_co_u32_e32 v0, vcc, s80, v2
	v_accvgpr_read_b32 v49, a29
	v_addc_co_u32_e32 v2, vcc, 0, v3, vcc
	v_accvgpr_read_b32 v48, a28
	v_add_co_u32_e32 v3, vcc, v6, v48
	v_addc_co_u32_e32 v5, vcc, v7, v49, vcc
	v_add_co_u32_e32 v19, vcc, v0, v48
	v_addc_co_u32_e32 v48, vcc, v2, v49, vcc
	;; [unrolled: 2-line block ×3, first 2 shown]
	v_sub_u32_e32 v14, v28, v40
	v_cmp_gt_i32_e32 vcc, 1, v14
	s_or_b64 s[28:29], vcc, s[28:29]
	s_andn2_b64 vcc, s[54:55], exec
	s_and_b64 s[54:55], s[56:57], exec
	v_cndmask_b32_e64 v7, v7, v5, s[56:57]
	v_cndmask_b32_e64 v6, v6, v3, s[56:57]
	;; [unrolled: 1-line block ×4, first 2 shown]
	s_or_b64 s[54:55], vcc, s[54:55]
	s_andn2_b64 exec, exec, s[28:29]
	s_cbranch_execz .LBB12_2204
.LBB12_2200:                            ;   Parent Loop BB12_47 Depth=1
                                        ;     Parent Loop BB12_2085 Depth=2
                                        ;       Parent Loop BB12_2088 Depth=3
                                        ; =>      This Inner Loop Header: Depth=4
	flat_load_ushort v0, v[12:13] glc slc
	flat_load_ushort v5, v[12:13] offset:128 glc slc
	flat_load_ushort v48, v[12:13] offset:256 glc slc
	;; [unrolled: 1-line block ×15, first 2 shown]
	s_and_saveexec_b64 s[58:59], s[56:57]
	s_cbranch_execz .LBB12_2202
; %bb.2201:                             ;   in Loop: Header=BB12_2200 Depth=4
	v_accvgpr_read_b32 v15, a36
	flat_store_short v[6:7], v20 glc slc
	flat_store_short v[6:7], v21 offset:128 glc slc
	flat_store_short v[6:7], v22 offset:256 glc slc
	;; [unrolled: 1-line block ×15, first 2 shown]
	flat_store_short v[2:3], v20 glc slc
	flat_store_short v[2:3], v21 offset:128 glc slc
	flat_store_short v[2:3], v22 offset:256 glc slc
	;; [unrolled: 1-line block ×15, first 2 shown]
	v_add_co_u32_e32 v6, vcc, v6, v15
	v_accvgpr_read_b32 v28, a37
	v_addc_co_u32_e32 v7, vcc, v7, v28, vcc
	v_add_co_u32_e32 v2, vcc, v2, v15
	v_addc_co_u32_e32 v3, vcc, v3, v28, vcc
.LBB12_2202:                            ;   in Loop: Header=BB12_2200 Depth=4
	s_or_b64 exec, exec, s[58:59]
	v_accvgpr_read_b32 v15, a36
	v_accvgpr_read_b32 v28, a22
	v_add_co_u32_e32 v12, vcc, v12, v15
	v_accvgpr_read_b32 v15, a37
	v_sub_u32_e32 v28, v14, v28
	v_addc_co_u32_e32 v13, vcc, v13, v15, vcc
	v_cmp_lt_i32_e64 s[56:57], 0, v28
	v_mov_b32_e32 v40, 0
	v_pk_mov_b32 v[14:15], 0, 0
	s_and_saveexec_b64 s[58:59], s[56:57]
	s_cbranch_execz .LBB12_2199
; %bb.2203:                             ;   in Loop: Header=BB12_2200 Depth=4
	flat_load_ushort v20, v[12:13] glc slc
	flat_load_ushort v21, v[12:13] offset:128 glc slc
	flat_load_ushort v22, v[12:13] offset:256 glc slc
	;; [unrolled: 1-line block ×15, first 2 shown]
	v_add_co_u32_e32 v12, vcc, 0x800, v12
	v_accvgpr_read_b32 v14, a28
	v_addc_co_u32_e32 v13, vcc, 0, v13, vcc
	v_accvgpr_read_b32 v40, a22
	v_accvgpr_read_b32 v15, a29
	s_branch .LBB12_2199
.LBB12_2204:                            ;   in Loop: Header=BB12_2088 Depth=3
	s_or_b64 exec, exec, s[28:29]
	s_and_b64 s[28:29], s[54:55], exec
	v_accvgpr_read_b32 v12, a1
.LBB12_2205:                            ;   in Loop: Header=BB12_2088 Depth=3
	s_or_b64 exec, exec, s[26:27]
	s_and_saveexec_b64 s[26:27], s[28:29]
	s_cbranch_execz .LBB12_2207
; %bb.2206:                             ;   in Loop: Header=BB12_2088 Depth=3
	flat_store_short v[6:7], v20 glc slc
	flat_store_short v[6:7], v21 offset:128 glc slc
	flat_store_short v[6:7], v22 offset:256 glc slc
	;; [unrolled: 1-line block ×15, first 2 shown]
	flat_store_short v[2:3], v20 glc slc
	flat_store_short v[2:3], v21 offset:128 glc slc
	flat_store_short v[2:3], v22 offset:256 glc slc
	;; [unrolled: 1-line block ×15, first 2 shown]
.LBB12_2207:                            ;   in Loop: Header=BB12_2088 Depth=3
	s_or_b64 exec, exec, s[26:27]
	v_lshlrev_b32_e32 v0, 11, v12
	v_cmp_ne_u32_e32 vcc, v16, v0
	s_and_saveexec_b64 s[54:55], vcc
	s_cbranch_execz .LBB12_2223
; %bb.2208:                             ;   in Loop: Header=BB12_2088 Depth=3
	v_lshlrev_b32_e32 v2, 6, v14
	v_sub_u32_e32 v2, v18, v2
	v_ashrrev_i32_e32 v3, 31, v2
	v_lshrrev_b32_e32 v3, 26, v3
	v_add_u32_e32 v3, v2, v3
	v_and_b32_e32 v5, 0x7fffffc0, v3
	v_sub_u32_e32 v2, v2, v5
	v_lshlrev_b32_e32 v3, 1, v3
	v_and_b32_e32 v3, 0xffffff80, v3
	v_lshlrev_b32_e32 v2, 1, v2
	v_add3_u32 v0, v3, v2, v0
	v_add_u32_e32 v6, v0, v17
	v_sub_u32_e32 v12, v16, v0
	v_ashrrev_i32_e32 v5, 31, v6
	v_add_co_u32_e32 v0, vcc, v8, v6
	v_addc_co_u32_e32 v3, vcc, v9, v5, vcc
	v_add_co_u32_e32 v2, vcc, v10, v6
	v_addc_co_u32_e32 v9, vcc, v11, v5, vcc
	v_cmp_lt_i32_e32 vcc, 1, v12
	s_mov_b64 s[26:27], 0
                                        ; implicit-def: $vgpr8
	s_and_saveexec_b64 s[56:57], vcc
	s_cbranch_execz .LBB12_2220
; %bb.2209:                             ;   in Loop: Header=BB12_2088 Depth=3
	s_trap 2
	ds_read_b64 v[10:11], v0
	s_mov_b64 s[62:63], 0
	s_mov_b64 s[58:59], 0
                                        ; implicit-def: $sgpr60_sgpr61
                                        ; implicit-def: $vgpr8
	s_waitcnt lgkmcnt(0)
	v_add_co_u32_e32 v6, vcc, v10, v6
	v_addc_co_u32_e32 v7, vcc, v11, v5, vcc
.LBB12_2210:                            ;   Parent Loop BB12_47 Depth=1
                                        ;     Parent Loop BB12_2085 Depth=2
                                        ;       Parent Loop BB12_2088 Depth=3
                                        ; =>      This Loop Header: Depth=4
                                        ;           Child Loop BB12_2212 Depth 5
                                        ;           Child Loop BB12_2217 Depth 5
	flat_load_ushort v5, v[6:7] glc slc
	s_and_saveexec_b64 s[64:65], s[62:63]
	s_cbranch_execz .LBB12_2214
; %bb.2211:                             ;   in Loop: Header=BB12_2210 Depth=4
	s_mov_b64 s[66:67], 0
	s_mov_b64 s[62:63], -1
.LBB12_2212:                            ;   Parent Loop BB12_47 Depth=1
                                        ;     Parent Loop BB12_2085 Depth=2
                                        ;       Parent Loop BB12_2088 Depth=3
                                        ;         Parent Loop BB12_2210 Depth=4
                                        ; =>        This Inner Loop Header: Depth=5
	s_cmp_eq_u32 s66, 1
	s_cselect_b64 s[26:27], -1, 0
	v_cndmask_b32_e64 v11, v3, v9, s[26:27]
	v_cndmask_b32_e64 v10, v0, v2, s[26:27]
	flat_store_short v[10:11], v8 glc slc
	v_add_co_u32_e32 v10, vcc, 0x80, v10
	s_cmp_eq_u32 s66, 0
	v_addc_co_u32_e32 v11, vcc, 0, v11, vcc
	s_cselect_b64 vcc, -1, 0
	s_and_b64 s[28:29], exec, s[62:63]
	s_mov_b64 s[66:67], 1
	v_cndmask_b32_e64 v2, v2, v10, s[26:27]
	s_mov_b64 s[62:63], 0
	v_cndmask_b32_e64 v9, v9, v11, s[26:27]
	v_cndmask_b32_e32 v3, v3, v11, vcc
	v_cndmask_b32_e32 v0, v0, v10, vcc
	s_mov_b64 vcc, s[28:29]
	s_cbranch_vccnz .LBB12_2212
; %bb.2213:                             ;   in Loop: Header=BB12_2210 Depth=4
	v_accvgpr_read_b32 v10, a50
	v_accvgpr_read_b32 v11, a51
	v_add_co_u32_e32 v0, vcc, v0, v10
	v_addc_co_u32_e32 v3, vcc, v3, v11, vcc
	v_add_co_u32_e32 v2, vcc, v2, v10
	v_addc_co_u32_e32 v9, vcc, v9, v11, vcc
.LBB12_2214:                            ;   in Loop: Header=BB12_2210 Depth=4
	s_or_b64 exec, exec, s[64:65]
	v_accvgpr_read_b32 v10, a52
	v_add_co_u32_e32 v6, vcc, v10, v6
	v_accvgpr_read_b32 v10, a53
	v_addc_co_u32_e32 v7, vcc, v10, v7, vcc
	v_accvgpr_read_b32 v10, a49
	v_sub_u32_e32 v10, v12, v10
	v_cmp_lt_i32_e64 s[62:63], 1, v10
	s_and_saveexec_b64 s[26:27], s[62:63]
	s_cbranch_execz .LBB12_2216
; %bb.2215:                             ;   in Loop: Header=BB12_2210 Depth=4
	flat_load_ushort v8, v[6:7] glc slc
	v_add_co_u32_e32 v6, vcc, 0x80, v6
	v_addc_co_u32_e32 v7, vcc, 0, v7, vcc
.LBB12_2216:                            ;   in Loop: Header=BB12_2210 Depth=4
	s_or_b64 exec, exec, s[26:27]
	s_mov_b64 s[66:67], 0
	s_mov_b64 s[64:65], -1
	s_waitcnt vmcnt(0)
.LBB12_2217:                            ;   Parent Loop BB12_47 Depth=1
                                        ;     Parent Loop BB12_2085 Depth=2
                                        ;       Parent Loop BB12_2088 Depth=3
                                        ;         Parent Loop BB12_2210 Depth=4
                                        ; =>        This Inner Loop Header: Depth=5
	s_cmp_eq_u32 s66, 1
	s_cselect_b64 s[26:27], -1, 0
	v_cndmask_b32_e64 v12, v0, v2, s[26:27]
	v_cndmask_b32_e64 v13, v3, v9, s[26:27]
	v_add_co_u32_e32 v11, vcc, 0x80, v12
	s_cmp_eq_u32 s66, 0
	s_waitcnt lgkmcnt(0)
	flat_store_short v[12:13], v5 glc slc
	v_addc_co_u32_e32 v12, vcc, 0, v13, vcc
	s_cselect_b64 vcc, -1, 0
	s_and_b64 s[28:29], exec, s[64:65]
	s_mov_b64 s[66:67], 1
	v_cndmask_b32_e64 v2, v2, v11, s[26:27]
	s_mov_b64 s[64:65], 0
	v_cndmask_b32_e64 v9, v9, v12, s[26:27]
	v_cndmask_b32_e32 v3, v3, v12, vcc
	v_cndmask_b32_e32 v0, v0, v11, vcc
	s_mov_b64 vcc, s[28:29]
	s_cbranch_vccnz .LBB12_2217
; %bb.2218:                             ;   in Loop: Header=BB12_2210 Depth=4
	v_accvgpr_read_b32 v16, a50
	v_accvgpr_read_b32 v17, a51
	v_add_co_u32_e32 v5, vcc, v0, v16
	v_addc_co_u32_e32 v11, vcc, v3, v17, vcc
	v_add_co_u32_e32 v12, vcc, v2, v16
	v_addc_co_u32_e32 v13, vcc, v9, v17, vcc
	v_cndmask_b32_e64 v15, 0, v16, s[62:63]
	v_cndmask_b32_e64 v0, v0, v5, s[62:63]
	v_accvgpr_read_b32 v5, a49
	v_cndmask_b32_e64 v14, 0, v17, s[62:63]
	v_add_co_u32_e32 v6, vcc, v6, v15
	v_cndmask_b32_e64 v5, 0, v5, s[62:63]
	v_addc_co_u32_e32 v7, vcc, v7, v14, vcc
	v_cndmask_b32_e64 v2, v2, v12, s[62:63]
	v_sub_u32_e32 v12, v10, v5
	v_cmp_gt_i32_e32 vcc, 2, v12
	s_or_b64 s[58:59], vcc, s[58:59]
	s_andn2_b64 s[26:27], s[60:61], exec
	s_and_b64 s[28:29], s[62:63], exec
	v_cndmask_b32_e64 v9, v9, v13, s[62:63]
	v_cndmask_b32_e64 v3, v3, v11, s[62:63]
	s_or_b64 s[60:61], s[26:27], s[28:29]
	s_andn2_b64 exec, exec, s[58:59]
	s_cbranch_execnz .LBB12_2210
; %bb.2219:                             ;   in Loop: Header=BB12_2088 Depth=3
	s_or_b64 exec, exec, s[58:59]
	s_and_b64 s[26:27], s[60:61], exec
.LBB12_2220:                            ;   in Loop: Header=BB12_2088 Depth=3
	s_or_b64 exec, exec, s[56:57]
	s_and_b64 exec, exec, s[26:27]
	s_cbranch_execz .LBB12_2223
; %bb.2221:                             ;   in Loop: Header=BB12_2088 Depth=3
	s_mov_b64 s[58:59], 0
	s_mov_b64 s[56:57], -1
.LBB12_2222:                            ;   Parent Loop BB12_47 Depth=1
                                        ;     Parent Loop BB12_2085 Depth=2
                                        ;       Parent Loop BB12_2088 Depth=3
                                        ; =>      This Inner Loop Header: Depth=4
	s_cmp_eq_u32 s58, 1
	s_cselect_b64 s[26:27], -1, 0
	v_cndmask_b32_e64 v6, v0, v2, s[26:27]
	v_cndmask_b32_e64 v7, v3, v9, s[26:27]
	v_add_co_u32_e32 v5, vcc, 0x80, v6
	s_cmp_eq_u32 s58, 0
	flat_store_short v[6:7], v8 glc slc
	v_addc_co_u32_e32 v6, vcc, 0, v7, vcc
	s_cselect_b64 vcc, -1, 0
	s_and_b64 s[28:29], exec, s[56:57]
	s_mov_b64 s[58:59], 1
	v_cndmask_b32_e64 v2, v2, v5, s[26:27]
	s_mov_b64 s[56:57], 0
	v_cndmask_b32_e64 v9, v9, v6, s[26:27]
	v_cndmask_b32_e32 v3, v3, v6, vcc
	v_cndmask_b32_e32 v0, v0, v5, vcc
	s_mov_b64 vcc, s[28:29]
	s_cbranch_vccnz .LBB12_2222
.LBB12_2223:                            ;   in Loop: Header=BB12_2088 Depth=3
	s_or_b64 exec, exec, s[54:55]
.LBB12_2224:                            ;   in Loop: Header=BB12_2088 Depth=3
	s_or_b64 exec, exec, s[30:31]
	s_branch .LBB12_2283
.LBB12_2225:                            ;   in Loop: Header=BB12_2088 Depth=3
	s_mov_b64 s[26:27], -1
	s_and_saveexec_b64 s[28:29], s[20:21]
	s_cbranch_execz .LBB12_2227
; %bb.2226:                             ;   in Loop: Header=BB12_2088 Depth=3
	ds_read_b32 v0, v0 offset:720
	s_waitcnt lgkmcnt(0)
	v_and_b32_e32 v0, 15, v0
	v_cmp_eq_u32_e32 vcc, 0, v0
	s_orn2_b64 s[26:27], vcc, exec
.LBB12_2227:                            ;   in Loop: Header=BB12_2088 Depth=3
	s_or_b64 exec, exec, s[28:29]
	s_and_saveexec_b64 s[28:29], s[18:19]
	s_cbranch_execz .LBB12_2229
; %bb.2228:                             ;   in Loop: Header=BB12_2088 Depth=3
	ds_read_b32 v0, v0 offset:784
	s_waitcnt lgkmcnt(0)
	v_and_b32_e32 v0, 15, v0
	v_cmp_eq_u32_e32 vcc, 0, v0
	s_and_b64 vcc, s[26:27], vcc
	s_andn2_b64 s[26:27], s[26:27], exec
	s_and_b64 vcc, vcc, exec
	s_or_b64 s[26:27], s[26:27], vcc
.LBB12_2229:                            ;   in Loop: Header=BB12_2088 Depth=3
	s_or_b64 exec, exec, s[28:29]
	s_xor_b64 s[26:27], s[26:27], -1
	v_cndmask_b32_e64 v0, 0, 1, s[26:27]
	;;#ASMSTART
	;;#ASMEND
	s_trap 2
	ds_read_b64 v[2:3], v0
	s_mov_b64 s[26:27], -1
	v_cmp_ne_u32_e32 vcc, 0, v0
	s_cbranch_vccz .LBB12_2238
; %bb.2230:                             ;   in Loop: Header=BB12_2088 Depth=3
	s_mov_b64 s[28:29], -1
	s_mov_b32 s30, 0
	s_cbranch_execnz .LBB12_2239
.LBB12_2231:                            ;   in Loop: Header=BB12_2088 Depth=3
	v_ashrrev_i32_e32 v0, 31, v43
	v_lshrrev_b32_e32 v0, 20, v0
	v_add_u32_e32 v0, v43, v0
	v_accvgpr_read_b32 v6, a42
	v_ashrrev_i32_e32 v0, 12, v0
	v_accvgpr_read_b32 v5, a31
	s_waitcnt lgkmcnt(0)
	v_add_co_u32_e32 v6, vcc, v2, v6
	v_accvgpr_read_b32 v7, a43
	v_sub_u32_e32 v5, v0, v5
	v_addc_co_u32_e32 v7, vcc, v3, v7, vcc
	v_cmp_lt_i32_e32 vcc, 0, v5
	s_mov_b64 s[30:31], 0
                                        ; implicit-def: $vgpr8_vgpr9
                                        ; implicit-def: $vgpr12_vgpr13
                                        ; implicit-def: $vgpr16_vgpr17
                                        ; implicit-def: $vgpr20_vgpr21
	s_and_saveexec_b64 s[26:27], vcc
	s_cbranch_execz .LBB12_2241
; %bb.2232:                             ;   in Loop: Header=BB12_2088 Depth=3
	s_trap 2
	ds_read_b64 v[8:9], v0
	v_accvgpr_read_b32 v10, a42
	v_accvgpr_read_b32 v11, a43
	s_mov_b64 s[56:57], 0
                                        ; implicit-def: $sgpr54_sgpr55
                                        ; implicit-def: $vgpr12_vgpr13
                                        ; implicit-def: $vgpr16_vgpr17
                                        ; implicit-def: $vgpr20_vgpr21
	s_waitcnt lgkmcnt(0)
	v_add_co_u32_e32 v52, vcc, v8, v10
	v_addc_co_u32_e32 v53, vcc, v9, v11, vcc
                                        ; implicit-def: $vgpr8_vgpr9
	s_branch .LBB12_2234
.LBB12_2233:                            ;   in Loop: Header=BB12_2234 Depth=4
	s_or_b64 exec, exec, s[58:59]
	s_waitcnt vmcnt(0)
	global_store_dwordx4 v[6:7], v[24:27], off glc slc
	global_store_dwordx4 v[6:7], v[32:35], off offset:1024 glc slc
	global_store_dwordx4 v[6:7], v[36:39], off offset:2048 glc slc
	;; [unrolled: 1-line block ×3, first 2 shown]
	v_add_co_u32_e32 v6, vcc, v6, v54
	v_addc_co_u32_e32 v7, vcc, v7, v55, vcc
	v_add_co_u32_e32 v6, vcc, s78, v6
	v_addc_co_u32_e32 v7, vcc, 0, v7, vcc
	;; [unrolled: 2-line block ×3, first 2 shown]
	v_sub_u32_e32 v5, v5, v28
	v_cmp_gt_i32_e32 vcc, 1, v5
	s_or_b64 s[30:31], vcc, s[30:31]
	s_andn2_b64 vcc, s[54:55], exec
	s_and_b64 s[54:55], s[56:57], exec
	s_or_b64 s[54:55], vcc, s[54:55]
	s_andn2_b64 exec, exec, s[30:31]
	s_cbranch_execz .LBB12_2240
.LBB12_2234:                            ;   Parent Loop BB12_47 Depth=1
                                        ;     Parent Loop BB12_2085 Depth=2
                                        ;       Parent Loop BB12_2088 Depth=3
                                        ; =>      This Inner Loop Header: Depth=4
	global_load_dwordx4 v[24:27], v[52:53], off glc slc
	global_load_dwordx4 v[32:35], v[52:53], off offset:1024 glc slc
	global_load_dwordx4 v[36:39], v[52:53], off offset:2048 glc slc
	global_load_dwordx4 v[48:51], v[52:53], off offset:3072 glc slc
	s_and_saveexec_b64 s[58:59], s[56:57]
	s_cbranch_execz .LBB12_2236
; %bb.2235:                             ;   in Loop: Header=BB12_2234 Depth=4
	v_accvgpr_read_b32 v28, a33
	global_store_dwordx4 v[6:7], v[8:11], off glc slc
	global_store_dwordx4 v[6:7], v[12:15], off offset:1024 glc slc
	global_store_dwordx4 v[6:7], v[16:19], off offset:2048 glc slc
	;; [unrolled: 1-line block ×3, first 2 shown]
	v_add_co_u32_e32 v6, vcc, v6, v28
	v_accvgpr_read_b32 v28, a34
	v_addc_co_u32_e32 v7, vcc, v7, v28, vcc
.LBB12_2236:                            ;   in Loop: Header=BB12_2234 Depth=4
	s_or_b64 exec, exec, s[58:59]
	v_accvgpr_read_b32 v28, a33
	v_add_co_u32_e32 v52, vcc, v52, v28
	v_accvgpr_read_b32 v28, a34
	v_addc_co_u32_e32 v53, vcc, v53, v28, vcc
	v_accvgpr_read_b32 v28, a22
	v_sub_u32_e32 v5, v5, v28
	v_cmp_lt_i32_e64 s[56:57], 0, v5
	v_mov_b32_e32 v28, 0
	v_pk_mov_b32 v[54:55], 0, 0
	s_and_saveexec_b64 s[58:59], s[56:57]
	s_cbranch_execz .LBB12_2233
; %bb.2237:                             ;   in Loop: Header=BB12_2234 Depth=4
	global_load_dwordx4 v[8:11], v[52:53], off glc slc
	global_load_dwordx4 v[12:15], v[52:53], off offset:1024 glc slc
	global_load_dwordx4 v[16:19], v[52:53], off offset:2048 glc slc
	;; [unrolled: 1-line block ×3, first 2 shown]
	v_add_co_u32_e32 v52, vcc, 0x1000, v52
	v_accvgpr_read_b32 v55, a27
	v_addc_co_u32_e32 v53, vcc, 0, v53, vcc
	v_accvgpr_read_b32 v28, a22
	v_accvgpr_read_b32 v54, a26
	s_branch .LBB12_2233
.LBB12_2238:                            ;   in Loop: Header=BB12_2088 Depth=3
	s_mov_b64 s[28:29], 0
                                        ; implicit-def: $sgpr30
	s_andn2_b64 vcc, exec, s[26:27]
	s_cbranch_vccz .LBB12_2231
.LBB12_2239:                            ;   in Loop: Header=BB12_2088 Depth=3
	v_mov_b32_e32 v12, s30
	v_accvgpr_read_b32 v13, a38
	v_accvgpr_read_b32 v6, a31
	;; [unrolled: 1-line block ×3, first 2 shown]
	s_and_saveexec_b64 s[26:27], s[28:29]
	s_cbranch_execnz .LBB12_2260
	s_branch .LBB12_2282
.LBB12_2240:                            ;   in Loop: Header=BB12_2088 Depth=3
	s_or_b64 exec, exec, s[30:31]
	s_and_b64 s[30:31], s[54:55], exec
.LBB12_2241:                            ;   in Loop: Header=BB12_2088 Depth=3
	s_or_b64 exec, exec, s[26:27]
	s_and_saveexec_b64 s[26:27], s[30:31]
	s_cbranch_execz .LBB12_2243
; %bb.2242:                             ;   in Loop: Header=BB12_2088 Depth=3
	global_store_dwordx4 v[6:7], v[8:11], off glc slc
	global_store_dwordx4 v[6:7], v[12:15], off offset:1024 glc slc
	global_store_dwordx4 v[6:7], v[16:19], off offset:2048 glc slc
	;; [unrolled: 1-line block ×3, first 2 shown]
.LBB12_2243:                            ;   in Loop: Header=BB12_2088 Depth=3
	s_or_b64 exec, exec, s[26:27]
	v_lshlrev_b32_e32 v18, 12, v0
	v_cmp_ne_u32_e32 vcc, v43, v18
                                        ; implicit-def: $vgpr12
                                        ; implicit-def: $vgpr13
                                        ; implicit-def: $vgpr6
                                        ; implicit-def: $vgpr0
	s_and_saveexec_b64 s[30:31], vcc
	s_cbranch_execz .LBB12_2259
; %bb.2244:                             ;   in Loop: Header=BB12_2088 Depth=3
	v_lshlrev_b32_e32 v0, 6, v5
	v_accvgpr_read_b32 v5, a38
	v_sub_u32_e32 v0, v5, v0
	v_ashrrev_i32_e32 v5, 31, v0
	v_lshrrev_b32_e32 v5, 26, v5
	v_add_u32_e32 v5, v0, v5
	v_ashrrev_i32_e32 v7, 6, v5
	v_and_b32_e32 v5, 0xffffffc0, v5
	v_sub_u32_e32 v19, v0, v5
	v_lshlrev_b32_e32 v0, 4, v19
	v_sub_u32_e32 v6, v43, v18
	v_lshl_add_u32 v5, v7, 10, v0
	v_add_u32_e32 v0, v5, v18
	v_sub_u32_e32 v23, v6, v5
	v_ashrrev_i32_e32 v5, 31, v6
	v_lshrrev_b32_e32 v5, 22, v5
	v_add_u32_e32 v5, v6, v5
	v_and_b32_e32 v20, 0xfffffc00, v5
	v_sub_u32_e32 v22, v6, v20
	v_ashrrev_i32_e32 v8, 10, v5
	v_cmp_lt_i32_e64 s[26:27], 15, v22
	v_addc_co_u32_e64 v5, vcc, 0, v8, s[26:27]
	v_sub_u32_e32 v21, v5, v7
	v_ashrrev_i32_e32 v5, 31, v0
	v_add_co_u32_e32 v6, vcc, v0, v2
	v_addc_co_u32_e32 v7, vcc, v5, v3, vcc
	v_cmp_lt_i32_e32 vcc, 15, v23
	s_mov_b64 s[56:57], 0
                                        ; implicit-def: $vgpr8_vgpr9
	s_and_saveexec_b64 s[54:55], vcc
	s_cbranch_execz .LBB12_2254
; %bb.2245:                             ;   in Loop: Header=BB12_2088 Depth=3
	s_trap 2
	ds_read_b64 v[8:9], v0
	s_mov_b64 s[60:61], 0
                                        ; implicit-def: $sgpr58_sgpr59
	s_waitcnt lgkmcnt(0)
	v_add_co_u32_e32 v16, vcc, v8, v0
	v_addc_co_u32_e32 v17, vcc, v9, v5, vcc
                                        ; implicit-def: $vgpr8_vgpr9
	s_branch .LBB12_2247
.LBB12_2246:                            ;   in Loop: Header=BB12_2247 Depth=4
	s_or_b64 exec, exec, s[62:63]
	v_cmp_gt_i32_e32 vcc, 16, v23
	s_or_b64 s[56:57], vcc, s[56:57]
	s_andn2_b64 vcc, s[58:59], exec
	s_and_b64 s[58:59], s[60:61], exec
	s_or_b64 s[58:59], vcc, s[58:59]
	s_andn2_b64 exec, exec, s[56:57]
	s_cbranch_execz .LBB12_2253
.LBB12_2247:                            ;   Parent Loop BB12_47 Depth=1
                                        ;     Parent Loop BB12_2085 Depth=2
                                        ;       Parent Loop BB12_2088 Depth=3
                                        ; =>      This Inner Loop Header: Depth=4
	global_load_dwordx4 v[12:15], v[16:17], off glc slc
	s_and_saveexec_b64 s[62:63], s[60:61]
	s_cbranch_execz .LBB12_2249
; %bb.2248:                             ;   in Loop: Header=BB12_2247 Depth=4
	v_accvgpr_read_b32 v0, a39
	v_add_co_u32_e32 v24, vcc, v6, v0
	v_accvgpr_read_b32 v0, a40
	v_addc_co_u32_e32 v25, vcc, v7, v0, vcc
	global_store_dwordx4 v[6:7], v[8:11], off glc slc
	v_pk_mov_b32 v[6:7], v[24:25], v[24:25] op_sel:[0,1]
.LBB12_2249:                            ;   in Loop: Header=BB12_2247 Depth=4
	s_or_b64 exec, exec, s[62:63]
	v_accvgpr_read_b32 v0, a39
	v_add_co_u32_e32 v16, vcc, v16, v0
	v_accvgpr_read_b32 v0, a40
	v_addc_co_u32_e32 v17, vcc, v17, v0, vcc
	v_accvgpr_read_b32 v0, a17
	v_sub_u32_e32 v23, v23, v0
	v_cmp_lt_i32_e64 s[60:61], 15, v23
	s_and_saveexec_b64 s[62:63], s[60:61]
	s_cbranch_execz .LBB12_2251
; %bb.2250:                             ;   in Loop: Header=BB12_2247 Depth=4
	global_load_dwordx4 v[8:11], v[16:17], off glc slc
	v_add_co_u32_e32 v16, vcc, 0x400, v16
	v_addc_co_u32_e32 v17, vcc, 0, v17, vcc
.LBB12_2251:                            ;   in Loop: Header=BB12_2247 Depth=4
	s_or_b64 exec, exec, s[62:63]
	v_accvgpr_read_b32 v0, a22
	s_waitcnt vmcnt(0)
	global_store_dwordx4 v[6:7], v[12:15], off glc slc
	v_add_co_u32_e32 v6, vcc, 0x400, v6
	v_sub_u32_e32 v21, v21, v0
	v_addc_co_u32_e32 v7, vcc, 0, v7, vcc
	s_and_saveexec_b64 s[62:63], s[60:61]
	s_cbranch_execz .LBB12_2246
; %bb.2252:                             ;   in Loop: Header=BB12_2247 Depth=4
	v_accvgpr_read_b32 v0, a32
	v_add_co_u32_e32 v6, vcc, v6, v0
	v_accvgpr_read_b32 v5, a35
	v_addc_co_u32_e32 v7, vcc, v7, v5, vcc
	v_add_co_u32_e32 v16, vcc, v16, v0
	v_accvgpr_read_b32 v0, a17
	v_sub_u32_e32 v23, v23, v0
	v_accvgpr_read_b32 v0, a22
	v_addc_co_u32_e32 v17, vcc, v17, v5, vcc
	v_sub_u32_e32 v21, v21, v0
	s_branch .LBB12_2246
.LBB12_2253:                            ;   in Loop: Header=BB12_2088 Depth=3
	s_or_b64 exec, exec, s[56:57]
	s_and_b64 s[56:57], s[58:59], exec
.LBB12_2254:                            ;   in Loop: Header=BB12_2088 Depth=3
	s_or_b64 exec, exec, s[54:55]
	s_and_saveexec_b64 vcc, s[56:57]
	s_cbranch_execz .LBB12_2256
; %bb.2255:                             ;   in Loop: Header=BB12_2088 Depth=3
	global_store_dwordx4 v[6:7], v[8:11], off glc slc
.LBB12_2256:                            ;   in Loop: Header=BB12_2088 Depth=3
	s_or_b64 exec, exec, vcc
	v_and_b32_e32 v5, 14, v43
	v_cndmask_b32_e64 v43, v22, v5, s[26:27]
	v_cmp_ne_u32_e32 vcc, 0, v43
	s_mov_b64 s[54:55], s[28:29]
                                        ; implicit-def: $vgpr12
                                        ; implicit-def: $vgpr13
                                        ; implicit-def: $vgpr6
                                        ; implicit-def: $vgpr0
	s_and_saveexec_b64 s[56:57], vcc
	s_cbranch_execz .LBB12_2258
; %bb.2257:                             ;   in Loop: Header=BB12_2088 Depth=3
	v_sub_u32_e32 v0, v22, v5
	v_cndmask_b32_e64 v0, 0, v0, s[26:27]
	v_add3_u32 v12, v20, v18, v0
	v_cmp_lt_i32_e32 vcc, 0, v21
	v_accvgpr_read_b32 v0, a22
	v_cndmask_b32_e32 v0, 0, v0, vcc
	v_sub_u32_e32 v0, v0, v21
	v_lshl_add_u32 v0, v0, 6, v19
	v_ashrrev_i32_e32 v5, 31, v0
	v_lshrrev_b32_e32 v5, 26, v5
	v_add_u32_e32 v5, v0, v5
	v_ashrrev_i32_e32 v6, 6, v5
	v_and_b32_e32 v5, 0xffffffc0, v5
	v_sub_u32_e32 v13, v0, v5
	v_lshlrev_b32_e32 v0, 11, v6
	s_or_b64 s[54:55], s[28:29], exec
.LBB12_2258:                            ;   in Loop: Header=BB12_2088 Depth=3
	s_or_b64 exec, exec, s[56:57]
	s_andn2_b64 s[26:27], s[28:29], exec
	s_and_b64 s[28:29], s[54:55], exec
	s_or_b64 s[28:29], s[26:27], s[28:29]
.LBB12_2259:                            ;   in Loop: Header=BB12_2088 Depth=3
	s_or_b64 exec, exec, s[30:31]
	s_and_saveexec_b64 s[26:27], s[28:29]
	s_cbranch_execz .LBB12_2282
.LBB12_2260:                            ;   in Loop: Header=BB12_2088 Depth=3
	v_lshlrev_b32_e32 v5, 1, v13
	v_add3_u32 v0, v12, v5, v0
	v_ashrrev_i32_e32 v5, 31, v43
	v_lshrrev_b32_e32 v5, 21, v5
	v_add_u32_e32 v5, v43, v5
	v_ashrrev_i32_e32 v14, 11, v5
	s_waitcnt lgkmcnt(0)
	v_sub_u32_e32 v10, v14, v6
	v_ashrrev_i32_e32 v5, 31, v0
	v_add_co_u32_e32 v6, vcc, v2, v0
	v_addc_co_u32_e32 v7, vcc, v3, v5, vcc
	v_cmp_lt_i32_e32 vcc, 0, v10
	s_mov_b64 s[30:31], 0
                                        ; implicit-def: $vgpr15
                                        ; implicit-def: $vgpr16
                                        ; implicit-def: $vgpr17
                                        ; implicit-def: $vgpr18
                                        ; implicit-def: $vgpr19
                                        ; implicit-def: $vgpr20
                                        ; implicit-def: $vgpr21
                                        ; implicit-def: $vgpr22
                                        ; implicit-def: $vgpr23
                                        ; implicit-def: $vgpr24
                                        ; implicit-def: $vgpr25
                                        ; implicit-def: $vgpr26
                                        ; implicit-def: $vgpr27
                                        ; implicit-def: $vgpr32
                                        ; implicit-def: $vgpr33
                                        ; implicit-def: $vgpr34
	s_and_saveexec_b64 s[28:29], vcc
	s_cbranch_execz .LBB12_2268
; %bb.2261:                             ;   in Loop: Header=BB12_2088 Depth=3
	s_trap 2
	ds_read_b64 v[8:9], v0
	s_mov_b64 s[56:57], 0
                                        ; implicit-def: $sgpr54_sgpr55
                                        ; implicit-def: $vgpr15
                                        ; implicit-def: $vgpr16
                                        ; implicit-def: $vgpr17
                                        ; implicit-def: $vgpr18
                                        ; implicit-def: $vgpr19
                                        ; implicit-def: $vgpr20
                                        ; implicit-def: $vgpr21
                                        ; implicit-def: $vgpr22
                                        ; implicit-def: $vgpr23
                                        ; implicit-def: $vgpr24
                                        ; implicit-def: $vgpr25
                                        ; implicit-def: $vgpr26
                                        ; implicit-def: $vgpr27
                                        ; implicit-def: $vgpr32
                                        ; implicit-def: $vgpr33
                                        ; implicit-def: $vgpr34
	s_waitcnt lgkmcnt(0)
	v_add_co_u32_e32 v8, vcc, v8, v0
	v_addc_co_u32_e32 v9, vcc, v9, v5, vcc
	s_branch .LBB12_2263
.LBB12_2262:                            ;   in Loop: Header=BB12_2263 Depth=4
	s_or_b64 exec, exec, s[58:59]
	s_waitcnt vmcnt(0) lgkmcnt(0)
	flat_store_short v[6:7], v0 glc slc
	flat_store_short v[6:7], v5 offset:128 glc slc
	flat_store_short v[6:7], v28 offset:256 glc slc
	;; [unrolled: 1-line block ×15, first 2 shown]
	v_add_co_u32_e32 v0, vcc, v6, v10
	v_addc_co_u32_e32 v5, vcc, v7, v11, vcc
	v_add_co_u32_e32 v6, vcc, s80, v0
	v_addc_co_u32_e32 v7, vcc, 0, v5, vcc
	;; [unrolled: 2-line block ×3, first 2 shown]
	v_sub_u32_e32 v10, v41, v40
	v_cmp_gt_i32_e32 vcc, 1, v10
	s_or_b64 s[30:31], vcc, s[30:31]
	s_andn2_b64 vcc, s[54:55], exec
	s_and_b64 s[54:55], s[56:57], exec
	s_or_b64 s[54:55], vcc, s[54:55]
	s_andn2_b64 exec, exec, s[30:31]
	s_cbranch_execz .LBB12_2267
.LBB12_2263:                            ;   Parent Loop BB12_47 Depth=1
                                        ;     Parent Loop BB12_2085 Depth=2
                                        ;       Parent Loop BB12_2088 Depth=3
                                        ; =>      This Inner Loop Header: Depth=4
	flat_load_ushort v0, v[8:9] glc slc
	flat_load_ushort v5, v[8:9] offset:128 glc slc
	flat_load_ushort v28, v[8:9] offset:256 glc slc
	flat_load_ushort v35, v[8:9] offset:384 glc slc
	flat_load_ushort v36, v[8:9] offset:512 glc slc
	flat_load_ushort v37, v[8:9] offset:640 glc slc
	flat_load_ushort v38, v[8:9] offset:768 glc slc
	flat_load_ushort v39, v[8:9] offset:896 glc slc
	flat_load_ushort v48, v[8:9] offset:1024 glc slc
	flat_load_ushort v49, v[8:9] offset:1152 glc slc
	flat_load_ushort v50, v[8:9] offset:1280 glc slc
	flat_load_ushort v51, v[8:9] offset:1408 glc slc
	flat_load_ushort v52, v[8:9] offset:1536 glc slc
	flat_load_ushort v53, v[8:9] offset:1664 glc slc
	flat_load_ushort v54, v[8:9] offset:1792 glc slc
	flat_load_ushort v55, v[8:9] offset:1920 glc slc
	s_and_saveexec_b64 s[58:59], s[56:57]
	s_cbranch_execz .LBB12_2265
; %bb.2264:                             ;   in Loop: Header=BB12_2263 Depth=4
	v_accvgpr_read_b32 v11, a36
	flat_store_short v[6:7], v15 glc slc
	flat_store_short v[6:7], v16 offset:128 glc slc
	flat_store_short v[6:7], v17 offset:256 glc slc
	;; [unrolled: 1-line block ×15, first 2 shown]
	v_add_co_u32_e32 v6, vcc, v6, v11
	v_accvgpr_read_b32 v11, a37
	v_addc_co_u32_e32 v7, vcc, v7, v11, vcc
.LBB12_2265:                            ;   in Loop: Header=BB12_2263 Depth=4
	s_or_b64 exec, exec, s[58:59]
	v_accvgpr_read_b32 v11, a36
	v_accvgpr_read_b32 v40, a22
	v_add_co_u32_e32 v8, vcc, v8, v11
	v_accvgpr_read_b32 v11, a37
	v_sub_u32_e32 v41, v10, v40
	v_addc_co_u32_e32 v9, vcc, v9, v11, vcc
	v_cmp_lt_i32_e64 s[56:57], 0, v41
	v_mov_b32_e32 v40, 0
	v_pk_mov_b32 v[10:11], 0, 0
	s_and_saveexec_b64 s[58:59], s[56:57]
	s_cbranch_execz .LBB12_2262
; %bb.2266:                             ;   in Loop: Header=BB12_2263 Depth=4
	flat_load_ushort v15, v[8:9] glc slc
	flat_load_ushort v16, v[8:9] offset:128 glc slc
	flat_load_ushort v17, v[8:9] offset:256 glc slc
	;; [unrolled: 1-line block ×15, first 2 shown]
	v_add_co_u32_e32 v8, vcc, 0x800, v8
	v_accvgpr_read_b32 v10, a28
	v_addc_co_u32_e32 v9, vcc, 0, v9, vcc
	v_accvgpr_read_b32 v40, a22
	v_accvgpr_read_b32 v11, a29
	s_branch .LBB12_2262
.LBB12_2267:                            ;   in Loop: Header=BB12_2088 Depth=3
	s_or_b64 exec, exec, s[30:31]
	s_and_b64 s[30:31], s[54:55], exec
.LBB12_2268:                            ;   in Loop: Header=BB12_2088 Depth=3
	s_or_b64 exec, exec, s[28:29]
	s_and_saveexec_b64 s[28:29], s[30:31]
	s_cbranch_execz .LBB12_2270
; %bb.2269:                             ;   in Loop: Header=BB12_2088 Depth=3
	flat_store_short v[6:7], v15 glc slc
	flat_store_short v[6:7], v16 offset:128 glc slc
	flat_store_short v[6:7], v17 offset:256 glc slc
	;; [unrolled: 1-line block ×15, first 2 shown]
.LBB12_2270:                            ;   in Loop: Header=BB12_2088 Depth=3
	s_or_b64 exec, exec, s[28:29]
	v_lshlrev_b32_e32 v0, 11, v14
	v_cmp_ne_u32_e32 vcc, v43, v0
	s_and_saveexec_b64 s[28:29], vcc
	s_cbranch_execz .LBB12_2281
; %bb.2271:                             ;   in Loop: Header=BB12_2088 Depth=3
	v_lshlrev_b32_e32 v5, 6, v10
	v_sub_u32_e32 v5, v13, v5
	v_ashrrev_i32_e32 v6, 31, v5
	v_lshrrev_b32_e32 v6, 26, v6
	v_add_u32_e32 v6, v5, v6
	v_and_b32_e32 v7, 0x7fffffc0, v6
	v_sub_u32_e32 v5, v5, v7
	v_lshlrev_b32_e32 v6, 1, v6
	v_and_b32_e32 v6, 0xffffff80, v6
	v_lshlrev_b32_e32 v5, 1, v5
	v_add3_u32 v5, v6, v5, v0
	v_add_u32_e32 v0, v5, v12
	v_sub_u32_e32 v8, v43, v5
	v_ashrrev_i32_e32 v5, 31, v0
	v_add_co_u32_e32 v2, vcc, v2, v0
	v_addc_co_u32_e32 v3, vcc, v3, v5, vcc
	v_cmp_lt_i32_e32 vcc, 1, v8
	s_mov_b64 s[54:55], 0
                                        ; implicit-def: $vgpr10
	s_and_saveexec_b64 s[30:31], vcc
	s_cbranch_execz .LBB12_2279
; %bb.2272:                             ;   in Loop: Header=BB12_2088 Depth=3
	s_trap 2
	ds_read_b64 v[6:7], v0
	s_mov_b64 s[58:59], 0
                                        ; implicit-def: $sgpr56_sgpr57
                                        ; implicit-def: $vgpr10
	s_waitcnt lgkmcnt(0)
	v_add_co_u32_e32 v6, vcc, v6, v0
	v_addc_co_u32_e32 v7, vcc, v7, v5, vcc
	s_branch .LBB12_2274
.LBB12_2273:                            ;   in Loop: Header=BB12_2274 Depth=4
	s_or_b64 exec, exec, s[60:61]
	s_waitcnt vmcnt(0) lgkmcnt(0)
	flat_store_short v[2:3], v0 glc slc
	v_add_co_u32_e32 v0, vcc, v2, v8
	v_addc_co_u32_e32 v3, vcc, v3, v9, vcc
	v_add_co_u32_e32 v6, vcc, v6, v8
	v_addc_co_u32_e32 v7, vcc, v7, v9, vcc
	;; [unrolled: 2-line block ×3, first 2 shown]
	v_sub_u32_e32 v8, v5, v11
	v_cmp_gt_i32_e32 vcc, 2, v8
	s_or_b64 s[54:55], vcc, s[54:55]
	s_andn2_b64 vcc, s[56:57], exec
	s_and_b64 s[56:57], s[58:59], exec
	s_or_b64 s[56:57], vcc, s[56:57]
	s_andn2_b64 exec, exec, s[54:55]
	s_cbranch_execz .LBB12_2278
.LBB12_2274:                            ;   Parent Loop BB12_47 Depth=1
                                        ;     Parent Loop BB12_2085 Depth=2
                                        ;       Parent Loop BB12_2088 Depth=3
                                        ; =>      This Inner Loop Header: Depth=4
	flat_load_ushort v0, v[6:7] glc slc
	s_and_saveexec_b64 s[60:61], s[58:59]
	s_cbranch_execz .LBB12_2276
; %bb.2275:                             ;   in Loop: Header=BB12_2274 Depth=4
	v_accvgpr_read_b32 v5, a52
	v_add_co_u32_e32 v12, vcc, v2, v5
	v_accvgpr_read_b32 v5, a53
	v_addc_co_u32_e32 v13, vcc, v3, v5, vcc
	flat_store_short v[2:3], v10 glc slc
	v_pk_mov_b32 v[2:3], v[12:13], v[12:13] op_sel:[0,1]
.LBB12_2276:                            ;   in Loop: Header=BB12_2274 Depth=4
	s_or_b64 exec, exec, s[60:61]
	v_accvgpr_read_b32 v5, a52
	v_add_co_u32_e32 v6, vcc, v6, v5
	v_accvgpr_read_b32 v5, a53
	v_addc_co_u32_e32 v7, vcc, v7, v5, vcc
	v_accvgpr_read_b32 v5, a49
	v_sub_u32_e32 v5, v8, v5
	v_cmp_lt_i32_e64 s[58:59], 1, v5
	v_mov_b32_e32 v11, 0
	v_pk_mov_b32 v[8:9], 0, 0
	s_and_saveexec_b64 s[60:61], s[58:59]
	s_cbranch_execz .LBB12_2273
; %bb.2277:                             ;   in Loop: Header=BB12_2274 Depth=4
	flat_load_ushort v10, v[6:7] glc slc
	v_add_co_u32_e32 v6, vcc, 0x80, v6
	v_accvgpr_read_b32 v8, a50
	v_addc_co_u32_e32 v7, vcc, 0, v7, vcc
	v_accvgpr_read_b32 v11, a49
	v_accvgpr_read_b32 v9, a51
	s_branch .LBB12_2273
.LBB12_2278:                            ;   in Loop: Header=BB12_2088 Depth=3
	s_or_b64 exec, exec, s[54:55]
	s_and_b64 s[54:55], s[56:57], exec
.LBB12_2279:                            ;   in Loop: Header=BB12_2088 Depth=3
	s_or_b64 exec, exec, s[30:31]
	s_and_b64 exec, exec, s[54:55]
	s_cbranch_execz .LBB12_2281
; %bb.2280:                             ;   in Loop: Header=BB12_2088 Depth=3
	flat_store_short v[2:3], v10 glc slc
.LBB12_2281:                            ;   in Loop: Header=BB12_2088 Depth=3
	s_or_b64 exec, exec, s[28:29]
.LBB12_2282:                            ;   in Loop: Header=BB12_2088 Depth=3
	s_or_b64 exec, exec, s[26:27]
.LBB12_2283:                            ;   in Loop: Header=BB12_2088 Depth=3
	s_waitcnt lgkmcnt(0)
	v_accvgpr_read_b32 v10, a0
.LBB12_2284:                            ;   in Loop: Header=BB12_2088 Depth=3
	s_and_saveexec_b64 s[26:27], s[10:11]
	s_cbranch_execz .LBB12_2303
; %bb.2285:                             ;   in Loop: Header=BB12_2088 Depth=3
	s_and_saveexec_b64 s[28:29], s[44:45]
	s_xor_b64 s[28:29], exec, s[28:29]
	s_cbranch_execz .LBB12_2300
; %bb.2286:                             ;   in Loop: Header=BB12_2088 Depth=3
	s_and_saveexec_b64 s[30:31], s[16:17]
	s_cbranch_execz .LBB12_2299
; %bb.2287:                             ;   in Loop: Header=BB12_2088 Depth=3
	s_mov_b64 s[56:57], exec
	v_mbcnt_lo_u32_b32 v0, s56, 0
	v_mbcnt_hi_u32_b32 v0, s57, v0
	v_cmp_eq_u32_e32 vcc, 0, v0
	s_waitcnt vmcnt(0)
	buffer_wbinvl1_vol
	s_and_saveexec_b64 s[54:55], vcc
	s_cbranch_execz .LBB12_2289
; %bb.2288:                             ;   in Loop: Header=BB12_2088 Depth=3
	s_bcnt1_i32_b64 vcc_lo, s[56:57]
	v_mov_b32_e32 v2, vcc_lo
	v_mov_b32_e32 v3, v42
	ds_add_u64 v0, v[2:3]
	s_trap 2
.LBB12_2289:                            ;   in Loop: Header=BB12_2088 Depth=3
	s_or_b64 exec, exec, s[54:55]
	s_trap 2
	ds_read_b64 v[2:3], v0
	v_accvgpr_read_b32 v6, a14
	v_accvgpr_read_b32 v0, a22
	;; [unrolled: 1-line block ×3, first 2 shown]
	v_add_co_u32_e32 v6, vcc, v6, v0
	v_addc_co_u32_e32 v7, vcc, 0, v7, vcc
	v_accvgpr_write_b32 a15, v7
	v_accvgpr_write_b32 a14, v6
	s_waitcnt lgkmcnt(0)
	v_cmp_lt_u64_e32 vcc, v[2:3], v[6:7]
	s_and_saveexec_b64 s[54:55], vcc
	s_cbranch_execz .LBB12_2298
; %bb.2290:                             ;   in Loop: Header=BB12_2088 Depth=3
	s_mov_b32 s66, 0
	s_mov_b64 s[56:57], 0
                                        ; implicit-def: $sgpr58_sgpr59
                                        ; implicit-def: $sgpr60_sgpr61
	s_branch .LBB12_2292
.LBB12_2291:                            ;   in Loop: Header=BB12_2292 Depth=4
	s_or_b64 exec, exec, s[64:65]
	s_and_b64 vcc, exec, vcc
	s_or_b64 s[56:57], vcc, s[56:57]
	s_andn2_b64 vcc, s[58:59], exec
	s_and_b64 s[58:59], s[60:61], exec
	s_or_b64 s[58:59], vcc, s[58:59]
	s_andn2_b64 exec, exec, s[56:57]
	s_cbranch_execz .LBB12_2296
.LBB12_2292:                            ;   Parent Loop BB12_47 Depth=1
                                        ;     Parent Loop BB12_2085 Depth=2
                                        ;       Parent Loop BB12_2088 Depth=3
                                        ; =>      This Inner Loop Header: Depth=4
	s_add_i32 s66, s66, 1
	s_cmpk_lg_i32 s66, 0x2710
	s_cselect_b64 s[62:63], -1, 0
	s_and_b64 vcc, exec, s[62:63]
                                        ; implicit-def: $sgpr64_sgpr65
	s_cbranch_vccnz .LBB12_2294
; %bb.2293:                             ;   in Loop: Header=BB12_2292 Depth=4
	s_trap 2
	ds_read_b64 v[2:3], v0
	s_andn2_b64 s[62:63], s[62:63], exec
	s_mov_b32 s66, 0
	s_mov_b64 s[64:65], -1
	s_waitcnt lgkmcnt(0)
	flat_load_dword v0, v[2:3] glc
	s_waitcnt vmcnt(0) lgkmcnt(0)
	buffer_invl2
	buffer_wbinvl1_vol
	v_cmp_eq_u32_e32 vcc, 0, v0
	s_and_b64 vcc, vcc, exec
	s_or_b64 s[62:63], s[62:63], vcc
.LBB12_2294:                            ;   in Loop: Header=BB12_2292 Depth=4
	s_andn2_b64 s[60:61], s[60:61], exec
	s_and_b64 s[64:65], s[64:65], exec
	s_mov_b64 vcc, -1
	s_or_b64 s[60:61], s[60:61], s[64:65]
	s_and_saveexec_b64 s[64:65], s[62:63]
	s_cbranch_execz .LBB12_2291
; %bb.2295:                             ;   in Loop: Header=BB12_2292 Depth=4
	s_sleep 1
	s_trap 2
	ds_read_b64 v[2:3], v0
	v_accvgpr_read_b32 v6, a14
	v_accvgpr_read_b32 v7, a15
	s_andn2_b64 s[60:61], s[60:61], exec
	s_waitcnt lgkmcnt(0)
	v_cmp_ge_u64_e32 vcc, v[2:3], v[6:7]
	s_orn2_b64 vcc, vcc, exec
	s_branch .LBB12_2291
.LBB12_2296:                            ;   in Loop: Header=BB12_2088 Depth=3
	s_or_b64 exec, exec, s[56:57]
	s_and_saveexec_b64 vcc, s[58:59]
	s_xor_b64 vcc, exec, vcc
	s_cbranch_execz .LBB12_2298
; %bb.2297:                             ;   in Loop: Header=BB12_2088 Depth=3
	v_mov_b32_e32 v0, 1
	ds_write_b32 v0, v0
	s_trap 2
.LBB12_2298:                            ;   in Loop: Header=BB12_2088 Depth=3
	s_or_b64 exec, exec, s[54:55]
	;;#ASMSTART
	s_wakeup
	;;#ASMEND
.LBB12_2299:                            ;   in Loop: Header=BB12_2088 Depth=3
	s_or_b64 exec, exec, s[30:31]
.LBB12_2300:                            ;   in Loop: Header=BB12_2088 Depth=3
	s_andn2_saveexec_b64 s[28:29], s[28:29]
	s_cbranch_execz .LBB12_2302
; %bb.2301:                             ;   in Loop: Header=BB12_2088 Depth=3
	s_waitcnt vmcnt(0) lgkmcnt(0)
	buffer_wbinvl1_vol
	s_barrier
.LBB12_2302:                            ;   in Loop: Header=BB12_2088 Depth=3
	s_or_b64 exec, exec, s[28:29]
.LBB12_2303:                            ;   in Loop: Header=BB12_2088 Depth=3
	s_or_b64 exec, exec, s[26:27]
	v_and_b32_e32 v0, 16, v29
	s_and_saveexec_b64 s[26:27], s[24:25]
	s_xor_b64 s[28:29], exec, s[26:27]
	s_cbranch_execz .LBB12_2307
; %bb.2304:                             ;   in Loop: Header=BB12_2088 Depth=3
	v_and_b32_e32 v2, 16, v29
	v_cmp_lt_i32_e32 vcc, 0, v31
	v_cmp_ne_u32_e64 s[26:27], 0, v2
	v_and_b32_e32 v0, 16, v29
	s_and_b64 vcc, s[26:27], vcc
	s_and_saveexec_b64 s[26:27], vcc
	s_cbranch_execz .LBB12_2306
; %bb.2305:                             ;   in Loop: Header=BB12_2088 Depth=3
	v_mov_b32_e32 v0, 1
	s_waitcnt vmcnt(0) lgkmcnt(0)
	buffer_wbinvl1_vol
.LBB12_2306:                            ;   in Loop: Header=BB12_2088 Depth=3
	s_or_b64 exec, exec, s[26:27]
.LBB12_2307:                            ;   in Loop: Header=BB12_2088 Depth=3
	s_andn2_saveexec_b64 s[26:27], s[28:29]
	s_cbranch_execz .LBB12_2326
; %bb.2308:                             ;   in Loop: Header=BB12_2088 Depth=3
	s_and_saveexec_b64 s[28:29], s[44:45]
	s_xor_b64 s[28:29], exec, s[28:29]
	s_cbranch_execz .LBB12_2323
; %bb.2309:                             ;   in Loop: Header=BB12_2088 Depth=3
	s_and_saveexec_b64 s[30:31], s[16:17]
	s_cbranch_execz .LBB12_2322
; %bb.2310:                             ;   in Loop: Header=BB12_2088 Depth=3
	s_mov_b64 s[56:57], exec
	v_mbcnt_lo_u32_b32 v2, s56, 0
	v_mbcnt_hi_u32_b32 v2, s57, v2
	v_cmp_eq_u32_e32 vcc, 0, v2
	;;#ASMSTART
	s_waitcnt lgkmcnt(0) vmcnt(0)
	;;#ASMEND
	s_and_saveexec_b64 s[54:55], vcc
	s_cbranch_execz .LBB12_2312
; %bb.2311:                             ;   in Loop: Header=BB12_2088 Depth=3
	s_bcnt1_i32_b64 vcc_lo, s[56:57]
	v_mov_b32_e32 v2, vcc_lo
	v_mov_b32_e32 v3, v42
	ds_add_u64 v0, v[2:3]
	s_trap 2
.LBB12_2312:                            ;   in Loop: Header=BB12_2088 Depth=3
	s_or_b64 exec, exec, s[54:55]
	s_trap 2
	ds_read_b64 v[2:3], v0
	v_accvgpr_read_b32 v6, a14
	v_accvgpr_read_b32 v8, a22
	;; [unrolled: 1-line block ×3, first 2 shown]
	v_add_co_u32_e32 v6, vcc, v6, v8
	v_addc_co_u32_e32 v7, vcc, 0, v7, vcc
	v_accvgpr_write_b32 a15, v7
	v_accvgpr_write_b32 a14, v6
	s_waitcnt lgkmcnt(0)
	v_cmp_lt_u64_e32 vcc, v[2:3], v[6:7]
	s_and_saveexec_b64 s[54:55], vcc
	s_cbranch_execz .LBB12_2321
; %bb.2313:                             ;   in Loop: Header=BB12_2088 Depth=3
	s_mov_b32 s66, 0
	s_mov_b64 s[56:57], 0
                                        ; implicit-def: $sgpr58_sgpr59
                                        ; implicit-def: $sgpr60_sgpr61
	s_branch .LBB12_2315
.LBB12_2314:                            ;   in Loop: Header=BB12_2315 Depth=4
	s_or_b64 exec, exec, s[64:65]
	s_and_b64 vcc, exec, vcc
	s_or_b64 s[56:57], vcc, s[56:57]
	s_andn2_b64 vcc, s[58:59], exec
	s_and_b64 s[58:59], s[60:61], exec
	s_or_b64 s[58:59], vcc, s[58:59]
	s_andn2_b64 exec, exec, s[56:57]
	s_cbranch_execz .LBB12_2319
.LBB12_2315:                            ;   Parent Loop BB12_47 Depth=1
                                        ;     Parent Loop BB12_2085 Depth=2
                                        ;       Parent Loop BB12_2088 Depth=3
                                        ; =>      This Inner Loop Header: Depth=4
	s_add_i32 s66, s66, 1
	s_cmpk_lg_i32 s66, 0x2710
	s_cselect_b64 s[62:63], -1, 0
	s_and_b64 vcc, exec, s[62:63]
                                        ; implicit-def: $sgpr64_sgpr65
	s_cbranch_vccnz .LBB12_2317
; %bb.2316:                             ;   in Loop: Header=BB12_2315 Depth=4
	s_trap 2
	ds_read_b64 v[2:3], v0
	s_andn2_b64 s[62:63], s[62:63], exec
	s_mov_b32 s66, 0
	s_mov_b64 s[64:65], -1
	s_waitcnt vmcnt(0) lgkmcnt(0)
	flat_load_dword v2, v[2:3] glc
	s_waitcnt vmcnt(0) lgkmcnt(0)
	buffer_invl2
	buffer_wbinvl1_vol
	v_cmp_eq_u32_e32 vcc, 0, v2
	s_and_b64 vcc, vcc, exec
	s_or_b64 s[62:63], s[62:63], vcc
.LBB12_2317:                            ;   in Loop: Header=BB12_2315 Depth=4
	s_andn2_b64 s[60:61], s[60:61], exec
	s_and_b64 s[64:65], s[64:65], exec
	s_mov_b64 vcc, -1
	s_or_b64 s[60:61], s[60:61], s[64:65]
	s_and_saveexec_b64 s[64:65], s[62:63]
	s_cbranch_execz .LBB12_2314
; %bb.2318:                             ;   in Loop: Header=BB12_2315 Depth=4
	s_sleep 1
	s_trap 2
	ds_read_b64 v[2:3], v0
	v_accvgpr_read_b32 v6, a14
	v_accvgpr_read_b32 v7, a15
	s_andn2_b64 s[60:61], s[60:61], exec
	s_waitcnt lgkmcnt(0)
	v_cmp_ge_u64_e32 vcc, v[2:3], v[6:7]
	s_orn2_b64 vcc, vcc, exec
	s_branch .LBB12_2314
.LBB12_2319:                            ;   in Loop: Header=BB12_2088 Depth=3
	s_or_b64 exec, exec, s[56:57]
	s_and_saveexec_b64 vcc, s[58:59]
	s_xor_b64 vcc, exec, vcc
	s_cbranch_execz .LBB12_2321
; %bb.2320:                             ;   in Loop: Header=BB12_2088 Depth=3
	v_mov_b32_e32 v2, 1
	ds_write_b32 v0, v2
	s_trap 2
.LBB12_2321:                            ;   in Loop: Header=BB12_2088 Depth=3
	s_or_b64 exec, exec, s[54:55]
	;;#ASMSTART
	s_wakeup
	;;#ASMEND
.LBB12_2322:                            ;   in Loop: Header=BB12_2088 Depth=3
	s_or_b64 exec, exec, s[30:31]
.LBB12_2323:                            ;   in Loop: Header=BB12_2088 Depth=3
	s_andn2_saveexec_b64 s[28:29], s[28:29]
	s_cbranch_execz .LBB12_2325
; %bb.2324:                             ;   in Loop: Header=BB12_2088 Depth=3
	;;#ASMSTART
	s_waitcnt lgkmcnt(0) vmcnt(0)
	;;#ASMEND
	s_barrier
.LBB12_2325:                            ;   in Loop: Header=BB12_2088 Depth=3
	s_or_b64 exec, exec, s[28:29]
.LBB12_2326:                            ;   in Loop: Header=BB12_2088 Depth=3
	s_or_b64 exec, exec, s[26:27]
	v_cmp_ne_u32_e32 vcc, 0, v0
	s_xor_b64 s[26:27], s[12:13], -1
	s_and_b64 s[28:29], vcc, s[26:27]
	s_and_saveexec_b64 s[26:27], s[28:29]
	s_cbranch_execz .LBB12_2328
; %bb.2327:                             ;   in Loop: Header=BB12_2088 Depth=3
	v_accvgpr_read_b32 v2, a20
	v_accvgpr_read_b32 v3, a21
	v_mov_b32_e32 v0, 1
	flat_store_dword v[2:3], v0
.LBB12_2328:                            ;   in Loop: Header=BB12_2088 Depth=3
	s_or_b64 exec, exec, s[26:27]
	v_and_b32_e32 v0, 48, v29
	v_cmp_ne_u32_e32 vcc, 0, v0
	s_and_saveexec_b64 s[26:27], vcc
	s_cbranch_execz .LBB12_2087
; %bb.2329:                             ;   in Loop: Header=BB12_2088 Depth=3
	v_add_co_u32_e32 v44, vcc, 2, v44
	v_addc_co_u32_e32 v45, vcc, 0, v45, vcc
	flat_store_dwordx2 v[46:47], v[44:45]
	s_branch .LBB12_2087
.LBB12_2330:                            ;   in Loop: Header=BB12_2085 Depth=2
	s_or_b64 exec, exec, s[34:35]
	v_cmp_gt_i32_e32 vcc, 2, v0
	s_and_saveexec_b64 s[28:29], vcc
	s_cbranch_execz .LBB12_2406
.LBB12_2331:                            ;   in Loop: Header=BB12_2085 Depth=2
	v_cmp_eq_u32_e64 s[26:27], 0, v0
	s_mov_b64 s[30:31], 0
	s_branch .LBB12_2333
.LBB12_2332:                            ;   in Loop: Header=BB12_2333 Depth=3
	s_or_b64 exec, exec, s[26:27]
	v_add_u32_e32 v4, v30, v4
	s_mov_b64 s[26:27], 0
	s_andn2_b64 exec, exec, s[30:31]
	s_cbranch_execz .LBB12_2407
.LBB12_2333:                            ;   Parent Loop BB12_47 Depth=1
                                        ;     Parent Loop BB12_2085 Depth=2
                                        ; =>    This Loop Header: Depth=3
                                        ;         Child Loop BB12_2339 Depth 4
                                        ;         Child Loop BB12_2367 Depth 4
	;; [unrolled: 1-line block ×3, first 2 shown]
	v_and_b32_e32 v0, 12, v29
	s_mov_b64 s[36:37], -1
	v_cmp_ne_u32_e32 vcc, 0, v0
	s_and_saveexec_b64 s[34:35], vcc
	s_cbranch_execz .LBB12_2345
; %bb.2334:                             ;   in Loop: Header=BB12_2333 Depth=3
	v_and_b32_e32 v0, 8, v29
	v_add_co_u32_e32 v6, vcc, v60, v0
	v_addc_co_u32_e32 v7, vcc, 0, v61, vcc
	v_add_co_u32_e32 v2, vcc, 2, v44
	v_addc_co_u32_e32 v3, vcc, 0, v45, vcc
	v_cmp_lt_u64_e32 vcc, v[6:7], v[2:3]
	v_mov_b32_e32 v5, 1
	s_and_saveexec_b64 s[36:37], vcc
	s_cbranch_execz .LBB12_2344
; %bb.2335:                             ;   in Loop: Header=BB12_2333 Depth=3
	s_mov_b64 s[52:53], 0
	v_mov_b32_e32 v5, 0
                                        ; implicit-def: $sgpr54_sgpr55
	s_branch .LBB12_2339
.LBB12_2336:                            ;   in Loop: Header=BB12_2339 Depth=4
	s_or_b64 exec, exec, s[62:63]
	v_mov_b32_e32 v6, 0
	s_orn2_b64 s[60:61], s[60:61], exec
.LBB12_2337:                            ;   in Loop: Header=BB12_2339 Depth=4
	s_or_b64 exec, exec, s[58:59]
	s_andn2_b64 vcc, s[54:55], exec
	s_and_b64 s[54:55], s[60:61], exec
	s_or_b64 s[54:55], vcc, s[54:55]
	v_mov_b32_e32 v5, v6
.LBB12_2338:                            ;   in Loop: Header=BB12_2339 Depth=4
	s_or_b64 exec, exec, s[56:57]
	s_waitcnt vmcnt(0) lgkmcnt(0)
	v_add_co_u32_e32 v6, vcc, v60, v0
	v_addc_co_u32_e32 v7, vcc, 0, v61, vcc
	v_cmp_ge_u64_e32 vcc, v[6:7], v[2:3]
	s_xor_b64 s[56:57], s[54:55], -1
	s_or_b64 vcc, s[56:57], vcc
	s_and_b64 vcc, exec, vcc
	s_or_b64 s[52:53], vcc, s[52:53]
	s_andn2_b64 exec, exec, s[52:53]
	s_cbranch_execz .LBB12_2343
.LBB12_2339:                            ;   Parent Loop BB12_47 Depth=1
                                        ;     Parent Loop BB12_2085 Depth=2
                                        ;       Parent Loop BB12_2333 Depth=3
                                        ; =>      This Inner Loop Header: Depth=4
	s_sleep 1
	flat_load_dwordx2 v[60:61], v[46:47] glc
	v_and_b32_e32 v6, 64, v29
	v_cmp_eq_u32_e32 vcc, 0, v6
	s_andn2_b64 s[54:55], s[54:55], exec
	s_and_saveexec_b64 s[56:57], vcc
	s_cbranch_execz .LBB12_2338
; %bb.2340:                             ;   in Loop: Header=BB12_2339 Depth=4
	v_add_u32_e32 v6, 1, v5
	v_cmp_lt_i32_e32 vcc, s90, v5
	s_mov_b64 s[60:61], -1
	s_and_saveexec_b64 s[58:59], vcc
	s_cbranch_execz .LBB12_2337
; %bb.2341:                             ;   in Loop: Header=BB12_2339 Depth=4
	s_trap 2
	ds_read_b64 v[6:7], v0
	s_waitcnt vmcnt(0) lgkmcnt(0)
	flat_load_dword v5, v[6:7] glc
	s_waitcnt vmcnt(0) lgkmcnt(0)
	buffer_invl2
	buffer_wbinvl1_vol
	v_cmp_ne_u32_e32 vcc, 0, v5
	s_and_saveexec_b64 s[62:63], vcc
	s_cbranch_execz .LBB12_2336
; %bb.2342:                             ;   in Loop: Header=BB12_2339 Depth=4
	v_or_b32_e32 v29, 64, v29
	s_xor_b64 s[60:61], exec, -1
	ds_write_b32 v0, v5
	s_trap 2
	s_branch .LBB12_2336
.LBB12_2343:                            ;   in Loop: Header=BB12_2333 Depth=3
	s_or_b64 exec, exec, s[52:53]
	v_and_b32_e32 v5, 12, v29
.LBB12_2344:                            ;   in Loop: Header=BB12_2333 Depth=3
	s_or_b64 exec, exec, s[36:37]
	v_cmp_eq_u32_e32 vcc, 0, v5
	s_orn2_b64 s[36:37], vcc, exec
	;;#ASMSTART
	s_wakeup
	;;#ASMEND
.LBB12_2345:                            ;   in Loop: Header=BB12_2333 Depth=3
	s_or_b64 exec, exec, s[34:35]
	s_xor_b64 s[26:27], s[26:27], -1
	s_and_b64 s[26:27], exec, s[26:27]
	s_or_b64 s[30:31], s[26:27], s[30:31]
	v_sub_u32_e32 v0, v10, v4
	s_xor_b64 s[26:27], s[36:37], -1
	v_min_i32_e32 v30, v30, v0
	s_and_saveexec_b64 s[34:35], s[26:27]
	s_cbranch_execz .LBB12_2359
; %bb.2346:                             ;   in Loop: Header=BB12_2333 Depth=3
	v_and_b32_e32 v0, 0x108, v29
	v_cmp_ne_u32_e32 vcc, s91, v0
	v_and_b32_e32 v0, 7, v44
	s_and_saveexec_b64 s[26:27], vcc
	s_xor_b64 s[26:27], exec, s[26:27]
                                        ; implicit-def: $vgpr2_vgpr3
; %bb.2347:                             ;   in Loop: Header=BB12_2333 Depth=3
	v_mov_b32_e32 v3, v42
; %bb.2348:                             ;   in Loop: Header=BB12_2333 Depth=3
	s_andn2_saveexec_b64 s[26:27], s[26:27]
	s_cbranch_execz .LBB12_2350
; %bb.2349:                             ;   in Loop: Header=BB12_2333 Depth=3
	v_accvgpr_read_b32 v6, a12
	v_accvgpr_read_b32 v7, a13
	v_ashrrev_i32_e32 v31, 31, v30
	v_mov_b32_e32 v3, v42
	v_mad_u64_u32 v[6:7], vcc, v0, 24, v[6:7]
	v_lshlrev_b64 v[8:9], 1, v[30:31]
	flat_store_dwordx2 v[6:7], v[8:9] offset:8
.LBB12_2350:                            ;   in Loop: Header=BB12_2333 Depth=3
	s_or_b64 exec, exec, s[26:27]
	v_and_b32_e32 v2, 0x100, v29
	v_cmp_ne_u32_e32 vcc, 0, v2
	s_mov_b64 s[26:27], -1
                                        ; implicit-def: $vgpr6_vgpr7
	s_and_saveexec_b64 s[36:37], vcc
	s_cbranch_execz .LBB12_2354
; %bb.2351:                             ;   in Loop: Header=BB12_2333 Depth=3
	v_accvgpr_read_b32 v6, a12
	v_accvgpr_read_b32 v7, a13
	v_mad_u64_u32 v[8:9], s[26:27], v0, 24, v[6:7]
	v_mov_b32_e32 v2, v9
	v_mad_u64_u32 v[6:7], s[26:27], v3, 24, v[2:3]
	v_mov_b32_e32 v9, v6
	flat_load_dword v2, v[8:9]
                                        ; implicit-def: $vgpr6_vgpr7
	s_waitcnt vmcnt(0) lgkmcnt(0)
	v_cmp_ne_u32_e32 vcc, 1, v2
	v_cmp_eq_u32_e64 s[26:27], 1, v2
	s_and_saveexec_b64 s[52:53], s[26:27]
	s_cbranch_execz .LBB12_2353
; %bb.2352:                             ;   in Loop: Header=BB12_2333 Depth=3
	flat_load_dword v6, v[8:9] offset:4 glc
	s_waitcnt vmcnt(0) lgkmcnt(0)
	v_ashrrev_i32_e32 v7, 31, v6
	v_lshrrev_b64 v[6:7], 1, v[6:7]
.LBB12_2353:                            ;   in Loop: Header=BB12_2333 Depth=3
	s_or_b64 exec, exec, s[52:53]
	s_orn2_b64 s[26:27], vcc, exec
.LBB12_2354:                            ;   in Loop: Header=BB12_2333 Depth=3
	s_or_b64 exec, exec, s[36:37]
	s_and_saveexec_b64 vcc, s[26:27]
; %bb.2355:                             ;   in Loop: Header=BB12_2333 Depth=3
	v_accvgpr_read_b32 v6, a16
	v_mul_lo_u32 v2, v3, v6
	v_accvgpr_read_b32 v3, a3
	v_mul_lo_u32 v3, v0, v3
	v_mad_u64_u32 v[6:7], s[26:27], v0, v6, 0
	v_add3_u32 v7, v7, v3, v2
; %bb.2356:                             ;   in Loop: Header=BB12_2333 Depth=3
	s_or_b64 exec, exec, vcc
	v_lshlrev_b64 v[2:3], 1, v[6:7]
	v_accvgpr_read_b32 v6, a18
	v_accvgpr_read_b32 v7, a19
	v_add_co_u32_e32 v2, vcc, v6, v2
	v_addc_co_u32_e32 v3, vcc, v7, v3, vcc
	s_trap 2
	ds_write_b64 v0, v[2:3]
	v_and_b32_e32 v0, 0x2000, v29
	v_cmp_ne_u32_e32 vcc, 0, v0
	s_and_saveexec_b64 s[26:27], vcc
	s_cbranch_execz .LBB12_2358
; %bb.2357:                             ;   in Loop: Header=BB12_2333 Depth=3
	ds_read_b64 v[2:3], v0 offset:584
	s_waitcnt lgkmcnt(0)
	v_add_co_u32_e32 v2, vcc, 1, v2
	v_addc_co_u32_e32 v3, vcc, 0, v3, vcc
	ds_write_b64 v0, v[2:3] offset:584
.LBB12_2358:                            ;   in Loop: Header=BB12_2333 Depth=3
	s_or_b64 exec, exec, s[26:27]
	v_add_co_u32_e32 v44, vcc, 2, v44
	v_addc_co_u32_e32 v45, vcc, 0, v45, vcc
.LBB12_2359:                            ;   in Loop: Header=BB12_2333 Depth=3
	s_or_b64 exec, exec, s[34:35]
	s_and_saveexec_b64 s[26:27], s[10:11]
	s_cbranch_execz .LBB12_2378
; %bb.2360:                             ;   in Loop: Header=BB12_2333 Depth=3
	s_and_saveexec_b64 vcc, s[44:45]
	s_xor_b64 s[34:35], exec, vcc
	s_cbranch_execz .LBB12_2375
; %bb.2361:                             ;   in Loop: Header=BB12_2333 Depth=3
	s_and_saveexec_b64 s[36:37], s[16:17]
	s_cbranch_execz .LBB12_2374
; %bb.2362:                             ;   in Loop: Header=BB12_2333 Depth=3
	s_mov_b64 s[54:55], exec
	v_mbcnt_lo_u32_b32 v0, s54, 0
	v_mbcnt_hi_u32_b32 v0, s55, v0
	v_cmp_eq_u32_e32 vcc, 0, v0
	s_waitcnt vmcnt(0) lgkmcnt(0)
	buffer_wbinvl1_vol
	s_and_saveexec_b64 s[52:53], vcc
	s_cbranch_execz .LBB12_2364
; %bb.2363:                             ;   in Loop: Header=BB12_2333 Depth=3
	s_bcnt1_i32_b64 vcc_lo, s[54:55]
	v_mov_b32_e32 v2, vcc_lo
	v_mov_b32_e32 v3, v42
	ds_add_u64 v0, v[2:3]
	s_trap 2
.LBB12_2364:                            ;   in Loop: Header=BB12_2333 Depth=3
	s_or_b64 exec, exec, s[52:53]
	s_trap 2
	ds_read_b64 v[2:3], v0
	v_accvgpr_read_b32 v6, a14
	v_accvgpr_read_b32 v0, a22
	v_accvgpr_read_b32 v7, a15
	v_add_co_u32_e32 v6, vcc, v6, v0
	v_addc_co_u32_e32 v7, vcc, 0, v7, vcc
	v_accvgpr_write_b32 a15, v7
	v_accvgpr_write_b32 a14, v6
	s_waitcnt lgkmcnt(0)
	v_cmp_lt_u64_e32 vcc, v[2:3], v[6:7]
	s_and_saveexec_b64 s[52:53], vcc
	s_cbranch_execz .LBB12_2373
; %bb.2365:                             ;   in Loop: Header=BB12_2333 Depth=3
	s_mov_b32 s64, 0
	s_mov_b64 s[54:55], 0
                                        ; implicit-def: $sgpr56_sgpr57
                                        ; implicit-def: $sgpr58_sgpr59
	s_branch .LBB12_2367
.LBB12_2366:                            ;   in Loop: Header=BB12_2367 Depth=4
	s_or_b64 exec, exec, s[62:63]
	s_and_b64 vcc, exec, vcc
	s_or_b64 s[54:55], vcc, s[54:55]
	s_andn2_b64 vcc, s[56:57], exec
	s_and_b64 s[56:57], s[58:59], exec
	s_or_b64 s[56:57], vcc, s[56:57]
	s_andn2_b64 exec, exec, s[54:55]
	s_cbranch_execz .LBB12_2371
.LBB12_2367:                            ;   Parent Loop BB12_47 Depth=1
                                        ;     Parent Loop BB12_2085 Depth=2
                                        ;       Parent Loop BB12_2333 Depth=3
                                        ; =>      This Inner Loop Header: Depth=4
	s_add_i32 s64, s64, 1
	s_cmpk_lg_i32 s64, 0x2710
	s_cselect_b64 s[60:61], -1, 0
	s_and_b64 vcc, exec, s[60:61]
                                        ; implicit-def: $sgpr62_sgpr63
	s_cbranch_vccnz .LBB12_2369
; %bb.2368:                             ;   in Loop: Header=BB12_2367 Depth=4
	s_trap 2
	ds_read_b64 v[2:3], v0
	s_andn2_b64 s[60:61], s[60:61], exec
	s_mov_b32 s64, 0
	s_mov_b64 s[62:63], -1
	s_waitcnt lgkmcnt(0)
	flat_load_dword v0, v[2:3] glc
	s_waitcnt vmcnt(0) lgkmcnt(0)
	buffer_invl2
	buffer_wbinvl1_vol
	v_cmp_eq_u32_e32 vcc, 0, v0
	s_and_b64 vcc, vcc, exec
	s_or_b64 s[60:61], s[60:61], vcc
.LBB12_2369:                            ;   in Loop: Header=BB12_2367 Depth=4
	s_andn2_b64 s[58:59], s[58:59], exec
	s_and_b64 s[62:63], s[62:63], exec
	s_mov_b64 vcc, -1
	s_or_b64 s[58:59], s[58:59], s[62:63]
	s_and_saveexec_b64 s[62:63], s[60:61]
	s_cbranch_execz .LBB12_2366
; %bb.2370:                             ;   in Loop: Header=BB12_2367 Depth=4
	s_sleep 1
	s_trap 2
	ds_read_b64 v[2:3], v0
	v_accvgpr_read_b32 v6, a14
	v_accvgpr_read_b32 v7, a15
	s_andn2_b64 s[58:59], s[58:59], exec
	s_waitcnt lgkmcnt(0)
	v_cmp_ge_u64_e32 vcc, v[2:3], v[6:7]
	s_orn2_b64 vcc, vcc, exec
	s_branch .LBB12_2366
.LBB12_2371:                            ;   in Loop: Header=BB12_2333 Depth=3
	s_or_b64 exec, exec, s[54:55]
	s_and_saveexec_b64 vcc, s[56:57]
	s_xor_b64 vcc, exec, vcc
	s_cbranch_execz .LBB12_2373
; %bb.2372:                             ;   in Loop: Header=BB12_2333 Depth=3
	v_mov_b32_e32 v0, 1
	ds_write_b32 v0, v0
	s_trap 2
.LBB12_2373:                            ;   in Loop: Header=BB12_2333 Depth=3
	s_or_b64 exec, exec, s[52:53]
	;;#ASMSTART
	s_wakeup
	;;#ASMEND
.LBB12_2374:                            ;   in Loop: Header=BB12_2333 Depth=3
	s_or_b64 exec, exec, s[36:37]
.LBB12_2375:                            ;   in Loop: Header=BB12_2333 Depth=3
	s_andn2_saveexec_b64 vcc, s[34:35]
	s_cbranch_execz .LBB12_2377
; %bb.2376:                             ;   in Loop: Header=BB12_2333 Depth=3
	s_waitcnt vmcnt(0) lgkmcnt(0)
	buffer_wbinvl1_vol
	s_barrier
.LBB12_2377:                            ;   in Loop: Header=BB12_2333 Depth=3
	s_or_b64 exec, exec, vcc
.LBB12_2378:                            ;   in Loop: Header=BB12_2333 Depth=3
	s_or_b64 exec, exec, s[26:27]
	v_and_b32_e32 v0, 16, v29
	s_and_saveexec_b64 s[26:27], s[24:25]
	s_xor_b64 s[26:27], exec, s[26:27]
	s_cbranch_execz .LBB12_2382
; %bb.2379:                             ;   in Loop: Header=BB12_2333 Depth=3
	s_trap 2
	ds_read_b32 v2, v0
	v_cmp_lt_i32_e32 vcc, 0, v30
	v_and_b32_e32 v3, 16, v29
	v_and_b32_e32 v0, 16, v29
	s_waitcnt lgkmcnt(0)
	v_readfirstlane_b32 s34, v2
	s_cmp_eq_u32 s34, 0
	s_cselect_b64 s[34:35], -1, 0
	s_and_b64 s[34:35], vcc, s[34:35]
	v_cmp_ne_u32_e32 vcc, 0, v3
	s_and_b64 s[34:35], vcc, s[34:35]
	s_and_saveexec_b64 vcc, s[34:35]
	s_cbranch_execz .LBB12_2381
; %bb.2380:                             ;   in Loop: Header=BB12_2333 Depth=3
	v_mov_b32_e32 v0, 1
	s_waitcnt vmcnt(0)
	buffer_wbinvl1_vol
.LBB12_2381:                            ;   in Loop: Header=BB12_2333 Depth=3
	s_or_b64 exec, exec, vcc
.LBB12_2382:                            ;   in Loop: Header=BB12_2333 Depth=3
	s_andn2_saveexec_b64 s[26:27], s[26:27]
	s_cbranch_execz .LBB12_2401
; %bb.2383:                             ;   in Loop: Header=BB12_2333 Depth=3
	s_and_saveexec_b64 vcc, s[44:45]
	s_xor_b64 s[34:35], exec, vcc
	s_cbranch_execz .LBB12_2398
; %bb.2384:                             ;   in Loop: Header=BB12_2333 Depth=3
	s_and_saveexec_b64 s[36:37], s[16:17]
	s_cbranch_execz .LBB12_2397
; %bb.2385:                             ;   in Loop: Header=BB12_2333 Depth=3
	s_mov_b64 s[54:55], exec
	v_mbcnt_lo_u32_b32 v2, s54, 0
	v_mbcnt_hi_u32_b32 v2, s55, v2
	v_cmp_eq_u32_e32 vcc, 0, v2
	;;#ASMSTART
	s_waitcnt lgkmcnt(0) vmcnt(0)
	;;#ASMEND
	s_and_saveexec_b64 s[52:53], vcc
	s_cbranch_execz .LBB12_2387
; %bb.2386:                             ;   in Loop: Header=BB12_2333 Depth=3
	s_bcnt1_i32_b64 vcc_lo, s[54:55]
	v_mov_b32_e32 v2, vcc_lo
	v_mov_b32_e32 v3, v42
	ds_add_u64 v0, v[2:3]
	s_trap 2
.LBB12_2387:                            ;   in Loop: Header=BB12_2333 Depth=3
	s_or_b64 exec, exec, s[52:53]
	s_trap 2
	ds_read_b64 v[2:3], v0
	v_accvgpr_read_b32 v6, a14
	v_accvgpr_read_b32 v8, a22
	;; [unrolled: 1-line block ×3, first 2 shown]
	v_add_co_u32_e32 v6, vcc, v6, v8
	v_addc_co_u32_e32 v7, vcc, 0, v7, vcc
	v_accvgpr_write_b32 a15, v7
	v_accvgpr_write_b32 a14, v6
	s_waitcnt lgkmcnt(0)
	v_cmp_lt_u64_e32 vcc, v[2:3], v[6:7]
	s_and_saveexec_b64 s[52:53], vcc
	s_cbranch_execz .LBB12_2396
; %bb.2388:                             ;   in Loop: Header=BB12_2333 Depth=3
	s_mov_b32 s64, 0
	s_mov_b64 s[54:55], 0
                                        ; implicit-def: $sgpr56_sgpr57
                                        ; implicit-def: $sgpr58_sgpr59
	s_branch .LBB12_2390
.LBB12_2389:                            ;   in Loop: Header=BB12_2390 Depth=4
	s_or_b64 exec, exec, s[62:63]
	s_and_b64 vcc, exec, vcc
	s_or_b64 s[54:55], vcc, s[54:55]
	s_andn2_b64 vcc, s[56:57], exec
	s_and_b64 s[56:57], s[58:59], exec
	s_or_b64 s[56:57], vcc, s[56:57]
	s_andn2_b64 exec, exec, s[54:55]
	s_cbranch_execz .LBB12_2394
.LBB12_2390:                            ;   Parent Loop BB12_47 Depth=1
                                        ;     Parent Loop BB12_2085 Depth=2
                                        ;       Parent Loop BB12_2333 Depth=3
                                        ; =>      This Inner Loop Header: Depth=4
	s_add_i32 s64, s64, 1
	s_cmpk_lg_i32 s64, 0x2710
	s_cselect_b64 s[60:61], -1, 0
	s_and_b64 vcc, exec, s[60:61]
                                        ; implicit-def: $sgpr62_sgpr63
	s_cbranch_vccnz .LBB12_2392
; %bb.2391:                             ;   in Loop: Header=BB12_2390 Depth=4
	s_trap 2
	ds_read_b64 v[2:3], v0
	s_andn2_b64 s[60:61], s[60:61], exec
	s_mov_b32 s64, 0
	s_mov_b64 s[62:63], -1
	s_waitcnt vmcnt(0) lgkmcnt(0)
	flat_load_dword v2, v[2:3] glc
	s_waitcnt vmcnt(0) lgkmcnt(0)
	buffer_invl2
	buffer_wbinvl1_vol
	v_cmp_eq_u32_e32 vcc, 0, v2
	s_and_b64 vcc, vcc, exec
	s_or_b64 s[60:61], s[60:61], vcc
.LBB12_2392:                            ;   in Loop: Header=BB12_2390 Depth=4
	s_andn2_b64 s[58:59], s[58:59], exec
	s_and_b64 s[62:63], s[62:63], exec
	s_mov_b64 vcc, -1
	s_or_b64 s[58:59], s[58:59], s[62:63]
	s_and_saveexec_b64 s[62:63], s[60:61]
	s_cbranch_execz .LBB12_2389
; %bb.2393:                             ;   in Loop: Header=BB12_2390 Depth=4
	s_sleep 1
	s_trap 2
	ds_read_b64 v[2:3], v0
	v_accvgpr_read_b32 v6, a14
	v_accvgpr_read_b32 v7, a15
	s_andn2_b64 s[58:59], s[58:59], exec
	s_waitcnt lgkmcnt(0)
	v_cmp_ge_u64_e32 vcc, v[2:3], v[6:7]
	s_orn2_b64 vcc, vcc, exec
	s_branch .LBB12_2389
.LBB12_2394:                            ;   in Loop: Header=BB12_2333 Depth=3
	s_or_b64 exec, exec, s[54:55]
	s_and_saveexec_b64 vcc, s[56:57]
	s_xor_b64 vcc, exec, vcc
	s_cbranch_execz .LBB12_2396
; %bb.2395:                             ;   in Loop: Header=BB12_2333 Depth=3
	v_mov_b32_e32 v2, 1
	ds_write_b32 v0, v2
	s_trap 2
.LBB12_2396:                            ;   in Loop: Header=BB12_2333 Depth=3
	s_or_b64 exec, exec, s[52:53]
	;;#ASMSTART
	s_wakeup
	;;#ASMEND
.LBB12_2397:                            ;   in Loop: Header=BB12_2333 Depth=3
	s_or_b64 exec, exec, s[36:37]
.LBB12_2398:                            ;   in Loop: Header=BB12_2333 Depth=3
	s_andn2_saveexec_b64 vcc, s[34:35]
	s_cbranch_execz .LBB12_2400
; %bb.2399:                             ;   in Loop: Header=BB12_2333 Depth=3
	;;#ASMSTART
	s_waitcnt lgkmcnt(0) vmcnt(0)
	;;#ASMEND
	s_barrier
.LBB12_2400:                            ;   in Loop: Header=BB12_2333 Depth=3
	s_or_b64 exec, exec, vcc
.LBB12_2401:                            ;   in Loop: Header=BB12_2333 Depth=3
	s_or_b64 exec, exec, s[26:27]
	v_cmp_ne_u32_e32 vcc, 0, v0
	s_xor_b64 s[26:27], s[12:13], -1
	s_and_b64 vcc, vcc, s[26:27]
	s_and_saveexec_b64 s[26:27], vcc
	s_cbranch_execz .LBB12_2403
; %bb.2402:                             ;   in Loop: Header=BB12_2333 Depth=3
	v_accvgpr_read_b32 v2, a20
	v_accvgpr_read_b32 v3, a21
	v_mov_b32_e32 v0, 1
	flat_store_dword v[2:3], v0
.LBB12_2403:                            ;   in Loop: Header=BB12_2333 Depth=3
	s_or_b64 exec, exec, s[26:27]
	v_and_b32_e32 v0, 48, v29
	v_cmp_ne_u32_e32 vcc, 0, v0
	s_and_saveexec_b64 s[26:27], vcc
	s_cbranch_execz .LBB12_2332
; %bb.2404:                             ;   in Loop: Header=BB12_2333 Depth=3
	v_add_co_u32_e32 v44, vcc, 2, v44
	v_addc_co_u32_e32 v45, vcc, 0, v45, vcc
	flat_store_dwordx2 v[46:47], v[44:45]
	s_branch .LBB12_2332
.LBB12_2405:                            ;   in Loop: Header=BB12_2085 Depth=2
	s_or_b64 exec, exec, s[36:37]
	s_or_b64 exec, exec, s[34:35]
	v_cmp_gt_i32_e32 vcc, 2, v0
	s_and_saveexec_b64 s[28:29], vcc
	s_cbranch_execnz .LBB12_2331
.LBB12_2406:                            ;   in Loop: Header=BB12_2085 Depth=2
	s_or_b64 exec, exec, s[28:29]
	s_add_i32 s26, s70, 1
	s_cmp_eq_u32 s70, s89
	s_cbranch_scc0 .LBB12_2408
	s_branch .LBB12_2409
.LBB12_2407:                            ;   in Loop: Header=BB12_2085 Depth=2
	s_or_b64 exec, exec, s[30:31]
	s_or_b64 exec, exec, s[28:29]
	s_add_i32 s26, s70, 1
	s_cmp_eq_u32 s70, s89
	s_cbranch_scc1 .LBB12_2409
.LBB12_2408:                            ;   in Loop: Header=BB12_2085 Depth=2
	s_mov_b32 s70, s26
	s_branch .LBB12_2085
.LBB12_2409:                            ;   in Loop: Header=BB12_47 Depth=1
	v_accvgpr_read_b32 v6, a56
	v_accvgpr_read_b32 v7, a57
	v_mul_lo_u32 v0, v7, s87
	v_mul_lo_u32 v2, v6, s88
	v_mad_u64_u32 v[4:5], s[26:27], v6, s87, 0
	v_add3_u32 v5, v5, v2, v0
	v_accvgpr_read_b32 v2, a58
	v_accvgpr_read_b32 v3, a59
	v_sub_co_u32_e32 v2, vcc, v2, v4
	v_subb_co_u32_e32 v3, vcc, v3, v5, vcc
	v_cmp_lt_i64_e32 vcc, v[6:7], v[2:3]
	v_cndmask_b32_e32 v0, v2, v6, vcc
	v_max_i32_e32 v43, 0, v0
	v_add_u32_e32 v2, 31, v43
	v_lshrrev_b32_e32 v2, 1, v2
	v_and_b32_e32 v2, 0x3ffffff0, v2
	v_cmp_lt_i32_e32 vcc, 0, v0
	v_max_i32_e32 v56, s86, v2
	s_and_b64 s[26:27], s[50:51], vcc
	v_mov_b32_e32 v0, 0
	v_mov_b32_e32 v2, 0
	s_and_saveexec_b64 s[28:29], s[26:27]
	s_cbranch_execz .LBB12_2578
; %bb.2410:                             ;   in Loop: Header=BB12_47 Depth=1
	v_accvgpr_read_b32 v2, a60
	v_accvgpr_read_b32 v3, a61
	v_add_co_u32_e32 v4, vcc, v4, v2
	v_addc_co_u32_e32 v5, vcc, v5, v3, vcc
	s_mov_b32 s66, 1
	s_mov_b64 s[34:35], -1
	s_mov_b64 s[30:31], 0
	v_mov_b32_e32 v2, 0
	v_lshlrev_b64 v[4:5], 1, v[4:5]
	s_branch .LBB12_2412
.LBB12_2411:                            ;   in Loop: Header=BB12_2412 Depth=2
	s_or_b64 exec, exec, s[26:27]
	v_add_u32_e32 v2, v56, v2
	v_cmp_ge_i32_e32 vcc, v2, v43
	s_xor_b64 s[26:27], s[34:35], -1
	s_or_b64 s[26:27], s[26:27], vcc
	s_and_b64 s[26:27], exec, s[26:27]
	s_or_b64 s[30:31], s[26:27], s[30:31]
	s_mov_b64 s[34:35], 0
	v_mov_b32_e32 v0, s66
	s_mov_b32 s66, 2
	s_andn2_b64 exec, exec, s[30:31]
	s_cbranch_execz .LBB12_2577
.LBB12_2412:                            ;   Parent Loop BB12_47 Depth=1
                                        ; =>  This Loop Header: Depth=2
                                        ;       Child Loop BB12_2420 Depth 3
                                        ;       Child Loop BB12_2444 Depth 3
	;; [unrolled: 1-line block ×9, first 2 shown]
	s_and_saveexec_b64 s[26:27], s[4:5]
	s_cbranch_execz .LBB12_2414
; %bb.2413:                             ;   in Loop: Header=BB12_2412 Depth=2
	s_trap 2
	ds_read_b128 v[6:9], v0
	v_ashrrev_i32_e32 v3, 31, v2
	s_waitcnt lgkmcnt(0)
	v_add_co_u32_e32 v0, vcc, v6, v4
	v_addc_co_u32_e32 v11, vcc, v7, v5, vcc
	v_lshlrev_b64 v[6:7], 1, v[2:3]
	v_add_co_u32_e32 v10, vcc, v0, v6
	v_addc_co_u32_e32 v11, vcc, v11, v7, vcc
	ds_write_b64 v0, v[10:11]
	v_add_co_u32_e32 v0, vcc, v8, v4
	v_addc_co_u32_e32 v3, vcc, v9, v5, vcc
	v_add_co_u32_e32 v0, vcc, v0, v6
	v_addc_co_u32_e32 v3, vcc, v3, v7, vcc
	v_cmp_ne_u64_e32 vcc, 0, v[8:9]
	v_cndmask_b32_e32 v7, 0, v3, vcc
	v_cndmask_b32_e32 v6, 0, v0, vcc
	ds_write_b64 v0, v[6:7]
.LBB12_2414:                            ;   in Loop: Header=BB12_2412 Depth=2
	s_or_b64 exec, exec, s[26:27]
	v_and_b32_e32 v0, 4, v29
	v_cmp_ne_u32_e32 vcc, 0, v0
	s_mov_b64 s[36:37], -1
	s_and_saveexec_b64 s[26:27], vcc
	s_cbranch_execz .LBB12_2424
; %bb.2415:                             ;   in Loop: Header=BB12_2412 Depth=2
	v_add_co_u32_e32 v6, vcc, 2, v44
	v_addc_co_u32_e32 v7, vcc, 0, v45, vcc
	v_cmp_lt_u64_e32 vcc, v[60:61], v[6:7]
	v_mov_b32_e32 v0, 1
	s_and_saveexec_b64 s[36:37], vcc
	s_cbranch_execz .LBB12_2435
; %bb.2416:                             ;   in Loop: Header=BB12_2412 Depth=2
	s_mov_b64 s[52:53], 0
	v_mov_b32_e32 v0, 0
                                        ; implicit-def: $sgpr54_sgpr55
	s_branch .LBB12_2420
.LBB12_2417:                            ;   in Loop: Header=BB12_2420 Depth=3
	s_or_b64 exec, exec, s[62:63]
	v_mov_b32_e32 v3, 0
	s_orn2_b64 s[60:61], s[60:61], exec
.LBB12_2418:                            ;   in Loop: Header=BB12_2420 Depth=3
	s_or_b64 exec, exec, s[58:59]
	s_andn2_b64 vcc, s[54:55], exec
	s_and_b64 s[54:55], s[60:61], exec
	s_or_b64 s[54:55], vcc, s[54:55]
	v_mov_b32_e32 v0, v3
.LBB12_2419:                            ;   in Loop: Header=BB12_2420 Depth=3
	s_or_b64 exec, exec, s[56:57]
	s_waitcnt vmcnt(0) lgkmcnt(0)
	v_cmp_ge_u64_e32 vcc, v[60:61], v[6:7]
	s_xor_b64 s[56:57], s[54:55], -1
	s_or_b64 vcc, s[56:57], vcc
	s_and_b64 vcc, exec, vcc
	s_or_b64 s[52:53], vcc, s[52:53]
	s_andn2_b64 exec, exec, s[52:53]
	s_cbranch_execz .LBB12_2434
.LBB12_2420:                            ;   Parent Loop BB12_47 Depth=1
                                        ;     Parent Loop BB12_2412 Depth=2
                                        ; =>    This Inner Loop Header: Depth=3
	s_sleep 1
	flat_load_dwordx2 v[60:61], v[46:47] glc
	v_and_b32_e32 v3, 64, v29
	v_cmp_eq_u32_e32 vcc, 0, v3
	s_andn2_b64 s[54:55], s[54:55], exec
	s_and_saveexec_b64 s[56:57], vcc
	s_cbranch_execz .LBB12_2419
; %bb.2421:                             ;   in Loop: Header=BB12_2420 Depth=3
	v_add_u32_e32 v3, 1, v0
	v_cmp_lt_i32_e32 vcc, s90, v0
	s_mov_b64 s[60:61], -1
	s_and_saveexec_b64 s[58:59], vcc
	s_cbranch_execz .LBB12_2418
; %bb.2422:                             ;   in Loop: Header=BB12_2420 Depth=3
	s_trap 2
	ds_read_b64 v[8:9], v0
	s_waitcnt vmcnt(0) lgkmcnt(0)
	flat_load_dword v0, v[8:9] glc
	s_waitcnt vmcnt(0) lgkmcnt(0)
	buffer_invl2
	buffer_wbinvl1_vol
	v_cmp_ne_u32_e32 vcc, 0, v0
	s_and_saveexec_b64 s[62:63], vcc
	s_cbranch_execz .LBB12_2417
; %bb.2423:                             ;   in Loop: Header=BB12_2420 Depth=3
	v_or_b32_e32 v29, 64, v29
	s_xor_b64 s[60:61], exec, -1
	ds_write_b32 v0, v0
	s_trap 2
	s_branch .LBB12_2417
.LBB12_2424:                            ;   in Loop: Header=BB12_2412 Depth=2
	s_or_b64 exec, exec, s[26:27]
	s_xor_b64 s[26:27], s[36:37], -1
	s_and_saveexec_b64 s[36:37], s[26:27]
	s_cbranch_execz .LBB12_2436
.LBB12_2425:                            ;   in Loop: Header=BB12_2412 Depth=2
	v_and_b32_e32 v0, 0x100, v29
	v_cmp_ne_u32_e32 vcc, 0, v0
	v_and_b32_e32 v0, 7, v44
	s_mov_b64 s[26:27], -1
                                        ; implicit-def: $vgpr6_vgpr7
	s_and_saveexec_b64 s[52:53], vcc
	s_cbranch_execz .LBB12_2429
; %bb.2426:                             ;   in Loop: Header=BB12_2412 Depth=2
	v_accvgpr_read_b32 v6, a12
	v_accvgpr_read_b32 v7, a13
	v_mad_u64_u32 v[8:9], s[26:27], v0, 24, v[6:7]
	flat_load_dword v3, v[8:9]
                                        ; implicit-def: $vgpr6_vgpr7
	s_waitcnt vmcnt(0) lgkmcnt(0)
	v_cmp_ne_u32_e32 vcc, 1, v3
	v_cmp_eq_u32_e64 s[26:27], 1, v3
	s_and_saveexec_b64 s[54:55], s[26:27]
	s_cbranch_execz .LBB12_2428
; %bb.2427:                             ;   in Loop: Header=BB12_2412 Depth=2
	flat_load_dword v6, v[8:9] offset:4 glc
	s_waitcnt vmcnt(0) lgkmcnt(0)
	v_ashrrev_i32_e32 v7, 31, v6
	v_lshrrev_b64 v[6:7], 1, v[6:7]
.LBB12_2428:                            ;   in Loop: Header=BB12_2412 Depth=2
	s_or_b64 exec, exec, s[54:55]
	s_orn2_b64 s[26:27], vcc, exec
.LBB12_2429:                            ;   in Loop: Header=BB12_2412 Depth=2
	s_or_b64 exec, exec, s[52:53]
	s_and_saveexec_b64 vcc, s[26:27]
; %bb.2430:                             ;   in Loop: Header=BB12_2412 Depth=2
	v_accvgpr_read_b32 v6, a16
	v_mad_i64_i32 v[6:7], s[26:27], v0, v6, 0
; %bb.2431:                             ;   in Loop: Header=BB12_2412 Depth=2
	s_or_b64 exec, exec, vcc
	v_lshlrev_b64 v[6:7], 1, v[6:7]
	v_accvgpr_read_b32 v8, a18
	v_accvgpr_read_b32 v9, a19
	v_add_co_u32_e32 v6, vcc, v8, v6
	v_addc_co_u32_e32 v7, vcc, v9, v7, vcc
	ds_write_b64 v0, v[6:7] offset:720
	v_and_b32_e32 v0, 0x2000, v29
	v_cmp_ne_u32_e32 vcc, 0, v0
	s_and_saveexec_b64 s[26:27], vcc
	s_cbranch_execz .LBB12_2433
; %bb.2432:                             ;   in Loop: Header=BB12_2412 Depth=2
	ds_read_b64 v[6:7], v0 offset:584
	s_waitcnt lgkmcnt(0)
	v_add_co_u32_e32 v6, vcc, 1, v6
	v_addc_co_u32_e32 v7, vcc, 0, v7, vcc
	ds_write_b64 v0, v[6:7] offset:584
.LBB12_2433:                            ;   in Loop: Header=BB12_2412 Depth=2
	s_or_b64 exec, exec, s[26:27]
	v_add_co_u32_e32 v44, vcc, 2, v44
	v_addc_co_u32_e32 v45, vcc, 0, v45, vcc
	s_or_b64 exec, exec, s[36:37]
	s_and_saveexec_b64 s[26:27], s[10:11]
	s_cbranch_execz .LBB12_2455
	s_branch .LBB12_2437
.LBB12_2434:                            ;   in Loop: Header=BB12_2412 Depth=2
	s_or_b64 exec, exec, s[52:53]
	v_and_b32_e32 v0, 4, v29
.LBB12_2435:                            ;   in Loop: Header=BB12_2412 Depth=2
	s_or_b64 exec, exec, s[36:37]
	v_cmp_eq_u32_e32 vcc, 0, v0
	s_orn2_b64 s[36:37], vcc, exec
	;;#ASMSTART
	s_wakeup
	;;#ASMEND
	s_or_b64 exec, exec, s[26:27]
	s_xor_b64 s[26:27], s[36:37], -1
	s_and_saveexec_b64 s[36:37], s[26:27]
	s_cbranch_execnz .LBB12_2425
.LBB12_2436:                            ;   in Loop: Header=BB12_2412 Depth=2
	s_or_b64 exec, exec, s[36:37]
	s_and_saveexec_b64 s[26:27], s[10:11]
	s_cbranch_execz .LBB12_2455
.LBB12_2437:                            ;   in Loop: Header=BB12_2412 Depth=2
	s_and_saveexec_b64 vcc, s[44:45]
	s_xor_b64 s[36:37], exec, vcc
	s_cbranch_execz .LBB12_2452
; %bb.2438:                             ;   in Loop: Header=BB12_2412 Depth=2
	s_and_saveexec_b64 s[52:53], s[16:17]
	s_cbranch_execz .LBB12_2451
; %bb.2439:                             ;   in Loop: Header=BB12_2412 Depth=2
	s_mov_b64 s[56:57], exec
	v_mbcnt_lo_u32_b32 v0, s56, 0
	v_mbcnt_hi_u32_b32 v0, s57, v0
	v_cmp_eq_u32_e32 vcc, 0, v0
	s_waitcnt vmcnt(0) lgkmcnt(0)
	buffer_wbinvl1_vol
	s_and_saveexec_b64 s[54:55], vcc
	s_cbranch_execz .LBB12_2441
; %bb.2440:                             ;   in Loop: Header=BB12_2412 Depth=2
	s_bcnt1_i32_b64 vcc_lo, s[56:57]
	v_mov_b32_e32 v6, vcc_lo
	v_mov_b32_e32 v7, v42
	ds_add_u64 v0, v[6:7]
	s_trap 2
.LBB12_2441:                            ;   in Loop: Header=BB12_2412 Depth=2
	s_or_b64 exec, exec, s[54:55]
	s_trap 2
	ds_read_b64 v[6:7], v0
	v_accvgpr_read_b32 v8, a14
	v_accvgpr_read_b32 v0, a22
	;; [unrolled: 1-line block ×3, first 2 shown]
	v_add_co_u32_e32 v8, vcc, v8, v0
	v_addc_co_u32_e32 v9, vcc, 0, v9, vcc
	v_accvgpr_write_b32 a15, v9
	v_accvgpr_write_b32 a14, v8
	s_waitcnt lgkmcnt(0)
	v_cmp_lt_u64_e32 vcc, v[6:7], v[8:9]
	s_and_saveexec_b64 s[54:55], vcc
	s_cbranch_execz .LBB12_2450
; %bb.2442:                             ;   in Loop: Header=BB12_2412 Depth=2
	s_mov_b32 s67, 0
	s_mov_b64 s[56:57], 0
                                        ; implicit-def: $sgpr58_sgpr59
                                        ; implicit-def: $sgpr60_sgpr61
	s_branch .LBB12_2444
.LBB12_2443:                            ;   in Loop: Header=BB12_2444 Depth=3
	s_or_b64 exec, exec, s[64:65]
	s_and_b64 vcc, exec, vcc
	s_or_b64 s[56:57], vcc, s[56:57]
	s_andn2_b64 vcc, s[58:59], exec
	s_and_b64 s[58:59], s[60:61], exec
	s_or_b64 s[58:59], vcc, s[58:59]
	s_andn2_b64 exec, exec, s[56:57]
	s_cbranch_execz .LBB12_2448
.LBB12_2444:                            ;   Parent Loop BB12_47 Depth=1
                                        ;     Parent Loop BB12_2412 Depth=2
                                        ; =>    This Inner Loop Header: Depth=3
	s_add_i32 s67, s67, 1
	s_cmpk_lg_i32 s67, 0x2710
	s_cselect_b64 s[62:63], -1, 0
	s_and_b64 vcc, exec, s[62:63]
                                        ; implicit-def: $sgpr64_sgpr65
	s_cbranch_vccnz .LBB12_2446
; %bb.2445:                             ;   in Loop: Header=BB12_2444 Depth=3
	s_trap 2
	ds_read_b64 v[6:7], v0
	s_andn2_b64 s[62:63], s[62:63], exec
	s_mov_b32 s67, 0
	s_mov_b64 s[64:65], -1
	s_waitcnt lgkmcnt(0)
	flat_load_dword v0, v[6:7] glc
	s_waitcnt vmcnt(0) lgkmcnt(0)
	buffer_invl2
	buffer_wbinvl1_vol
	v_cmp_eq_u32_e32 vcc, 0, v0
	s_and_b64 vcc, vcc, exec
	s_or_b64 s[62:63], s[62:63], vcc
.LBB12_2446:                            ;   in Loop: Header=BB12_2444 Depth=3
	s_andn2_b64 s[60:61], s[60:61], exec
	s_and_b64 s[64:65], s[64:65], exec
	s_mov_b64 vcc, -1
	s_or_b64 s[60:61], s[60:61], s[64:65]
	s_and_saveexec_b64 s[64:65], s[62:63]
	s_cbranch_execz .LBB12_2443
; %bb.2447:                             ;   in Loop: Header=BB12_2444 Depth=3
	s_sleep 1
	s_trap 2
	ds_read_b64 v[6:7], v0
	v_accvgpr_read_b32 v8, a14
	v_accvgpr_read_b32 v9, a15
	s_andn2_b64 s[60:61], s[60:61], exec
	s_waitcnt lgkmcnt(0)
	v_cmp_ge_u64_e32 vcc, v[6:7], v[8:9]
	s_orn2_b64 vcc, vcc, exec
	s_branch .LBB12_2443
.LBB12_2448:                            ;   in Loop: Header=BB12_2412 Depth=2
	s_or_b64 exec, exec, s[56:57]
	s_and_saveexec_b64 vcc, s[58:59]
	s_xor_b64 vcc, exec, vcc
	s_cbranch_execz .LBB12_2450
; %bb.2449:                             ;   in Loop: Header=BB12_2412 Depth=2
	v_mov_b32_e32 v0, 1
	ds_write_b32 v0, v0
	s_trap 2
.LBB12_2450:                            ;   in Loop: Header=BB12_2412 Depth=2
	s_or_b64 exec, exec, s[54:55]
	;;#ASMSTART
	s_wakeup
	;;#ASMEND
.LBB12_2451:                            ;   in Loop: Header=BB12_2412 Depth=2
	s_or_b64 exec, exec, s[52:53]
.LBB12_2452:                            ;   in Loop: Header=BB12_2412 Depth=2
	s_andn2_saveexec_b64 vcc, s[36:37]
	s_cbranch_execz .LBB12_2454
; %bb.2453:                             ;   in Loop: Header=BB12_2412 Depth=2
	s_waitcnt vmcnt(0) lgkmcnt(0)
	buffer_wbinvl1_vol
	s_barrier
.LBB12_2454:                            ;   in Loop: Header=BB12_2412 Depth=2
	s_or_b64 exec, exec, vcc
.LBB12_2455:                            ;   in Loop: Header=BB12_2412 Depth=2
	s_or_b64 exec, exec, s[26:27]
	s_trap 2
	ds_read_b32 v0, v0
	v_and_b32_e32 v3, 0x4000, v29
	v_cmp_ne_u32_e32 vcc, 0, v3
	s_xor_b64 s[26:27], s[6:7], -1
	s_and_b64 vcc, s[26:27], vcc
	s_and_saveexec_b64 s[26:27], vcc
	s_cbranch_execz .LBB12_2474
; %bb.2456:                             ;   in Loop: Header=BB12_2412 Depth=2
	s_and_saveexec_b64 vcc, s[44:45]
	s_xor_b64 s[36:37], exec, vcc
	s_cbranch_execz .LBB12_2471
; %bb.2457:                             ;   in Loop: Header=BB12_2412 Depth=2
	s_and_saveexec_b64 s[52:53], s[16:17]
	s_cbranch_execz .LBB12_2470
; %bb.2458:                             ;   in Loop: Header=BB12_2412 Depth=2
	s_mov_b64 s[56:57], exec
	v_mbcnt_lo_u32_b32 v3, s56, 0
	v_mbcnt_hi_u32_b32 v3, s57, v3
	v_cmp_eq_u32_e32 vcc, 0, v3
	s_waitcnt vmcnt(0) lgkmcnt(0)
	buffer_wbinvl1_vol
	s_and_saveexec_b64 s[54:55], vcc
	s_cbranch_execz .LBB12_2460
; %bb.2459:                             ;   in Loop: Header=BB12_2412 Depth=2
	s_bcnt1_i32_b64 vcc_lo, s[56:57]
	v_mov_b32_e32 v6, vcc_lo
	v_mov_b32_e32 v7, v42
	ds_add_u64 v0, v[6:7]
	s_trap 2
.LBB12_2460:                            ;   in Loop: Header=BB12_2412 Depth=2
	s_or_b64 exec, exec, s[54:55]
	s_trap 2
	ds_read_b64 v[6:7], v0
	v_accvgpr_read_b32 v8, a14
	v_accvgpr_read_b32 v10, a22
	;; [unrolled: 1-line block ×3, first 2 shown]
	v_add_co_u32_e32 v8, vcc, v8, v10
	v_addc_co_u32_e32 v9, vcc, 0, v9, vcc
	v_accvgpr_write_b32 a15, v9
	v_accvgpr_write_b32 a14, v8
	s_waitcnt lgkmcnt(0)
	v_cmp_lt_u64_e32 vcc, v[6:7], v[8:9]
	s_and_saveexec_b64 s[54:55], vcc
	s_cbranch_execz .LBB12_2469
; %bb.2461:                             ;   in Loop: Header=BB12_2412 Depth=2
	s_mov_b32 s67, 0
	s_mov_b64 s[56:57], 0
                                        ; implicit-def: $sgpr58_sgpr59
                                        ; implicit-def: $sgpr60_sgpr61
	s_branch .LBB12_2463
.LBB12_2462:                            ;   in Loop: Header=BB12_2463 Depth=3
	s_or_b64 exec, exec, s[64:65]
	s_and_b64 vcc, exec, vcc
	s_or_b64 s[56:57], vcc, s[56:57]
	s_andn2_b64 vcc, s[58:59], exec
	s_and_b64 s[58:59], s[60:61], exec
	s_or_b64 s[58:59], vcc, s[58:59]
	s_andn2_b64 exec, exec, s[56:57]
	s_cbranch_execz .LBB12_2467
.LBB12_2463:                            ;   Parent Loop BB12_47 Depth=1
                                        ;     Parent Loop BB12_2412 Depth=2
                                        ; =>    This Inner Loop Header: Depth=3
	s_add_i32 s67, s67, 1
	s_cmpk_lg_i32 s67, 0x2710
	s_cselect_b64 s[62:63], -1, 0
	s_and_b64 vcc, exec, s[62:63]
                                        ; implicit-def: $sgpr64_sgpr65
	s_cbranch_vccnz .LBB12_2465
; %bb.2464:                             ;   in Loop: Header=BB12_2463 Depth=3
	s_trap 2
	ds_read_b64 v[6:7], v0
	s_andn2_b64 s[62:63], s[62:63], exec
	s_mov_b32 s67, 0
	s_mov_b64 s[64:65], -1
	s_waitcnt lgkmcnt(0)
	flat_load_dword v3, v[6:7] glc
	s_waitcnt vmcnt(0) lgkmcnt(0)
	buffer_invl2
	buffer_wbinvl1_vol
	v_cmp_eq_u32_e32 vcc, 0, v3
	s_and_b64 vcc, vcc, exec
	s_or_b64 s[62:63], s[62:63], vcc
.LBB12_2465:                            ;   in Loop: Header=BB12_2463 Depth=3
	s_andn2_b64 s[60:61], s[60:61], exec
	s_and_b64 s[64:65], s[64:65], exec
	s_mov_b64 vcc, -1
	s_or_b64 s[60:61], s[60:61], s[64:65]
	s_and_saveexec_b64 s[64:65], s[62:63]
	s_cbranch_execz .LBB12_2462
; %bb.2466:                             ;   in Loop: Header=BB12_2463 Depth=3
	s_sleep 1
	s_trap 2
	ds_read_b64 v[6:7], v0
	v_accvgpr_read_b32 v8, a14
	v_accvgpr_read_b32 v9, a15
	s_andn2_b64 s[60:61], s[60:61], exec
	s_waitcnt lgkmcnt(0)
	v_cmp_ge_u64_e32 vcc, v[6:7], v[8:9]
	s_orn2_b64 vcc, vcc, exec
	s_branch .LBB12_2462
.LBB12_2467:                            ;   in Loop: Header=BB12_2412 Depth=2
	s_or_b64 exec, exec, s[56:57]
	s_and_saveexec_b64 vcc, s[58:59]
	s_xor_b64 vcc, exec, vcc
	s_cbranch_execz .LBB12_2469
; %bb.2468:                             ;   in Loop: Header=BB12_2412 Depth=2
	v_mov_b32_e32 v3, 1
	ds_write_b32 v0, v3
	s_trap 2
.LBB12_2469:                            ;   in Loop: Header=BB12_2412 Depth=2
	s_or_b64 exec, exec, s[54:55]
	;;#ASMSTART
	s_wakeup
	;;#ASMEND
.LBB12_2470:                            ;   in Loop: Header=BB12_2412 Depth=2
	s_or_b64 exec, exec, s[52:53]
.LBB12_2471:                            ;   in Loop: Header=BB12_2412 Depth=2
	s_andn2_saveexec_b64 vcc, s[36:37]
	s_cbranch_execz .LBB12_2473
; %bb.2472:                             ;   in Loop: Header=BB12_2412 Depth=2
	s_waitcnt vmcnt(0) lgkmcnt(0)
	buffer_wbinvl1_vol
	s_barrier
.LBB12_2473:                            ;   in Loop: Header=BB12_2412 Depth=2
	s_or_b64 exec, exec, vcc
.LBB12_2474:                            ;   in Loop: Header=BB12_2412 Depth=2
	s_or_b64 exec, exec, s[26:27]
	s_trap 2
	s_waitcnt lgkmcnt(0)
	ds_read_b64 v[6:7], v0
	v_sub_u32_e32 v3, v43, v2
	v_min_i32_e32 v56, v56, v3
	v_mov_b32_e32 v57, 0
	s_waitcnt lgkmcnt(0)
	v_readfirstlane_b32 s26, v6
	v_readfirstlane_b32 s27, v7
	s_cmp_eq_u64 s[26:27], 0
	s_cselect_b64 s[26:27], -1, 0
	s_or_b64 s[26:27], s[26:27], s[26:27]
	s_and_b64 vcc, exec, s[26:27]
	s_cbranch_vccnz .LBB12_2488
; %bb.2475:                             ;   in Loop: Header=BB12_2412 Depth=2
	s_mov_b64 s[26:27], -1
	s_and_saveexec_b64 s[36:37], s[20:21]
	s_cbranch_execz .LBB12_2477
; %bb.2476:                             ;   in Loop: Header=BB12_2412 Depth=2
	ds_read_b32 v3, v0 offset:720
	s_waitcnt lgkmcnt(0)
	v_and_b32_e32 v3, 15, v3
	v_cmp_eq_u32_e32 vcc, 0, v3
	s_orn2_b64 s[26:27], vcc, exec
.LBB12_2477:                            ;   in Loop: Header=BB12_2412 Depth=2
	s_or_b64 exec, exec, s[36:37]
	s_and_saveexec_b64 s[36:37], s[18:19]
	s_cbranch_execz .LBB12_2479
; %bb.2478:                             ;   in Loop: Header=BB12_2412 Depth=2
	ds_read_b32 v3, v0 offset:784
	s_waitcnt lgkmcnt(0)
	v_and_b32_e32 v3, 15, v3
	v_cmp_eq_u32_e32 vcc, 0, v3
	s_and_b64 vcc, s[26:27], vcc
	s_andn2_b64 s[26:27], s[26:27], exec
	s_and_b64 vcc, vcc, exec
	s_or_b64 s[26:27], s[26:27], vcc
.LBB12_2479:                            ;   in Loop: Header=BB12_2412 Depth=2
	s_or_b64 exec, exec, s[36:37]
	s_xor_b64 s[26:27], s[26:27], -1
	v_cmp_eq_u32_e32 vcc, 0, v0
	v_cndmask_b32_e64 v0, 0, 1, s[26:27]
	;;#ASMSTART
	;;#ASMEND
	s_trap 2
	ds_read_b64 v[30:31], v0
	v_cndmask_b32_e32 v57, 0, v56, vcc
	v_lshlrev_b32_e32 v58, 1, v57
	s_mov_b64 s[26:27], -1
	v_cmp_ne_u32_e32 vcc, 0, v0
	s_cbranch_vccz .LBB12_2500
; %bb.2480:                             ;   in Loop: Header=BB12_2412 Depth=2
	s_mov_b64 s[36:37], -1
	s_mov_b32 s52, 0
	s_cbranch_execnz .LBB12_2501
.LBB12_2481:                            ;   in Loop: Header=BB12_2412 Depth=2
	v_ashrrev_i32_e32 v0, 31, v58
	v_lshrrev_b32_e32 v0, 20, v0
	v_add_u32_e32 v0, v58, v0
	v_accvgpr_read_b32 v6, a42
	v_ashrrev_i32_e32 v0, 12, v0
	v_accvgpr_read_b32 v3, a31
	s_waitcnt lgkmcnt(0)
	v_add_co_u32_e32 v6, vcc, v30, v6
	v_accvgpr_read_b32 v7, a43
	v_sub_u32_e32 v3, v0, v3
	v_addc_co_u32_e32 v7, vcc, v31, v7, vcc
	v_cmp_lt_i32_e32 vcc, 0, v3
	s_mov_b64 s[52:53], 0
                                        ; implicit-def: $vgpr8_vgpr9
                                        ; implicit-def: $vgpr12_vgpr13
                                        ; implicit-def: $vgpr16_vgpr17
                                        ; implicit-def: $vgpr20_vgpr21
	s_and_saveexec_b64 s[26:27], vcc
	s_cbranch_execz .LBB12_2503
; %bb.2482:                             ;   in Loop: Header=BB12_2412 Depth=2
	s_trap 2
	ds_read_b64 v[8:9], v0
	v_accvgpr_read_b32 v10, a42
	v_accvgpr_read_b32 v11, a43
	s_mov_b64 s[56:57], 0
                                        ; implicit-def: $sgpr54_sgpr55
                                        ; implicit-def: $vgpr12_vgpr13
                                        ; implicit-def: $vgpr16_vgpr17
                                        ; implicit-def: $vgpr20_vgpr21
	s_waitcnt lgkmcnt(0)
	v_add_co_u32_e32 v52, vcc, v8, v10
	v_addc_co_u32_e32 v53, vcc, v9, v11, vcc
                                        ; implicit-def: $vgpr8_vgpr9
	s_branch .LBB12_2484
.LBB12_2483:                            ;   in Loop: Header=BB12_2484 Depth=3
	s_or_b64 exec, exec, s[58:59]
	s_waitcnt vmcnt(0)
	global_store_dwordx4 v[6:7], v[24:27], off glc slc
	global_store_dwordx4 v[6:7], v[32:35], off offset:1024 glc slc
	global_store_dwordx4 v[6:7], v[36:39], off offset:2048 glc slc
	;; [unrolled: 1-line block ×3, first 2 shown]
	v_add_co_u32_e32 v6, vcc, v6, v54
	v_addc_co_u32_e32 v7, vcc, v7, v55, vcc
	v_add_co_u32_e32 v6, vcc, s78, v6
	v_addc_co_u32_e32 v7, vcc, 0, v7, vcc
	;; [unrolled: 2-line block ×3, first 2 shown]
	v_sub_u32_e32 v3, v3, v28
	v_cmp_gt_i32_e32 vcc, 1, v3
	s_or_b64 s[52:53], vcc, s[52:53]
	s_andn2_b64 vcc, s[54:55], exec
	s_and_b64 s[54:55], s[56:57], exec
	s_or_b64 s[54:55], vcc, s[54:55]
	s_andn2_b64 exec, exec, s[52:53]
	s_cbranch_execz .LBB12_2502
.LBB12_2484:                            ;   Parent Loop BB12_47 Depth=1
                                        ;     Parent Loop BB12_2412 Depth=2
                                        ; =>    This Inner Loop Header: Depth=3
	global_load_dwordx4 v[24:27], v[52:53], off glc slc
	global_load_dwordx4 v[32:35], v[52:53], off offset:1024 glc slc
	global_load_dwordx4 v[36:39], v[52:53], off offset:2048 glc slc
	global_load_dwordx4 v[48:51], v[52:53], off offset:3072 glc slc
	s_and_saveexec_b64 s[58:59], s[56:57]
	s_cbranch_execz .LBB12_2486
; %bb.2485:                             ;   in Loop: Header=BB12_2484 Depth=3
	v_accvgpr_read_b32 v28, a33
	global_store_dwordx4 v[6:7], v[8:11], off glc slc
	global_store_dwordx4 v[6:7], v[12:15], off offset:1024 glc slc
	global_store_dwordx4 v[6:7], v[16:19], off offset:2048 glc slc
	;; [unrolled: 1-line block ×3, first 2 shown]
	v_add_co_u32_e32 v6, vcc, v6, v28
	v_accvgpr_read_b32 v28, a34
	v_addc_co_u32_e32 v7, vcc, v7, v28, vcc
.LBB12_2486:                            ;   in Loop: Header=BB12_2484 Depth=3
	s_or_b64 exec, exec, s[58:59]
	v_accvgpr_read_b32 v28, a33
	v_add_co_u32_e32 v52, vcc, v52, v28
	v_accvgpr_read_b32 v28, a34
	v_addc_co_u32_e32 v53, vcc, v53, v28, vcc
	v_accvgpr_read_b32 v28, a22
	v_sub_u32_e32 v3, v3, v28
	v_cmp_lt_i32_e64 s[56:57], 0, v3
	v_mov_b32_e32 v28, 0
	v_pk_mov_b32 v[54:55], 0, 0
	s_and_saveexec_b64 s[58:59], s[56:57]
	s_cbranch_execz .LBB12_2483
; %bb.2487:                             ;   in Loop: Header=BB12_2484 Depth=3
	global_load_dwordx4 v[8:11], v[52:53], off glc slc
	global_load_dwordx4 v[12:15], v[52:53], off offset:1024 glc slc
	global_load_dwordx4 v[16:19], v[52:53], off offset:2048 glc slc
	global_load_dwordx4 v[20:23], v[52:53], off offset:3072 glc slc
	v_add_co_u32_e32 v52, vcc, 0x1000, v52
	v_accvgpr_read_b32 v55, a27
	v_addc_co_u32_e32 v53, vcc, 0, v53, vcc
	v_accvgpr_read_b32 v28, a22
	v_accvgpr_read_b32 v54, a26
	s_branch .LBB12_2483
.LBB12_2488:                            ;   in Loop: Header=BB12_2412 Depth=2
	s_and_saveexec_b64 s[26:27], s[10:11]
	s_cbranch_execz .LBB12_2553
.LBB12_2489:                            ;   in Loop: Header=BB12_2412 Depth=2
	s_and_saveexec_b64 vcc, s[44:45]
	s_xor_b64 s[36:37], exec, vcc
	s_cbranch_execz .LBB12_2519
; %bb.2490:                             ;   in Loop: Header=BB12_2412 Depth=2
	s_and_saveexec_b64 s[52:53], s[16:17]
	s_cbranch_execz .LBB12_2518
; %bb.2491:                             ;   in Loop: Header=BB12_2412 Depth=2
	s_mov_b64 s[56:57], exec
	v_mbcnt_lo_u32_b32 v0, s56, 0
	v_mbcnt_hi_u32_b32 v0, s57, v0
	v_cmp_eq_u32_e32 vcc, 0, v0
	s_waitcnt vmcnt(0) lgkmcnt(0)
	buffer_wbinvl1_vol
	s_and_saveexec_b64 s[54:55], vcc
	s_cbranch_execz .LBB12_2493
; %bb.2492:                             ;   in Loop: Header=BB12_2412 Depth=2
	s_bcnt1_i32_b64 vcc_lo, s[56:57]
	v_mov_b32_e32 v6, vcc_lo
	v_mov_b32_e32 v7, v42
	ds_add_u64 v0, v[6:7]
	s_trap 2
.LBB12_2493:                            ;   in Loop: Header=BB12_2412 Depth=2
	s_or_b64 exec, exec, s[54:55]
	s_trap 2
	ds_read_b64 v[6:7], v0
	v_accvgpr_read_b32 v8, a14
	v_accvgpr_read_b32 v0, a22
	;; [unrolled: 1-line block ×3, first 2 shown]
	v_add_co_u32_e32 v8, vcc, v8, v0
	v_addc_co_u32_e32 v9, vcc, 0, v9, vcc
	v_accvgpr_write_b32 a15, v9
	v_accvgpr_write_b32 a14, v8
	s_waitcnt lgkmcnt(0)
	v_cmp_lt_u64_e32 vcc, v[6:7], v[8:9]
	s_and_saveexec_b64 s[54:55], vcc
	s_cbranch_execz .LBB12_2517
; %bb.2494:                             ;   in Loop: Header=BB12_2412 Depth=2
	s_mov_b32 s67, 0
	s_mov_b64 s[56:57], 0
                                        ; implicit-def: $sgpr58_sgpr59
                                        ; implicit-def: $sgpr60_sgpr61
	s_branch .LBB12_2496
.LBB12_2495:                            ;   in Loop: Header=BB12_2496 Depth=3
	s_or_b64 exec, exec, s[64:65]
	s_and_b64 vcc, exec, vcc
	s_or_b64 s[56:57], vcc, s[56:57]
	s_andn2_b64 vcc, s[58:59], exec
	s_and_b64 s[58:59], s[60:61], exec
	s_or_b64 s[58:59], vcc, s[58:59]
	s_andn2_b64 exec, exec, s[56:57]
	s_cbranch_execz .LBB12_2515
.LBB12_2496:                            ;   Parent Loop BB12_47 Depth=1
                                        ;     Parent Loop BB12_2412 Depth=2
                                        ; =>    This Inner Loop Header: Depth=3
	s_add_i32 s67, s67, 1
	s_cmpk_lg_i32 s67, 0x2710
	s_cselect_b64 s[62:63], -1, 0
	s_and_b64 vcc, exec, s[62:63]
                                        ; implicit-def: $sgpr64_sgpr65
	s_cbranch_vccnz .LBB12_2498
; %bb.2497:                             ;   in Loop: Header=BB12_2496 Depth=3
	s_trap 2
	ds_read_b64 v[6:7], v0
	s_andn2_b64 s[62:63], s[62:63], exec
	s_mov_b32 s67, 0
	s_mov_b64 s[64:65], -1
	s_waitcnt lgkmcnt(0)
	flat_load_dword v0, v[6:7] glc
	s_waitcnt vmcnt(0) lgkmcnt(0)
	buffer_invl2
	buffer_wbinvl1_vol
	v_cmp_eq_u32_e32 vcc, 0, v0
	s_and_b64 vcc, vcc, exec
	s_or_b64 s[62:63], s[62:63], vcc
.LBB12_2498:                            ;   in Loop: Header=BB12_2496 Depth=3
	s_andn2_b64 s[60:61], s[60:61], exec
	s_and_b64 s[64:65], s[64:65], exec
	s_mov_b64 vcc, -1
	s_or_b64 s[60:61], s[60:61], s[64:65]
	s_and_saveexec_b64 s[64:65], s[62:63]
	s_cbranch_execz .LBB12_2495
; %bb.2499:                             ;   in Loop: Header=BB12_2496 Depth=3
	s_sleep 1
	s_trap 2
	ds_read_b64 v[6:7], v0
	v_accvgpr_read_b32 v8, a14
	v_accvgpr_read_b32 v9, a15
	s_andn2_b64 s[60:61], s[60:61], exec
	s_waitcnt lgkmcnt(0)
	v_cmp_ge_u64_e32 vcc, v[6:7], v[8:9]
	s_orn2_b64 vcc, vcc, exec
	s_branch .LBB12_2495
.LBB12_2500:                            ;   in Loop: Header=BB12_2412 Depth=2
	s_mov_b64 s[36:37], 0
                                        ; implicit-def: $sgpr52
	s_andn2_b64 vcc, exec, s[26:27]
	s_cbranch_vccz .LBB12_2481
.LBB12_2501:                            ;   in Loop: Header=BB12_2412 Depth=2
	v_mov_b32_e32 v12, s52
	v_accvgpr_read_b32 v13, a38
	v_accvgpr_read_b32 v6, a31
	;; [unrolled: 1-line block ×3, first 2 shown]
	s_and_saveexec_b64 s[26:27], s[36:37]
	s_cbranch_execnz .LBB12_2530
	s_branch .LBB12_2552
.LBB12_2502:                            ;   in Loop: Header=BB12_2412 Depth=2
	s_or_b64 exec, exec, s[52:53]
	s_and_b64 s[52:53], s[54:55], exec
.LBB12_2503:                            ;   in Loop: Header=BB12_2412 Depth=2
	s_or_b64 exec, exec, s[26:27]
	s_and_saveexec_b64 s[26:27], s[52:53]
	s_cbranch_execz .LBB12_2505
; %bb.2504:                             ;   in Loop: Header=BB12_2412 Depth=2
	global_store_dwordx4 v[6:7], v[8:11], off glc slc
	global_store_dwordx4 v[6:7], v[12:15], off offset:1024 glc slc
	global_store_dwordx4 v[6:7], v[16:19], off offset:2048 glc slc
	;; [unrolled: 1-line block ×3, first 2 shown]
.LBB12_2505:                            ;   in Loop: Header=BB12_2412 Depth=2
	s_or_b64 exec, exec, s[26:27]
	v_lshlrev_b32_e32 v18, 12, v0
	v_cmp_ne_u32_e32 vcc, v58, v18
                                        ; implicit-def: $vgpr12
                                        ; implicit-def: $vgpr13
                                        ; implicit-def: $vgpr6
                                        ; implicit-def: $vgpr0
	s_and_saveexec_b64 s[52:53], vcc
	s_cbranch_execz .LBB12_2529
; %bb.2506:                             ;   in Loop: Header=BB12_2412 Depth=2
	v_lshlrev_b32_e32 v0, 6, v3
	v_accvgpr_read_b32 v3, a38
	v_sub_u32_e32 v0, v3, v0
	v_ashrrev_i32_e32 v3, 31, v0
	v_lshrrev_b32_e32 v3, 26, v3
	v_add_u32_e32 v3, v0, v3
	v_ashrrev_i32_e32 v7, 6, v3
	v_and_b32_e32 v3, 0xffffffc0, v3
	v_sub_u32_e32 v19, v0, v3
	v_lshlrev_b32_e32 v0, 4, v19
	v_sub_u32_e32 v6, v58, v18
	v_lshl_add_u32 v3, v7, 10, v0
	v_add_u32_e32 v0, v3, v18
	v_sub_u32_e32 v23, v6, v3
	v_ashrrev_i32_e32 v3, 31, v6
	v_lshrrev_b32_e32 v3, 22, v3
	v_add_u32_e32 v3, v6, v3
	v_and_b32_e32 v20, 0xfffffc00, v3
	v_sub_u32_e32 v22, v6, v20
	v_ashrrev_i32_e32 v8, 10, v3
	v_cmp_lt_i32_e64 s[26:27], 15, v22
	v_addc_co_u32_e64 v3, vcc, 0, v8, s[26:27]
	v_sub_u32_e32 v21, v3, v7
	v_ashrrev_i32_e32 v3, 31, v0
	v_add_co_u32_e32 v6, vcc, v0, v30
	v_addc_co_u32_e32 v7, vcc, v3, v31, vcc
	v_cmp_lt_i32_e32 vcc, 15, v23
	s_mov_b64 s[56:57], 0
                                        ; implicit-def: $vgpr8_vgpr9
	s_and_saveexec_b64 s[54:55], vcc
	s_cbranch_execz .LBB12_2524
; %bb.2507:                             ;   in Loop: Header=BB12_2412 Depth=2
	s_trap 2
	ds_read_b64 v[8:9], v0
	s_mov_b64 s[60:61], 0
                                        ; implicit-def: $sgpr58_sgpr59
	s_waitcnt lgkmcnt(0)
	v_add_co_u32_e32 v16, vcc, v8, v0
	v_addc_co_u32_e32 v17, vcc, v9, v3, vcc
                                        ; implicit-def: $vgpr8_vgpr9
	s_branch .LBB12_2509
.LBB12_2508:                            ;   in Loop: Header=BB12_2509 Depth=3
	s_or_b64 exec, exec, s[62:63]
	v_cmp_gt_i32_e32 vcc, 16, v23
	s_or_b64 s[56:57], vcc, s[56:57]
	s_andn2_b64 vcc, s[58:59], exec
	s_and_b64 s[58:59], s[60:61], exec
	s_or_b64 s[58:59], vcc, s[58:59]
	s_andn2_b64 exec, exec, s[56:57]
	s_cbranch_execz .LBB12_2523
.LBB12_2509:                            ;   Parent Loop BB12_47 Depth=1
                                        ;     Parent Loop BB12_2412 Depth=2
                                        ; =>    This Inner Loop Header: Depth=3
	global_load_dwordx4 v[12:15], v[16:17], off glc slc
	s_and_saveexec_b64 s[62:63], s[60:61]
	s_cbranch_execz .LBB12_2511
; %bb.2510:                             ;   in Loop: Header=BB12_2509 Depth=3
	v_accvgpr_read_b32 v0, a39
	v_add_co_u32_e32 v24, vcc, v6, v0
	v_accvgpr_read_b32 v0, a40
	v_addc_co_u32_e32 v25, vcc, v7, v0, vcc
	global_store_dwordx4 v[6:7], v[8:11], off glc slc
	v_pk_mov_b32 v[6:7], v[24:25], v[24:25] op_sel:[0,1]
.LBB12_2511:                            ;   in Loop: Header=BB12_2509 Depth=3
	s_or_b64 exec, exec, s[62:63]
	v_accvgpr_read_b32 v0, a39
	v_add_co_u32_e32 v16, vcc, v16, v0
	v_accvgpr_read_b32 v0, a40
	v_addc_co_u32_e32 v17, vcc, v17, v0, vcc
	v_accvgpr_read_b32 v0, a17
	v_sub_u32_e32 v23, v23, v0
	v_cmp_lt_i32_e64 s[60:61], 15, v23
	s_and_saveexec_b64 s[62:63], s[60:61]
	s_cbranch_execz .LBB12_2513
; %bb.2512:                             ;   in Loop: Header=BB12_2509 Depth=3
	global_load_dwordx4 v[8:11], v[16:17], off glc slc
	v_add_co_u32_e32 v16, vcc, 0x400, v16
	v_addc_co_u32_e32 v17, vcc, 0, v17, vcc
.LBB12_2513:                            ;   in Loop: Header=BB12_2509 Depth=3
	s_or_b64 exec, exec, s[62:63]
	v_accvgpr_read_b32 v0, a22
	s_waitcnt vmcnt(0)
	global_store_dwordx4 v[6:7], v[12:15], off glc slc
	v_add_co_u32_e32 v6, vcc, 0x400, v6
	v_sub_u32_e32 v21, v21, v0
	v_addc_co_u32_e32 v7, vcc, 0, v7, vcc
	s_and_saveexec_b64 s[62:63], s[60:61]
	s_cbranch_execz .LBB12_2508
; %bb.2514:                             ;   in Loop: Header=BB12_2509 Depth=3
	v_accvgpr_read_b32 v0, a32
	v_add_co_u32_e32 v6, vcc, v6, v0
	v_accvgpr_read_b32 v3, a35
	v_addc_co_u32_e32 v7, vcc, v7, v3, vcc
	v_add_co_u32_e32 v16, vcc, v16, v0
	v_accvgpr_read_b32 v0, a17
	v_sub_u32_e32 v23, v23, v0
	v_accvgpr_read_b32 v0, a22
	v_addc_co_u32_e32 v17, vcc, v17, v3, vcc
	v_sub_u32_e32 v21, v21, v0
	s_branch .LBB12_2508
.LBB12_2515:                            ;   in Loop: Header=BB12_2412 Depth=2
	s_or_b64 exec, exec, s[56:57]
	s_and_saveexec_b64 vcc, s[58:59]
	s_xor_b64 vcc, exec, vcc
	s_cbranch_execz .LBB12_2517
; %bb.2516:                             ;   in Loop: Header=BB12_2412 Depth=2
	v_mov_b32_e32 v0, 1
	ds_write_b32 v0, v0
	s_trap 2
.LBB12_2517:                            ;   in Loop: Header=BB12_2412 Depth=2
	s_or_b64 exec, exec, s[54:55]
	;;#ASMSTART
	s_wakeup
	;;#ASMEND
.LBB12_2518:                            ;   in Loop: Header=BB12_2412 Depth=2
	s_or_b64 exec, exec, s[52:53]
.LBB12_2519:                            ;   in Loop: Header=BB12_2412 Depth=2
	s_andn2_saveexec_b64 vcc, s[36:37]
	s_cbranch_execz .LBB12_2521
; %bb.2520:                             ;   in Loop: Header=BB12_2412 Depth=2
	s_waitcnt vmcnt(0) lgkmcnt(0)
	buffer_wbinvl1_vol
	s_barrier
.LBB12_2521:                            ;   in Loop: Header=BB12_2412 Depth=2
	s_or_b64 exec, exec, vcc
	s_or_b64 exec, exec, s[26:27]
	s_and_saveexec_b64 s[26:27], s[24:25]
	s_xor_b64 s[36:37], exec, s[26:27]
	s_cbranch_execnz .LBB12_2554
.LBB12_2522:                            ;   in Loop: Header=BB12_2412 Depth=2
	s_andn2_saveexec_b64 s[26:27], s[36:37]
	s_cbranch_execnz .LBB12_2557
	s_branch .LBB12_2575
.LBB12_2523:                            ;   in Loop: Header=BB12_2412 Depth=2
	s_or_b64 exec, exec, s[56:57]
	s_and_b64 s[56:57], s[58:59], exec
.LBB12_2524:                            ;   in Loop: Header=BB12_2412 Depth=2
	s_or_b64 exec, exec, s[54:55]
	s_and_saveexec_b64 vcc, s[56:57]
	s_cbranch_execz .LBB12_2526
; %bb.2525:                             ;   in Loop: Header=BB12_2412 Depth=2
	global_store_dwordx4 v[6:7], v[8:11], off glc slc
.LBB12_2526:                            ;   in Loop: Header=BB12_2412 Depth=2
	s_or_b64 exec, exec, vcc
	v_and_b32_e32 v3, 14, v58
	v_cndmask_b32_e64 v58, v22, v3, s[26:27]
	v_cmp_ne_u32_e32 vcc, 0, v58
	s_mov_b64 s[54:55], s[36:37]
                                        ; implicit-def: $vgpr12
                                        ; implicit-def: $vgpr13
                                        ; implicit-def: $vgpr6
                                        ; implicit-def: $vgpr0
	s_and_saveexec_b64 s[56:57], vcc
	s_cbranch_execz .LBB12_2528
; %bb.2527:                             ;   in Loop: Header=BB12_2412 Depth=2
	v_sub_u32_e32 v0, v22, v3
	v_cndmask_b32_e64 v0, 0, v0, s[26:27]
	v_add3_u32 v12, v20, v18, v0
	v_cmp_lt_i32_e32 vcc, 0, v21
	v_accvgpr_read_b32 v0, a22
	v_cndmask_b32_e32 v0, 0, v0, vcc
	v_sub_u32_e32 v0, v0, v21
	v_lshl_add_u32 v0, v0, 6, v19
	v_ashrrev_i32_e32 v3, 31, v0
	v_lshrrev_b32_e32 v3, 26, v3
	v_add_u32_e32 v3, v0, v3
	v_ashrrev_i32_e32 v6, 6, v3
	v_and_b32_e32 v3, 0xffffffc0, v3
	v_sub_u32_e32 v13, v0, v3
	v_lshlrev_b32_e32 v0, 11, v6
	s_or_b64 s[54:55], s[36:37], exec
.LBB12_2528:                            ;   in Loop: Header=BB12_2412 Depth=2
	s_or_b64 exec, exec, s[56:57]
	s_andn2_b64 s[26:27], s[36:37], exec
	s_and_b64 vcc, s[54:55], exec
	s_or_b64 s[36:37], s[26:27], vcc
.LBB12_2529:                            ;   in Loop: Header=BB12_2412 Depth=2
	s_or_b64 exec, exec, s[52:53]
	s_and_saveexec_b64 s[26:27], s[36:37]
	s_cbranch_execz .LBB12_2552
.LBB12_2530:                            ;   in Loop: Header=BB12_2412 Depth=2
	v_lshlrev_b32_e32 v3, 1, v13
	v_add3_u32 v0, v12, v3, v0
	v_ashrrev_i32_e32 v3, 31, v58
	v_lshrrev_b32_e32 v3, 21, v3
	v_add_u32_e32 v3, v58, v3
	v_ashrrev_i32_e32 v14, 11, v3
	v_sub_u32_e32 v10, v14, v6
	v_ashrrev_i32_e32 v3, 31, v0
	s_waitcnt lgkmcnt(0)
	v_add_co_u32_e32 v6, vcc, v30, v0
	v_addc_co_u32_e32 v7, vcc, v31, v3, vcc
	v_cmp_lt_i32_e32 vcc, 0, v10
	s_mov_b64 s[52:53], 0
                                        ; implicit-def: $vgpr15
                                        ; implicit-def: $vgpr16
                                        ; implicit-def: $vgpr17
                                        ; implicit-def: $vgpr18
                                        ; implicit-def: $vgpr19
                                        ; implicit-def: $vgpr20
                                        ; implicit-def: $vgpr21
                                        ; implicit-def: $vgpr22
                                        ; implicit-def: $vgpr23
                                        ; implicit-def: $vgpr24
                                        ; implicit-def: $vgpr25
                                        ; implicit-def: $vgpr26
                                        ; implicit-def: $vgpr27
                                        ; implicit-def: $vgpr32
                                        ; implicit-def: $vgpr33
                                        ; implicit-def: $vgpr34
	s_and_saveexec_b64 s[36:37], vcc
	s_cbranch_execz .LBB12_2538
; %bb.2531:                             ;   in Loop: Header=BB12_2412 Depth=2
	s_trap 2
	ds_read_b64 v[8:9], v0
	s_mov_b64 s[56:57], 0
                                        ; implicit-def: $sgpr54_sgpr55
                                        ; implicit-def: $vgpr15
                                        ; implicit-def: $vgpr16
                                        ; implicit-def: $vgpr17
                                        ; implicit-def: $vgpr18
                                        ; implicit-def: $vgpr19
                                        ; implicit-def: $vgpr20
                                        ; implicit-def: $vgpr21
                                        ; implicit-def: $vgpr22
                                        ; implicit-def: $vgpr23
                                        ; implicit-def: $vgpr24
                                        ; implicit-def: $vgpr25
                                        ; implicit-def: $vgpr26
                                        ; implicit-def: $vgpr27
                                        ; implicit-def: $vgpr32
                                        ; implicit-def: $vgpr33
                                        ; implicit-def: $vgpr34
	s_waitcnt lgkmcnt(0)
	v_add_co_u32_e32 v8, vcc, v8, v0
	v_addc_co_u32_e32 v9, vcc, v9, v3, vcc
	s_branch .LBB12_2533
.LBB12_2532:                            ;   in Loop: Header=BB12_2533 Depth=3
	s_or_b64 exec, exec, s[58:59]
	s_waitcnt vmcnt(0) lgkmcnt(0)
	flat_store_short v[6:7], v0 glc slc
	flat_store_short v[6:7], v3 offset:128 glc slc
	flat_store_short v[6:7], v28 offset:256 glc slc
	;; [unrolled: 1-line block ×15, first 2 shown]
	v_add_co_u32_e32 v0, vcc, v6, v10
	v_addc_co_u32_e32 v3, vcc, v7, v11, vcc
	v_add_co_u32_e32 v6, vcc, s80, v0
	v_addc_co_u32_e32 v7, vcc, 0, v3, vcc
	;; [unrolled: 2-line block ×3, first 2 shown]
	v_sub_u32_e32 v10, v41, v40
	v_cmp_gt_i32_e32 vcc, 1, v10
	s_or_b64 s[52:53], vcc, s[52:53]
	s_andn2_b64 vcc, s[54:55], exec
	s_and_b64 s[54:55], s[56:57], exec
	s_or_b64 s[54:55], vcc, s[54:55]
	s_andn2_b64 exec, exec, s[52:53]
	s_cbranch_execz .LBB12_2537
.LBB12_2533:                            ;   Parent Loop BB12_47 Depth=1
                                        ;     Parent Loop BB12_2412 Depth=2
                                        ; =>    This Inner Loop Header: Depth=3
	flat_load_ushort v0, v[8:9] glc slc
	flat_load_ushort v3, v[8:9] offset:128 glc slc
	flat_load_ushort v28, v[8:9] offset:256 glc slc
	;; [unrolled: 1-line block ×15, first 2 shown]
	s_and_saveexec_b64 s[58:59], s[56:57]
	s_cbranch_execz .LBB12_2535
; %bb.2534:                             ;   in Loop: Header=BB12_2533 Depth=3
	v_accvgpr_read_b32 v11, a36
	flat_store_short v[6:7], v15 glc slc
	flat_store_short v[6:7], v16 offset:128 glc slc
	flat_store_short v[6:7], v17 offset:256 glc slc
	;; [unrolled: 1-line block ×15, first 2 shown]
	v_add_co_u32_e32 v6, vcc, v6, v11
	v_accvgpr_read_b32 v11, a37
	v_addc_co_u32_e32 v7, vcc, v7, v11, vcc
.LBB12_2535:                            ;   in Loop: Header=BB12_2533 Depth=3
	s_or_b64 exec, exec, s[58:59]
	v_accvgpr_read_b32 v11, a36
	v_accvgpr_read_b32 v40, a22
	v_add_co_u32_e32 v8, vcc, v8, v11
	v_accvgpr_read_b32 v11, a37
	v_sub_u32_e32 v41, v10, v40
	v_addc_co_u32_e32 v9, vcc, v9, v11, vcc
	v_cmp_lt_i32_e64 s[56:57], 0, v41
	v_mov_b32_e32 v40, 0
	v_pk_mov_b32 v[10:11], 0, 0
	s_and_saveexec_b64 s[58:59], s[56:57]
	s_cbranch_execz .LBB12_2532
; %bb.2536:                             ;   in Loop: Header=BB12_2533 Depth=3
	flat_load_ushort v15, v[8:9] glc slc
	flat_load_ushort v16, v[8:9] offset:128 glc slc
	flat_load_ushort v17, v[8:9] offset:256 glc slc
	;; [unrolled: 1-line block ×15, first 2 shown]
	v_add_co_u32_e32 v8, vcc, 0x800, v8
	v_accvgpr_read_b32 v10, a28
	v_addc_co_u32_e32 v9, vcc, 0, v9, vcc
	v_accvgpr_read_b32 v40, a22
	v_accvgpr_read_b32 v11, a29
	s_branch .LBB12_2532
.LBB12_2537:                            ;   in Loop: Header=BB12_2412 Depth=2
	s_or_b64 exec, exec, s[52:53]
	s_and_b64 s[52:53], s[54:55], exec
.LBB12_2538:                            ;   in Loop: Header=BB12_2412 Depth=2
	s_or_b64 exec, exec, s[36:37]
	s_and_saveexec_b64 vcc, s[52:53]
	s_cbranch_execz .LBB12_2540
; %bb.2539:                             ;   in Loop: Header=BB12_2412 Depth=2
	flat_store_short v[6:7], v15 glc slc
	flat_store_short v[6:7], v16 offset:128 glc slc
	flat_store_short v[6:7], v17 offset:256 glc slc
	;; [unrolled: 1-line block ×15, first 2 shown]
.LBB12_2540:                            ;   in Loop: Header=BB12_2412 Depth=2
	s_or_b64 exec, exec, vcc
	v_lshlrev_b32_e32 v0, 11, v14
	v_cmp_ne_u32_e32 vcc, v58, v0
	s_and_saveexec_b64 s[36:37], vcc
	s_cbranch_execz .LBB12_2551
; %bb.2541:                             ;   in Loop: Header=BB12_2412 Depth=2
	v_lshlrev_b32_e32 v3, 6, v10
	v_sub_u32_e32 v3, v13, v3
	v_ashrrev_i32_e32 v6, 31, v3
	v_lshrrev_b32_e32 v6, 26, v6
	v_add_u32_e32 v6, v3, v6
	v_and_b32_e32 v7, 0x7fffffc0, v6
	v_sub_u32_e32 v3, v3, v7
	v_lshlrev_b32_e32 v6, 1, v6
	v_and_b32_e32 v6, 0xffffff80, v6
	v_lshlrev_b32_e32 v3, 1, v3
	v_add3_u32 v3, v6, v3, v0
	v_add_u32_e32 v0, v3, v12
	v_sub_u32_e32 v10, v58, v3
	v_ashrrev_i32_e32 v3, 31, v0
	v_add_co_u32_e32 v6, vcc, v30, v0
	v_addc_co_u32_e32 v7, vcc, v31, v3, vcc
	v_cmp_lt_i32_e32 vcc, 1, v10
	s_mov_b64 s[54:55], 0
                                        ; implicit-def: $vgpr12
	s_and_saveexec_b64 s[52:53], vcc
	s_cbranch_execz .LBB12_2549
; %bb.2542:                             ;   in Loop: Header=BB12_2412 Depth=2
	s_trap 2
	ds_read_b64 v[8:9], v0
	s_mov_b64 s[58:59], 0
                                        ; implicit-def: $sgpr56_sgpr57
                                        ; implicit-def: $vgpr12
	s_waitcnt lgkmcnt(0)
	v_add_co_u32_e32 v8, vcc, v8, v0
	v_addc_co_u32_e32 v9, vcc, v9, v3, vcc
	s_branch .LBB12_2544
.LBB12_2543:                            ;   in Loop: Header=BB12_2544 Depth=3
	s_or_b64 exec, exec, s[60:61]
	s_waitcnt vmcnt(0) lgkmcnt(0)
	flat_store_short v[6:7], v0 glc slc
	v_add_co_u32_e32 v0, vcc, v6, v10
	v_addc_co_u32_e32 v7, vcc, v7, v11, vcc
	v_add_co_u32_e32 v8, vcc, v8, v10
	v_addc_co_u32_e32 v9, vcc, v9, v11, vcc
	;; [unrolled: 2-line block ×3, first 2 shown]
	v_sub_u32_e32 v10, v3, v13
	v_cmp_gt_i32_e32 vcc, 2, v10
	s_or_b64 s[54:55], vcc, s[54:55]
	s_andn2_b64 vcc, s[56:57], exec
	s_and_b64 s[56:57], s[58:59], exec
	s_or_b64 s[56:57], vcc, s[56:57]
	s_andn2_b64 exec, exec, s[54:55]
	s_cbranch_execz .LBB12_2548
.LBB12_2544:                            ;   Parent Loop BB12_47 Depth=1
                                        ;     Parent Loop BB12_2412 Depth=2
                                        ; =>    This Inner Loop Header: Depth=3
	flat_load_ushort v0, v[8:9] glc slc
	s_and_saveexec_b64 s[60:61], s[58:59]
	s_cbranch_execz .LBB12_2546
; %bb.2545:                             ;   in Loop: Header=BB12_2544 Depth=3
	v_accvgpr_read_b32 v3, a52
	v_add_co_u32_e32 v14, vcc, v6, v3
	v_accvgpr_read_b32 v3, a53
	v_addc_co_u32_e32 v15, vcc, v7, v3, vcc
	flat_store_short v[6:7], v12 glc slc
	v_pk_mov_b32 v[6:7], v[14:15], v[14:15] op_sel:[0,1]
.LBB12_2546:                            ;   in Loop: Header=BB12_2544 Depth=3
	s_or_b64 exec, exec, s[60:61]
	v_accvgpr_read_b32 v3, a52
	v_add_co_u32_e32 v8, vcc, v8, v3
	v_accvgpr_read_b32 v3, a53
	v_addc_co_u32_e32 v9, vcc, v9, v3, vcc
	v_accvgpr_read_b32 v3, a49
	v_sub_u32_e32 v3, v10, v3
	v_cmp_lt_i32_e64 s[58:59], 1, v3
	v_mov_b32_e32 v13, 0
	v_pk_mov_b32 v[10:11], 0, 0
	s_and_saveexec_b64 s[60:61], s[58:59]
	s_cbranch_execz .LBB12_2543
; %bb.2547:                             ;   in Loop: Header=BB12_2544 Depth=3
	flat_load_ushort v12, v[8:9] glc slc
	v_add_co_u32_e32 v8, vcc, 0x80, v8
	v_accvgpr_read_b32 v10, a50
	v_addc_co_u32_e32 v9, vcc, 0, v9, vcc
	v_accvgpr_read_b32 v13, a49
	v_accvgpr_read_b32 v11, a51
	s_branch .LBB12_2543
.LBB12_2548:                            ;   in Loop: Header=BB12_2412 Depth=2
	s_or_b64 exec, exec, s[54:55]
	s_and_b64 s[54:55], s[56:57], exec
.LBB12_2549:                            ;   in Loop: Header=BB12_2412 Depth=2
	s_or_b64 exec, exec, s[52:53]
	s_and_b64 exec, exec, s[54:55]
	s_cbranch_execz .LBB12_2551
; %bb.2550:                             ;   in Loop: Header=BB12_2412 Depth=2
	flat_store_short v[6:7], v12 glc slc
.LBB12_2551:                            ;   in Loop: Header=BB12_2412 Depth=2
	s_or_b64 exec, exec, s[36:37]
.LBB12_2552:                            ;   in Loop: Header=BB12_2412 Depth=2
	s_or_b64 exec, exec, s[26:27]
	s_and_saveexec_b64 s[26:27], s[10:11]
	s_cbranch_execnz .LBB12_2489
.LBB12_2553:                            ;   in Loop: Header=BB12_2412 Depth=2
	s_or_b64 exec, exec, s[26:27]
	s_and_saveexec_b64 s[26:27], s[24:25]
	s_xor_b64 s[36:37], exec, s[26:27]
	s_cbranch_execz .LBB12_2522
.LBB12_2554:                            ;   in Loop: Header=BB12_2412 Depth=2
	v_and_b32_e32 v0, 16, v29
	v_cmp_lt_i32_e32 vcc, 0, v57
	v_cmp_ne_u32_e64 s[26:27], 0, v0
	s_and_b64 vcc, s[26:27], vcc
	s_and_saveexec_b64 s[26:27], vcc
	s_cbranch_execz .LBB12_2556
; %bb.2555:                             ;   in Loop: Header=BB12_2412 Depth=2
	s_waitcnt vmcnt(0) lgkmcnt(0)
	buffer_wbinvl1_vol
.LBB12_2556:                            ;   in Loop: Header=BB12_2412 Depth=2
	s_or_b64 exec, exec, s[26:27]
	s_andn2_saveexec_b64 s[26:27], s[36:37]
	s_cbranch_execz .LBB12_2575
.LBB12_2557:                            ;   in Loop: Header=BB12_2412 Depth=2
	s_and_saveexec_b64 vcc, s[44:45]
	s_xor_b64 s[36:37], exec, vcc
	s_cbranch_execz .LBB12_2572
; %bb.2558:                             ;   in Loop: Header=BB12_2412 Depth=2
	s_and_saveexec_b64 s[52:53], s[16:17]
	s_cbranch_execz .LBB12_2571
; %bb.2559:                             ;   in Loop: Header=BB12_2412 Depth=2
	s_mov_b64 s[56:57], exec
	v_mbcnt_lo_u32_b32 v0, s56, 0
	v_mbcnt_hi_u32_b32 v0, s57, v0
	v_cmp_eq_u32_e32 vcc, 0, v0
	;;#ASMSTART
	s_waitcnt lgkmcnt(0) vmcnt(0)
	;;#ASMEND
	s_and_saveexec_b64 s[54:55], vcc
	s_cbranch_execz .LBB12_2561
; %bb.2560:                             ;   in Loop: Header=BB12_2412 Depth=2
	s_bcnt1_i32_b64 vcc_lo, s[56:57]
	v_mov_b32_e32 v6, vcc_lo
	v_mov_b32_e32 v7, v42
	ds_add_u64 v0, v[6:7]
	s_trap 2
.LBB12_2561:                            ;   in Loop: Header=BB12_2412 Depth=2
	s_or_b64 exec, exec, s[54:55]
	s_trap 2
	ds_read_b64 v[6:7], v0
	v_accvgpr_read_b32 v8, a14
	v_accvgpr_read_b32 v0, a22
	;; [unrolled: 1-line block ×3, first 2 shown]
	v_add_co_u32_e32 v8, vcc, v8, v0
	v_addc_co_u32_e32 v9, vcc, 0, v9, vcc
	v_accvgpr_write_b32 a15, v9
	v_accvgpr_write_b32 a14, v8
	s_waitcnt lgkmcnt(0)
	v_cmp_lt_u64_e32 vcc, v[6:7], v[8:9]
	s_and_saveexec_b64 s[54:55], vcc
	s_cbranch_execz .LBB12_2570
; %bb.2562:                             ;   in Loop: Header=BB12_2412 Depth=2
	s_mov_b32 s67, 0
	s_mov_b64 s[56:57], 0
                                        ; implicit-def: $sgpr58_sgpr59
                                        ; implicit-def: $sgpr60_sgpr61
	s_branch .LBB12_2564
.LBB12_2563:                            ;   in Loop: Header=BB12_2564 Depth=3
	s_or_b64 exec, exec, s[64:65]
	s_and_b64 vcc, exec, vcc
	s_or_b64 s[56:57], vcc, s[56:57]
	s_andn2_b64 vcc, s[58:59], exec
	s_and_b64 s[58:59], s[60:61], exec
	s_or_b64 s[58:59], vcc, s[58:59]
	s_andn2_b64 exec, exec, s[56:57]
	s_cbranch_execz .LBB12_2568
.LBB12_2564:                            ;   Parent Loop BB12_47 Depth=1
                                        ;     Parent Loop BB12_2412 Depth=2
                                        ; =>    This Inner Loop Header: Depth=3
	s_add_i32 s67, s67, 1
	s_cmpk_lg_i32 s67, 0x2710
	s_cselect_b64 s[62:63], -1, 0
	s_and_b64 vcc, exec, s[62:63]
                                        ; implicit-def: $sgpr64_sgpr65
	s_cbranch_vccnz .LBB12_2566
; %bb.2565:                             ;   in Loop: Header=BB12_2564 Depth=3
	s_trap 2
	ds_read_b64 v[6:7], v0
	s_andn2_b64 s[62:63], s[62:63], exec
	s_mov_b32 s67, 0
	s_mov_b64 s[64:65], -1
	s_waitcnt vmcnt(0) lgkmcnt(0)
	flat_load_dword v0, v[6:7] glc
	s_waitcnt vmcnt(0) lgkmcnt(0)
	buffer_invl2
	buffer_wbinvl1_vol
	v_cmp_eq_u32_e32 vcc, 0, v0
	s_and_b64 vcc, vcc, exec
	s_or_b64 s[62:63], s[62:63], vcc
.LBB12_2566:                            ;   in Loop: Header=BB12_2564 Depth=3
	s_andn2_b64 s[60:61], s[60:61], exec
	s_and_b64 s[64:65], s[64:65], exec
	s_mov_b64 vcc, -1
	s_or_b64 s[60:61], s[60:61], s[64:65]
	s_and_saveexec_b64 s[64:65], s[62:63]
	s_cbranch_execz .LBB12_2563
; %bb.2567:                             ;   in Loop: Header=BB12_2564 Depth=3
	s_sleep 1
	s_trap 2
	ds_read_b64 v[6:7], v0
	v_accvgpr_read_b32 v8, a14
	v_accvgpr_read_b32 v9, a15
	s_andn2_b64 s[60:61], s[60:61], exec
	s_waitcnt lgkmcnt(0)
	v_cmp_ge_u64_e32 vcc, v[6:7], v[8:9]
	s_orn2_b64 vcc, vcc, exec
	s_branch .LBB12_2563
.LBB12_2568:                            ;   in Loop: Header=BB12_2412 Depth=2
	s_or_b64 exec, exec, s[56:57]
	s_and_saveexec_b64 vcc, s[58:59]
	s_xor_b64 vcc, exec, vcc
	s_cbranch_execz .LBB12_2570
; %bb.2569:                             ;   in Loop: Header=BB12_2412 Depth=2
	v_mov_b32_e32 v0, 1
	ds_write_b32 v0, v0
	s_trap 2
.LBB12_2570:                            ;   in Loop: Header=BB12_2412 Depth=2
	s_or_b64 exec, exec, s[54:55]
	;;#ASMSTART
	s_wakeup
	;;#ASMEND
.LBB12_2571:                            ;   in Loop: Header=BB12_2412 Depth=2
	s_or_b64 exec, exec, s[52:53]
.LBB12_2572:                            ;   in Loop: Header=BB12_2412 Depth=2
	s_andn2_saveexec_b64 vcc, s[36:37]
	s_cbranch_execz .LBB12_2574
; %bb.2573:                             ;   in Loop: Header=BB12_2412 Depth=2
	;;#ASMSTART
	s_waitcnt lgkmcnt(0) vmcnt(0)
	;;#ASMEND
	s_barrier
.LBB12_2574:                            ;   in Loop: Header=BB12_2412 Depth=2
	s_or_b64 exec, exec, vcc
.LBB12_2575:                            ;   in Loop: Header=BB12_2412 Depth=2
	s_or_b64 exec, exec, s[26:27]
	v_and_b32_e32 v0, 32, v29
	v_cmp_ne_u32_e32 vcc, 0, v0
	s_and_saveexec_b64 s[26:27], vcc
	s_cbranch_execz .LBB12_2411
; %bb.2576:                             ;   in Loop: Header=BB12_2412 Depth=2
	v_add_co_u32_e32 v44, vcc, 2, v44
	v_addc_co_u32_e32 v45, vcc, 0, v45, vcc
	flat_store_dwordx2 v[46:47], v[44:45]
	s_branch .LBB12_2411
.LBB12_2577:                            ;   in Loop: Header=BB12_47 Depth=1
	s_or_b64 exec, exec, s[30:31]
.LBB12_2578:                            ;   in Loop: Header=BB12_47 Depth=1
	s_or_b64 exec, exec, s[28:29]
	v_cmp_gt_i32_e32 vcc, 2, v0
	s_and_saveexec_b64 s[28:29], vcc
	s_cbranch_execz .LBB12_46
; %bb.2579:                             ;   in Loop: Header=BB12_47 Depth=1
	v_cmp_eq_u32_e64 s[26:27], 0, v0
	s_mov_b64 s[30:31], 0
	s_branch .LBB12_2581
.LBB12_2580:                            ;   in Loop: Header=BB12_2581 Depth=2
	s_or_b64 exec, exec, s[26:27]
	v_add_u32_e32 v2, v56, v2
	s_mov_b64 s[26:27], 0
	s_andn2_b64 exec, exec, s[30:31]
	s_cbranch_execz .LBB12_45
.LBB12_2581:                            ;   Parent Loop BB12_47 Depth=1
                                        ; =>  This Loop Header: Depth=2
                                        ;       Child Loop BB12_2587 Depth 3
                                        ;       Child Loop BB12_2611 Depth 3
	;; [unrolled: 1-line block ×3, first 2 shown]
	v_and_b32_e32 v0, 4, v29
	s_mov_b64 s[36:37], -1
	v_cmp_ne_u32_e32 vcc, 0, v0
	s_and_saveexec_b64 s[34:35], vcc
	s_cbranch_execz .LBB12_2593
; %bb.2582:                             ;   in Loop: Header=BB12_2581 Depth=2
	v_add_co_u32_e32 v4, vcc, 2, v44
	v_addc_co_u32_e32 v5, vcc, 0, v45, vcc
	v_cmp_lt_u64_e32 vcc, v[60:61], v[4:5]
	v_mov_b32_e32 v0, 1
	s_and_saveexec_b64 s[36:37], vcc
	s_cbranch_execz .LBB12_2592
; %bb.2583:                             ;   in Loop: Header=BB12_2581 Depth=2
	s_mov_b64 s[52:53], 0
	v_mov_b32_e32 v0, 0
                                        ; implicit-def: $sgpr54_sgpr55
	s_branch .LBB12_2587
.LBB12_2584:                            ;   in Loop: Header=BB12_2587 Depth=3
	s_or_b64 exec, exec, s[62:63]
	v_mov_b32_e32 v3, 0
	s_orn2_b64 s[60:61], s[60:61], exec
.LBB12_2585:                            ;   in Loop: Header=BB12_2587 Depth=3
	s_or_b64 exec, exec, s[58:59]
	s_andn2_b64 vcc, s[54:55], exec
	s_and_b64 s[54:55], s[60:61], exec
	s_or_b64 s[54:55], vcc, s[54:55]
	v_mov_b32_e32 v0, v3
.LBB12_2586:                            ;   in Loop: Header=BB12_2587 Depth=3
	s_or_b64 exec, exec, s[56:57]
	s_waitcnt vmcnt(0) lgkmcnt(0)
	v_cmp_ge_u64_e32 vcc, v[60:61], v[4:5]
	s_xor_b64 s[56:57], s[54:55], -1
	s_or_b64 vcc, s[56:57], vcc
	s_and_b64 vcc, exec, vcc
	s_or_b64 s[52:53], vcc, s[52:53]
	s_andn2_b64 exec, exec, s[52:53]
	s_cbranch_execz .LBB12_2591
.LBB12_2587:                            ;   Parent Loop BB12_47 Depth=1
                                        ;     Parent Loop BB12_2581 Depth=2
                                        ; =>    This Inner Loop Header: Depth=3
	s_sleep 1
	flat_load_dwordx2 v[60:61], v[46:47] glc
	v_and_b32_e32 v3, 64, v29
	v_cmp_eq_u32_e32 vcc, 0, v3
	s_andn2_b64 s[54:55], s[54:55], exec
	s_and_saveexec_b64 s[56:57], vcc
	s_cbranch_execz .LBB12_2586
; %bb.2588:                             ;   in Loop: Header=BB12_2587 Depth=3
	v_add_u32_e32 v3, 1, v0
	v_cmp_lt_i32_e32 vcc, s90, v0
	s_mov_b64 s[60:61], -1
	s_and_saveexec_b64 s[58:59], vcc
	s_cbranch_execz .LBB12_2585
; %bb.2589:                             ;   in Loop: Header=BB12_2587 Depth=3
	s_trap 2
	ds_read_b64 v[6:7], v0
	s_waitcnt vmcnt(0) lgkmcnt(0)
	flat_load_dword v0, v[6:7] glc
	s_waitcnt vmcnt(0) lgkmcnt(0)
	buffer_invl2
	buffer_wbinvl1_vol
	v_cmp_ne_u32_e32 vcc, 0, v0
	s_and_saveexec_b64 s[62:63], vcc
	s_cbranch_execz .LBB12_2584
; %bb.2590:                             ;   in Loop: Header=BB12_2587 Depth=3
	v_or_b32_e32 v29, 64, v29
	s_xor_b64 s[60:61], exec, -1
	ds_write_b32 v0, v0
	s_trap 2
	s_branch .LBB12_2584
.LBB12_2591:                            ;   in Loop: Header=BB12_2581 Depth=2
	s_or_b64 exec, exec, s[52:53]
	v_and_b32_e32 v0, 4, v29
.LBB12_2592:                            ;   in Loop: Header=BB12_2581 Depth=2
	s_or_b64 exec, exec, s[36:37]
	v_cmp_eq_u32_e32 vcc, 0, v0
	s_orn2_b64 s[36:37], vcc, exec
	;;#ASMSTART
	s_wakeup
	;;#ASMEND
.LBB12_2593:                            ;   in Loop: Header=BB12_2581 Depth=2
	s_or_b64 exec, exec, s[34:35]
	s_xor_b64 s[26:27], s[26:27], -1
	s_and_b64 s[26:27], exec, s[26:27]
	s_or_b64 s[30:31], s[26:27], s[30:31]
	s_xor_b64 s[26:27], s[36:37], -1
	s_and_saveexec_b64 s[34:35], s[26:27]
	s_cbranch_execz .LBB12_2603
; %bb.2594:                             ;   in Loop: Header=BB12_2581 Depth=2
	v_and_b32_e32 v0, 0x100, v29
	v_cmp_ne_u32_e32 vcc, 0, v0
	v_and_b32_e32 v0, 7, v44
	s_mov_b64 s[26:27], -1
                                        ; implicit-def: $vgpr4_vgpr5
	s_and_saveexec_b64 s[36:37], vcc
	s_cbranch_execz .LBB12_2598
; %bb.2595:                             ;   in Loop: Header=BB12_2581 Depth=2
	v_accvgpr_read_b32 v4, a12
	v_accvgpr_read_b32 v5, a13
	v_mad_u64_u32 v[6:7], s[26:27], v0, 24, v[4:5]
	flat_load_dword v3, v[6:7]
                                        ; implicit-def: $vgpr4_vgpr5
	s_waitcnt vmcnt(0) lgkmcnt(0)
	v_cmp_ne_u32_e32 vcc, 1, v3
	v_cmp_eq_u32_e64 s[26:27], 1, v3
	s_and_saveexec_b64 s[52:53], s[26:27]
	s_cbranch_execz .LBB12_2597
; %bb.2596:                             ;   in Loop: Header=BB12_2581 Depth=2
	flat_load_dword v4, v[6:7] offset:4 glc
	s_waitcnt vmcnt(0) lgkmcnt(0)
	v_ashrrev_i32_e32 v5, 31, v4
	v_lshrrev_b64 v[4:5], 1, v[4:5]
.LBB12_2597:                            ;   in Loop: Header=BB12_2581 Depth=2
	s_or_b64 exec, exec, s[52:53]
	s_orn2_b64 s[26:27], vcc, exec
.LBB12_2598:                            ;   in Loop: Header=BB12_2581 Depth=2
	s_or_b64 exec, exec, s[36:37]
	s_and_saveexec_b64 vcc, s[26:27]
; %bb.2599:                             ;   in Loop: Header=BB12_2581 Depth=2
	v_accvgpr_read_b32 v4, a16
	v_mad_i64_i32 v[4:5], s[26:27], v0, v4, 0
; %bb.2600:                             ;   in Loop: Header=BB12_2581 Depth=2
	s_or_b64 exec, exec, vcc
	v_lshlrev_b64 v[4:5], 1, v[4:5]
	v_accvgpr_read_b32 v6, a18
	v_accvgpr_read_b32 v7, a19
	v_add_co_u32_e32 v4, vcc, v6, v4
	v_addc_co_u32_e32 v5, vcc, v7, v5, vcc
	ds_write_b64 v0, v[4:5] offset:720
	v_and_b32_e32 v0, 0x2000, v29
	v_cmp_ne_u32_e32 vcc, 0, v0
	s_and_saveexec_b64 s[26:27], vcc
	s_cbranch_execz .LBB12_2602
; %bb.2601:                             ;   in Loop: Header=BB12_2581 Depth=2
	ds_read_b64 v[4:5], v0 offset:584
	s_waitcnt lgkmcnt(0)
	v_add_co_u32_e32 v4, vcc, 1, v4
	v_addc_co_u32_e32 v5, vcc, 0, v5, vcc
	ds_write_b64 v0, v[4:5] offset:584
.LBB12_2602:                            ;   in Loop: Header=BB12_2581 Depth=2
	s_or_b64 exec, exec, s[26:27]
	v_add_co_u32_e32 v44, vcc, 2, v44
	v_addc_co_u32_e32 v45, vcc, 0, v45, vcc
.LBB12_2603:                            ;   in Loop: Header=BB12_2581 Depth=2
	s_or_b64 exec, exec, s[34:35]
	s_and_saveexec_b64 s[26:27], s[10:11]
	s_cbranch_execz .LBB12_2622
; %bb.2604:                             ;   in Loop: Header=BB12_2581 Depth=2
	s_and_saveexec_b64 vcc, s[44:45]
	s_xor_b64 s[34:35], exec, vcc
	s_cbranch_execz .LBB12_2619
; %bb.2605:                             ;   in Loop: Header=BB12_2581 Depth=2
	s_and_saveexec_b64 s[36:37], s[16:17]
	s_cbranch_execz .LBB12_2618
; %bb.2606:                             ;   in Loop: Header=BB12_2581 Depth=2
	s_mov_b64 s[54:55], exec
	v_mbcnt_lo_u32_b32 v0, s54, 0
	v_mbcnt_hi_u32_b32 v0, s55, v0
	v_cmp_eq_u32_e32 vcc, 0, v0
	s_waitcnt vmcnt(0) lgkmcnt(0)
	buffer_wbinvl1_vol
	s_and_saveexec_b64 s[52:53], vcc
	s_cbranch_execz .LBB12_2608
; %bb.2607:                             ;   in Loop: Header=BB12_2581 Depth=2
	s_bcnt1_i32_b64 vcc_lo, s[54:55]
	v_mov_b32_e32 v4, vcc_lo
	v_mov_b32_e32 v5, v42
	ds_add_u64 v0, v[4:5]
	s_trap 2
.LBB12_2608:                            ;   in Loop: Header=BB12_2581 Depth=2
	s_or_b64 exec, exec, s[52:53]
	s_trap 2
	ds_read_b64 v[4:5], v0
	v_accvgpr_read_b32 v6, a14
	v_accvgpr_read_b32 v0, a22
	;; [unrolled: 1-line block ×3, first 2 shown]
	v_add_co_u32_e32 v6, vcc, v6, v0
	v_addc_co_u32_e32 v7, vcc, 0, v7, vcc
	v_accvgpr_write_b32 a15, v7
	v_accvgpr_write_b32 a14, v6
	s_waitcnt lgkmcnt(0)
	v_cmp_lt_u64_e32 vcc, v[4:5], v[6:7]
	s_and_saveexec_b64 s[52:53], vcc
	s_cbranch_execz .LBB12_2617
; %bb.2609:                             ;   in Loop: Header=BB12_2581 Depth=2
	s_mov_b32 s64, 0
	s_mov_b64 s[54:55], 0
                                        ; implicit-def: $sgpr56_sgpr57
                                        ; implicit-def: $sgpr58_sgpr59
	s_branch .LBB12_2611
.LBB12_2610:                            ;   in Loop: Header=BB12_2611 Depth=3
	s_or_b64 exec, exec, s[62:63]
	s_and_b64 vcc, exec, vcc
	s_or_b64 s[54:55], vcc, s[54:55]
	s_andn2_b64 vcc, s[56:57], exec
	s_and_b64 s[56:57], s[58:59], exec
	s_or_b64 s[56:57], vcc, s[56:57]
	s_andn2_b64 exec, exec, s[54:55]
	s_cbranch_execz .LBB12_2615
.LBB12_2611:                            ;   Parent Loop BB12_47 Depth=1
                                        ;     Parent Loop BB12_2581 Depth=2
                                        ; =>    This Inner Loop Header: Depth=3
	s_add_i32 s64, s64, 1
	s_cmpk_lg_i32 s64, 0x2710
	s_cselect_b64 s[60:61], -1, 0
	s_and_b64 vcc, exec, s[60:61]
                                        ; implicit-def: $sgpr62_sgpr63
	s_cbranch_vccnz .LBB12_2613
; %bb.2612:                             ;   in Loop: Header=BB12_2611 Depth=3
	s_trap 2
	ds_read_b64 v[4:5], v0
	s_andn2_b64 s[60:61], s[60:61], exec
	s_mov_b32 s64, 0
	s_mov_b64 s[62:63], -1
	s_waitcnt lgkmcnt(0)
	flat_load_dword v0, v[4:5] glc
	s_waitcnt vmcnt(0) lgkmcnt(0)
	buffer_invl2
	buffer_wbinvl1_vol
	v_cmp_eq_u32_e32 vcc, 0, v0
	s_and_b64 vcc, vcc, exec
	s_or_b64 s[60:61], s[60:61], vcc
.LBB12_2613:                            ;   in Loop: Header=BB12_2611 Depth=3
	s_andn2_b64 s[58:59], s[58:59], exec
	s_and_b64 s[62:63], s[62:63], exec
	s_mov_b64 vcc, -1
	s_or_b64 s[58:59], s[58:59], s[62:63]
	s_and_saveexec_b64 s[62:63], s[60:61]
	s_cbranch_execz .LBB12_2610
; %bb.2614:                             ;   in Loop: Header=BB12_2611 Depth=3
	s_sleep 1
	s_trap 2
	ds_read_b64 v[4:5], v0
	v_accvgpr_read_b32 v6, a14
	v_accvgpr_read_b32 v7, a15
	s_andn2_b64 s[58:59], s[58:59], exec
	s_waitcnt lgkmcnt(0)
	v_cmp_ge_u64_e32 vcc, v[4:5], v[6:7]
	s_orn2_b64 vcc, vcc, exec
	s_branch .LBB12_2610
.LBB12_2615:                            ;   in Loop: Header=BB12_2581 Depth=2
	s_or_b64 exec, exec, s[54:55]
	s_and_saveexec_b64 vcc, s[56:57]
	s_xor_b64 vcc, exec, vcc
	s_cbranch_execz .LBB12_2617
; %bb.2616:                             ;   in Loop: Header=BB12_2581 Depth=2
	v_mov_b32_e32 v0, 1
	ds_write_b32 v0, v0
	s_trap 2
.LBB12_2617:                            ;   in Loop: Header=BB12_2581 Depth=2
	s_or_b64 exec, exec, s[52:53]
	;;#ASMSTART
	s_wakeup
	;;#ASMEND
.LBB12_2618:                            ;   in Loop: Header=BB12_2581 Depth=2
	s_or_b64 exec, exec, s[36:37]
.LBB12_2619:                            ;   in Loop: Header=BB12_2581 Depth=2
	s_andn2_saveexec_b64 vcc, s[34:35]
	s_cbranch_execz .LBB12_2621
; %bb.2620:                             ;   in Loop: Header=BB12_2581 Depth=2
	s_waitcnt vmcnt(0) lgkmcnt(0)
	buffer_wbinvl1_vol
	s_barrier
.LBB12_2621:                            ;   in Loop: Header=BB12_2581 Depth=2
	s_or_b64 exec, exec, vcc
.LBB12_2622:                            ;   in Loop: Header=BB12_2581 Depth=2
	s_or_b64 exec, exec, s[26:27]
	v_sub_u32_e32 v0, v43, v2
	v_min_i32_e32 v56, v56, v0
	s_and_saveexec_b64 s[26:27], s[24:25]
	s_xor_b64 s[26:27], exec, s[26:27]
	s_cbranch_execz .LBB12_2626
; %bb.2623:                             ;   in Loop: Header=BB12_2581 Depth=2
	s_trap 2
	ds_read_b32 v0, v0
	v_cmp_lt_i32_e32 vcc, 0, v56
	v_and_b32_e32 v3, 16, v29
	s_waitcnt lgkmcnt(0)
	v_readfirstlane_b32 s34, v0
	s_cmp_eq_u32 s34, 0
	s_cselect_b64 s[34:35], -1, 0
	s_and_b64 s[34:35], vcc, s[34:35]
	v_cmp_ne_u32_e32 vcc, 0, v3
	s_and_b64 s[34:35], vcc, s[34:35]
	s_and_saveexec_b64 vcc, s[34:35]
	s_cbranch_execz .LBB12_2625
; %bb.2624:                             ;   in Loop: Header=BB12_2581 Depth=2
	s_waitcnt vmcnt(0)
	buffer_wbinvl1_vol
.LBB12_2625:                            ;   in Loop: Header=BB12_2581 Depth=2
	s_or_b64 exec, exec, vcc
.LBB12_2626:                            ;   in Loop: Header=BB12_2581 Depth=2
	s_andn2_saveexec_b64 s[26:27], s[26:27]
	s_cbranch_execz .LBB12_2645
; %bb.2627:                             ;   in Loop: Header=BB12_2581 Depth=2
	s_and_saveexec_b64 vcc, s[44:45]
	s_xor_b64 s[34:35], exec, vcc
	s_cbranch_execz .LBB12_2642
; %bb.2628:                             ;   in Loop: Header=BB12_2581 Depth=2
	s_and_saveexec_b64 s[36:37], s[16:17]
	s_cbranch_execz .LBB12_2641
; %bb.2629:                             ;   in Loop: Header=BB12_2581 Depth=2
	s_mov_b64 s[54:55], exec
	v_mbcnt_lo_u32_b32 v0, s54, 0
	v_mbcnt_hi_u32_b32 v0, s55, v0
	v_cmp_eq_u32_e32 vcc, 0, v0
	;;#ASMSTART
	s_waitcnt lgkmcnt(0) vmcnt(0)
	;;#ASMEND
	s_and_saveexec_b64 s[52:53], vcc
	s_cbranch_execz .LBB12_2631
; %bb.2630:                             ;   in Loop: Header=BB12_2581 Depth=2
	s_bcnt1_i32_b64 vcc_lo, s[54:55]
	v_mov_b32_e32 v4, vcc_lo
	v_mov_b32_e32 v5, v42
	ds_add_u64 v0, v[4:5]
	s_trap 2
.LBB12_2631:                            ;   in Loop: Header=BB12_2581 Depth=2
	s_or_b64 exec, exec, s[52:53]
	s_trap 2
	ds_read_b64 v[4:5], v0
	v_accvgpr_read_b32 v6, a14
	v_accvgpr_read_b32 v0, a22
	;; [unrolled: 1-line block ×3, first 2 shown]
	v_add_co_u32_e32 v6, vcc, v6, v0
	v_addc_co_u32_e32 v7, vcc, 0, v7, vcc
	v_accvgpr_write_b32 a15, v7
	v_accvgpr_write_b32 a14, v6
	s_waitcnt lgkmcnt(0)
	v_cmp_lt_u64_e32 vcc, v[4:5], v[6:7]
	s_and_saveexec_b64 s[52:53], vcc
	s_cbranch_execz .LBB12_2640
; %bb.2632:                             ;   in Loop: Header=BB12_2581 Depth=2
	s_mov_b32 s64, 0
	s_mov_b64 s[54:55], 0
                                        ; implicit-def: $sgpr56_sgpr57
                                        ; implicit-def: $sgpr58_sgpr59
	s_branch .LBB12_2634
.LBB12_2633:                            ;   in Loop: Header=BB12_2634 Depth=3
	s_or_b64 exec, exec, s[62:63]
	s_and_b64 vcc, exec, vcc
	s_or_b64 s[54:55], vcc, s[54:55]
	s_andn2_b64 vcc, s[56:57], exec
	s_and_b64 s[56:57], s[58:59], exec
	s_or_b64 s[56:57], vcc, s[56:57]
	s_andn2_b64 exec, exec, s[54:55]
	s_cbranch_execz .LBB12_2638
.LBB12_2634:                            ;   Parent Loop BB12_47 Depth=1
                                        ;     Parent Loop BB12_2581 Depth=2
                                        ; =>    This Inner Loop Header: Depth=3
	s_add_i32 s64, s64, 1
	s_cmpk_lg_i32 s64, 0x2710
	s_cselect_b64 s[60:61], -1, 0
	s_and_b64 vcc, exec, s[60:61]
                                        ; implicit-def: $sgpr62_sgpr63
	s_cbranch_vccnz .LBB12_2636
; %bb.2635:                             ;   in Loop: Header=BB12_2634 Depth=3
	s_trap 2
	ds_read_b64 v[4:5], v0
	s_andn2_b64 s[60:61], s[60:61], exec
	s_mov_b32 s64, 0
	s_mov_b64 s[62:63], -1
	s_waitcnt vmcnt(0) lgkmcnt(0)
	flat_load_dword v0, v[4:5] glc
	s_waitcnt vmcnt(0) lgkmcnt(0)
	buffer_invl2
	buffer_wbinvl1_vol
	v_cmp_eq_u32_e32 vcc, 0, v0
	s_and_b64 vcc, vcc, exec
	s_or_b64 s[60:61], s[60:61], vcc
.LBB12_2636:                            ;   in Loop: Header=BB12_2634 Depth=3
	s_andn2_b64 s[58:59], s[58:59], exec
	s_and_b64 s[62:63], s[62:63], exec
	s_mov_b64 vcc, -1
	s_or_b64 s[58:59], s[58:59], s[62:63]
	s_and_saveexec_b64 s[62:63], s[60:61]
	s_cbranch_execz .LBB12_2633
; %bb.2637:                             ;   in Loop: Header=BB12_2634 Depth=3
	s_sleep 1
	s_trap 2
	ds_read_b64 v[4:5], v0
	v_accvgpr_read_b32 v6, a14
	v_accvgpr_read_b32 v7, a15
	s_andn2_b64 s[58:59], s[58:59], exec
	s_waitcnt lgkmcnt(0)
	v_cmp_ge_u64_e32 vcc, v[4:5], v[6:7]
	s_orn2_b64 vcc, vcc, exec
	s_branch .LBB12_2633
.LBB12_2638:                            ;   in Loop: Header=BB12_2581 Depth=2
	s_or_b64 exec, exec, s[54:55]
	s_and_saveexec_b64 vcc, s[56:57]
	s_xor_b64 vcc, exec, vcc
	s_cbranch_execz .LBB12_2640
; %bb.2639:                             ;   in Loop: Header=BB12_2581 Depth=2
	v_mov_b32_e32 v0, 1
	ds_write_b32 v0, v0
	s_trap 2
.LBB12_2640:                            ;   in Loop: Header=BB12_2581 Depth=2
	s_or_b64 exec, exec, s[52:53]
	;;#ASMSTART
	s_wakeup
	;;#ASMEND
.LBB12_2641:                            ;   in Loop: Header=BB12_2581 Depth=2
	s_or_b64 exec, exec, s[36:37]
.LBB12_2642:                            ;   in Loop: Header=BB12_2581 Depth=2
	s_andn2_saveexec_b64 vcc, s[34:35]
	s_cbranch_execz .LBB12_2644
; %bb.2643:                             ;   in Loop: Header=BB12_2581 Depth=2
	;;#ASMSTART
	s_waitcnt lgkmcnt(0) vmcnt(0)
	;;#ASMEND
	s_barrier
.LBB12_2644:                            ;   in Loop: Header=BB12_2581 Depth=2
	s_or_b64 exec, exec, vcc
.LBB12_2645:                            ;   in Loop: Header=BB12_2581 Depth=2
	s_or_b64 exec, exec, s[26:27]
	v_and_b32_e32 v0, 32, v29
	v_cmp_ne_u32_e32 vcc, 0, v0
	s_and_saveexec_b64 s[26:27], vcc
	s_cbranch_execz .LBB12_2580
; %bb.2646:                             ;   in Loop: Header=BB12_2581 Depth=2
	v_add_co_u32_e32 v44, vcc, 2, v44
	v_addc_co_u32_e32 v45, vcc, 0, v45, vcc
	flat_store_dwordx2 v[46:47], v[44:45]
	s_branch .LBB12_2580
.LBB12_2647:
	s_or_b64 exec, exec, s[42:43]
	buffer_load_dword v18, off, s[0:3], s33 offset:292 ; 4-byte Folded Reload
	s_waitcnt lgkmcnt(0)
	buffer_load_dword v31, off, s[0:3], s33 offset:288 ; 4-byte Folded Reload
	buffer_load_dword v22, off, s[0:3], s33 offset:280 ; 4-byte Folded Reload
	;; [unrolled: 1-line block ×3, first 2 shown]
.LBB12_2648:
	s_or_b64 exec, exec, s[40:41]
	v_and_b32_e32 v0, 0x800, v29
	v_cmp_eq_u32_e32 vcc, 0, v0
	s_and_saveexec_b64 s[4:5], vcc
	s_cbranch_execz .LBB12_2683
; %bb.2649:
	v_and_b32_e32 v0, 48, v29
	v_cmp_ne_u32_e32 vcc, 0, v0
	s_and_saveexec_b64 s[6:7], vcc
	s_cbranch_execz .LBB12_2651
; %bb.2650:
	s_waitcnt vmcnt(0)
	flat_store_dwordx2 v[22:23], v[44:45] offset:104
.LBB12_2651:
	s_or_b64 exec, exec, s[6:7]
	s_movk_i32 s6, 0x88
	v_and_b32_e32 v0, 0x88, v29
	v_cmp_eq_u32_e32 vcc, s6, v0
	s_and_saveexec_b64 s[6:7], vcc
	s_cbranch_execz .LBB12_2663
; %bb.2652:
	v_add_u32_e32 v0, 6, v44
	v_accvgpr_read_b32 v2, a12
	v_and_b32_e32 v0, 7, v0
	v_accvgpr_read_b32 v3, a13
	v_mad_u64_u32 v[0:1], s[10:11], v0, 24, v[2:3]
	v_add_co_u32_e32 v2, vcc, 8, v0
	v_addc_co_u32_e32 v3, vcc, 0, v1, vcc
	s_mov_b64 s[10:11], 0
	v_mov_b32_e32 v0, 0
	s_movk_i32 s24, 0x270e
                                        ; implicit-def: $sgpr12_sgpr13
	s_branch .LBB12_2657
.LBB12_2653:                            ;   in Loop: Header=BB12_2657 Depth=1
	s_or_b64 exec, exec, s[22:23]
	v_mov_b32_e32 v1, 0
	s_orn2_b64 s[20:21], s[20:21], exec
.LBB12_2654:                            ;   in Loop: Header=BB12_2657 Depth=1
	s_or_b64 exec, exec, s[18:19]
	s_and_b64 s[18:19], s[20:21], exec
	v_mov_b32_e32 v0, v1
.LBB12_2655:                            ;   in Loop: Header=BB12_2657 Depth=1
	s_or_b64 exec, exec, s[16:17]
	s_xor_b64 s[16:17], s[18:19], -1
	s_andn2_b64 s[12:13], s[12:13], exec
	s_and_b64 s[16:17], s[16:17], exec
	s_or_b64 s[12:13], s[12:13], s[16:17]
.LBB12_2656:                            ;   in Loop: Header=BB12_2657 Depth=1
	s_or_b64 exec, exec, s[14:15]
	s_and_b64 s[14:15], exec, s[12:13]
	s_or_b64 s[10:11], s[14:15], s[10:11]
	s_andn2_b64 exec, exec, s[10:11]
	s_cbranch_execz .LBB12_2662
.LBB12_2657:                            ; =>This Inner Loop Header: Depth=1
	flat_load_dwordx2 v[4:5], v[2:3] glc
	s_waitcnt vmcnt(0)
	s_or_b64 s[12:13], s[12:13], exec
	s_waitcnt lgkmcnt(0)
	v_cmp_ne_u64_e32 vcc, -1, v[4:5]
	s_and_saveexec_b64 s[14:15], vcc
	s_cbranch_execz .LBB12_2656
; %bb.2658:                             ;   in Loop: Header=BB12_2657 Depth=1
	v_and_b32_e32 v1, 64, v29
	v_cmp_eq_u32_e32 vcc, 0, v1
	s_mov_b64 s[18:19], 0
	s_and_saveexec_b64 s[16:17], vcc
	s_cbranch_execz .LBB12_2655
; %bb.2659:                             ;   in Loop: Header=BB12_2657 Depth=1
	v_add_u32_e32 v1, 1, v0
	v_cmp_lt_i32_e32 vcc, s24, v0
	s_mov_b64 s[20:21], -1
	s_and_saveexec_b64 s[18:19], vcc
	s_cbranch_execz .LBB12_2654
; %bb.2660:                             ;   in Loop: Header=BB12_2657 Depth=1
	s_trap 2
	ds_read_b64 v[0:1], v0
	s_waitcnt lgkmcnt(0)
	flat_load_dword v0, v[0:1] glc
	s_waitcnt vmcnt(0) lgkmcnt(0)
	buffer_invl2
	buffer_wbinvl1_vol
	v_cmp_ne_u32_e32 vcc, 0, v0
	s_and_saveexec_b64 s[22:23], vcc
	s_cbranch_execz .LBB12_2653
; %bb.2661:                             ;   in Loop: Header=BB12_2657 Depth=1
	v_or_b32_e32 v29, 64, v29
	s_xor_b64 s[20:21], exec, -1
	ds_write_b32 v0, v0
	s_trap 2
	s_branch .LBB12_2653
.LBB12_2662:
	s_or_b64 exec, exec, s[10:11]
.LBB12_2663:
	s_or_b64 exec, exec, s[6:7]
	v_and_b32_e32 v0, 0x2000, v29
	v_cmp_ne_u32_e32 vcc, 0, v0
	s_and_saveexec_b64 s[6:7], vcc
	s_cbranch_execz .LBB12_2665
; %bb.2664:
	s_trap 2
	ds_read_b64 v[0:1], v0
	buffer_load_dword v2, off, s[0:3], s33 offset:296 ; 4-byte Folded Reload
	buffer_load_dword v3, off, s[0:3], s33 offset:300 ; 4-byte Folded Reload
	s_waitcnt vmcnt(0) lgkmcnt(0)
	flat_store_dwordx2 v[2:3], v[0:1] offset:16
.LBB12_2665:
	s_or_b64 exec, exec, s[6:7]
	s_waitcnt vmcnt(0)
	v_cmp_ne_u32_e32 vcc, 64, v18
	s_and_b64 exec, exec, vcc
	s_cbranch_execz .LBB12_2683
; %bb.2666:
	v_accvgpr_read_b32 v0, a2
	v_cmp_ne_u32_sdwa s[6:7], v0, v18 src0_sel:WORD_0 src1_sel:DWORD
	s_and_saveexec_b64 s[10:11], s[6:7]
	s_xor_b64 s[6:7], exec, s[10:11]
	s_cbranch_execz .LBB12_2681
; %bb.2667:
	v_and_b32_e32 v0, 63, v31
	v_cmp_eq_u32_e32 vcc, 0, v0
	s_and_saveexec_b64 s[10:11], vcc
	s_cbranch_execz .LBB12_2680
; %bb.2668:
	s_mov_b64 s[14:15], exec
	v_mbcnt_lo_u32_b32 v0, s14, 0
	v_mbcnt_hi_u32_b32 v0, s15, v0
	v_cmp_eq_u32_e32 vcc, 0, v0
	s_waitcnt lgkmcnt(0)
	buffer_wbinvl1_vol
	s_and_saveexec_b64 s[12:13], vcc
	s_cbranch_execz .LBB12_2670
; %bb.2669:
	s_bcnt1_i32_b64 s14, s[14:15]
	v_mov_b32_e32 v0, s14
	v_mov_b32_e32 v1, 0
	ds_add_u64 v0, v[0:1]
	s_trap 2
.LBB12_2670:
	s_or_b64 exec, exec, s[12:13]
	v_ashrrev_i32_e32 v0, 31, v18
	v_lshrrev_b32_e32 v0, 26, v0
	v_add_u32_e32 v0, v18, v0
	v_ashrrev_i32_e32 v0, 6, v0
	s_trap 2
	ds_read_b64 v[2:3], v0
	v_accvgpr_read_b32 v4, a14
	v_ashrrev_i32_e32 v1, 31, v0
	v_accvgpr_read_b32 v5, a15
	v_add_co_u32_e32 v0, vcc, v4, v0
	v_addc_co_u32_e32 v1, vcc, v5, v1, vcc
	s_waitcnt lgkmcnt(0)
	v_cmp_lt_u64_e32 vcc, v[2:3], v[0:1]
	s_and_saveexec_b64 s[12:13], vcc
	s_cbranch_execz .LBB12_2679
; %bb.2671:
	s_mov_b32 s26, 0
	s_mov_b64 s[14:15], 0
                                        ; implicit-def: $sgpr16_sgpr17
                                        ; implicit-def: $sgpr18_sgpr19
	s_branch .LBB12_2673
.LBB12_2672:                            ;   in Loop: Header=BB12_2673 Depth=1
	s_or_b64 exec, exec, s[24:25]
	s_and_b64 s[20:21], exec, s[22:23]
	s_or_b64 s[14:15], s[20:21], s[14:15]
	s_andn2_b64 s[16:17], s[16:17], exec
	s_and_b64 s[20:21], s[18:19], exec
	s_or_b64 s[16:17], s[16:17], s[20:21]
	s_andn2_b64 exec, exec, s[14:15]
	s_cbranch_execz .LBB12_2677
.LBB12_2673:                            ; =>This Inner Loop Header: Depth=1
	s_add_i32 s26, s26, 1
	s_cmpk_lg_i32 s26, 0x2710
	s_cselect_b64 s[20:21], -1, 0
	s_and_b64 vcc, exec, s[20:21]
                                        ; implicit-def: $sgpr24_sgpr25
	s_cbranch_vccnz .LBB12_2675
; %bb.2674:                             ;   in Loop: Header=BB12_2673 Depth=1
	s_trap 2
	ds_read_b64 v[2:3], v0
	s_andn2_b64 s[20:21], s[20:21], exec
	s_mov_b32 s26, 0
	s_mov_b64 s[24:25], -1
	s_waitcnt lgkmcnt(0)
	flat_load_dword v2, v[2:3] glc
	s_waitcnt vmcnt(0) lgkmcnt(0)
	buffer_invl2
	buffer_wbinvl1_vol
	v_cmp_eq_u32_e32 vcc, 0, v2
	s_and_b64 s[22:23], vcc, exec
	s_or_b64 s[20:21], s[20:21], s[22:23]
.LBB12_2675:                            ;   in Loop: Header=BB12_2673 Depth=1
	s_andn2_b64 s[18:19], s[18:19], exec
	s_and_b64 s[24:25], s[24:25], exec
	s_mov_b64 s[22:23], -1
	s_or_b64 s[18:19], s[18:19], s[24:25]
	s_and_saveexec_b64 s[24:25], s[20:21]
	s_cbranch_execz .LBB12_2672
; %bb.2676:                             ;   in Loop: Header=BB12_2673 Depth=1
	s_sleep 1
	s_trap 2
	ds_read_b64 v[2:3], v0
	s_andn2_b64 s[18:19], s[18:19], exec
	s_waitcnt lgkmcnt(0)
	v_cmp_ge_u64_e32 vcc, v[2:3], v[0:1]
	s_orn2_b64 s[22:23], vcc, exec
	s_branch .LBB12_2672
.LBB12_2677:
	s_or_b64 exec, exec, s[14:15]
	s_and_saveexec_b64 s[14:15], s[16:17]
	s_xor_b64 s[14:15], exec, s[14:15]
	s_cbranch_execz .LBB12_2679
; %bb.2678:
	v_mov_b32_e32 v0, 1
	ds_write_b32 v0, v0
	s_trap 2
.LBB12_2679:
	s_or_b64 exec, exec, s[12:13]
	;;#ASMSTART
	s_wakeup
	;;#ASMEND
.LBB12_2680:
	s_or_b64 exec, exec, s[10:11]
.LBB12_2681:
	s_andn2_saveexec_b64 s[6:7], s[6:7]
	s_cbranch_execz .LBB12_2683
; %bb.2682:
	s_waitcnt lgkmcnt(0)
	buffer_wbinvl1_vol
	s_barrier
.LBB12_2683:
	s_or_b64 exec, exec, s[4:5]
.LBB12_2684:
	s_andn2_saveexec_b64 s[26:27], s[38:39]
	s_cbranch_execz .LBB12_2686
; %bb.2685:
	s_getpc_b64 s[4:5]
	s_add_u32 s4, s4, __PRETTY_FUNCTION__._ZN10PrimitivesI12hip_bfloat1610FuncMinMaxIS0_E12FanSymmetricILi1EELi0E11ProtoSimpleILi2ELi2ELi0ELi4ELi0ELi0EELi0ELb0ELi0ELi1ELi0EEC2EiiPKiS9_PKvPvmhhhP15ncclDevWorkCollP14ncclDevWorkP2pii@rel32@lo+4
	s_addc_u32 s5, s5, __PRETTY_FUNCTION__._ZN10PrimitivesI12hip_bfloat1610FuncMinMaxIS0_E12FanSymmetricILi1EELi0E11ProtoSimpleILi2ELi2ELi0ELi4ELi0ELi0EELi0ELb0ELi0ELi1ELi0EEC2EiiPKiS9_PKvPvmhhhP15ncclDevWorkCollP14ncclDevWorkP2pii@rel32@hi+12
	v_mov_b32_e32 v0, s4
	v_mov_b32_e32 v1, s5
	s_getpc_b64 s[6:7]
	s_add_u32 s6, s6, __assert_fail@rel32@lo+4
	s_addc_u32 s7, s7, __assert_fail@rel32@hi+12
	s_swappc_b64 s[30:31], s[6:7]
	; divergent unreachable
.LBB12_2686:
	s_or_b64 exec, exec, s[26:27]
	buffer_load_dword a63, off, s[0:3], s33 ; 4-byte Folded Reload
	buffer_load_dword a62, off, s[0:3], s33 offset:4 ; 4-byte Folded Reload
	buffer_load_dword a61, off, s[0:3], s33 offset:8 ; 4-byte Folded Reload
	;; [unrolled: 1-line block ×37, first 2 shown]
	s_waitcnt lgkmcnt(0)
	buffer_load_dword v47, off, s[0:3], s33 offset:152 ; 4-byte Folded Reload
	buffer_load_dword v46, off, s[0:3], s33 offset:156 ; 4-byte Folded Reload
	;; [unrolled: 1-line block ×8, first 2 shown]
	v_readlane_b32 s30, v63, 63
	v_readlane_b32 s31, v62, 0
	;; [unrolled: 1-line block ×66, first 2 shown]
	s_or_saveexec_b64 s[6:7], -1
	buffer_load_dword v63, off, s[0:3], s33 offset:304 ; 4-byte Folded Reload
	buffer_load_dword v62, off, s[0:3], s33 offset:308 ; 4-byte Folded Reload
	s_mov_b64 exec, s[6:7]
	s_addk_i32 s32, 0xb000
	s_mov_b32 s33, s4
	s_waitcnt vmcnt(0)
	s_setpc_b64 s[30:31]
.Lfunc_end12:
	.size	_ZN12_GLOBAL__N_17runRingI12hip_bfloat1610FuncMinMaxIS1_E11ProtoSimpleILi2ELi2ELi0ELi4ELi0ELi0EELi0ELi0ELi4ELi1EEEviiP15ncclDevWorkColl, .Lfunc_end12-_ZN12_GLOBAL__N_17runRingI12hip_bfloat1610FuncMinMaxIS1_E11ProtoSimpleILi2ELi2ELi0ELi4ELi0ELi0EELi0ELi0ELi4ELi1EEEviiP15ncclDevWorkColl
                                        ; -- End function
	.section	.AMDGPU.csdata,"",@progbits
; Function info:
; codeLenInByte = 87800
; NumSgprs: 101
; NumVgprs: 64
; NumAgprs: 64
; TotalNumVgprs: 128
; ScratchSize: 384
; MemoryBound: 1
	.text
	.p2align	2                               ; -- Begin function _Z51ncclDevFunc_AllReduce_RING_SIMPLE_MinMax_bf16_0_1_4v
	.type	_Z51ncclDevFunc_AllReduce_RING_SIMPLE_MinMax_bf16_0_1_4v,@function
_Z51ncclDevFunc_AllReduce_RING_SIMPLE_MinMax_bf16_0_1_4v: ; @_Z51ncclDevFunc_AllReduce_RING_SIMPLE_MinMax_bf16_0_1_4v
; %bb.0:
	s_waitcnt vmcnt(0) expcnt(0) lgkmcnt(0)
	s_mov_b32 s4, s33
	s_mov_b32 s33, s32
	s_or_saveexec_b64 s[6:7], -1
	buffer_store_dword a32, off, s[0:3], s33 offset:16 ; 4-byte Folded Spill
	buffer_store_dword v63, off, s[0:3], s33 offset:20 ; 4-byte Folded Spill
	;; [unrolled: 1-line block ×5, first 2 shown]
	s_mov_b64 exec, s[6:7]
	v_writelane_b32 v45, s4, 6
	v_writelane_b32 v45, s100, 4
	;; [unrolled: 1-line block ×3, first 2 shown]
	s_addk_i32 s32, 0xc00
	buffer_store_dword v40, off, s[0:3], s33 offset:12 ; 4-byte Folded Spill
	buffer_store_dword v41, off, s[0:3], s33 offset:8 ; 4-byte Folded Spill
	;; [unrolled: 1-line block ×3, first 2 shown]
	buffer_store_dword v62, off, s[0:3], s33 ; 4-byte Folded Spill
	v_writelane_b32 v44, s34, 0
	v_writelane_b32 v44, s35, 1
	;; [unrolled: 1-line block ×68, first 2 shown]
                                        ; implicit-def: $vgpr43 : SGPR spill to VGPR lane
	v_mov_b32_e32 v40, v31
	v_writelane_b32 v43, s12, 0
	v_writelane_b32 v43, s8, 1
	;; [unrolled: 1-line block ×3, first 2 shown]
	s_or_saveexec_b64 s[100:101], -1
	v_accvgpr_write_b32 a32, v43
	s_mov_b64 exec, s[100:101]
	s_trap 2
	ds_read_b32 v0, v0
	v_and_b32_e32 v41, 0x3ff, v40
	s_waitcnt lgkmcnt(0)
	v_cmp_lt_i32_e32 vcc, v41, v0
	s_and_saveexec_b64 s[4:5], vcc
	s_cbranch_execz .LBB13_5
; %bb.1:
	s_or_saveexec_b64 s[100:101], -1
	v_accvgpr_read_b32 v43, a32
	s_mov_b64 exec, s[100:101]
	v_readlane_b32 s8, v43, 1
	v_readlane_b32 s9, v43, 2
	s_load_dword s6, s[8:9], 0x0
	v_readlane_b32 s7, v43, 0
	v_mov_b32_e32 v1, 0
	s_mov_b32 s10, 0
	v_mov_b32_e32 v4, v41
	s_waitcnt lgkmcnt(0)
	s_cmp_lt_u32 s7, s6
	s_cselect_b32 s6, 12, 18
	s_add_u32 s6, s8, s6
	s_addc_u32 s7, s9, 0
	global_load_ushort v1, v1, s[6:7]
	s_trap 2
	ds_read_b32 v3, v0
	s_mov_b64 s[6:7], 0
                                        ; implicit-def: $vgpr2
	s_waitcnt vmcnt(0) lgkmcnt(0)
	v_mul_lo_u32 v3, v3, v1
	s_branch .LBB13_3
.LBB13_2:                               ;   in Loop: Header=BB13_3 Depth=1
	s_or_b64 exec, exec, s[8:9]
	v_add_u32_e32 v4, v4, v1
	v_cmp_ge_i32_e32 vcc, v4, v0
	s_or_b64 s[6:7], vcc, s[6:7]
	v_add_u32_e32 v2, v2, v3
	s_andn2_b64 exec, exec, s[6:7]
	s_cbranch_execz .LBB13_5
.LBB13_3:                               ; =>This Inner Loop Header: Depth=1
	ds_read_b32 v5, v2
	s_waitcnt lgkmcnt(0)
	v_and_b32_e32 v5, 0x1000000, v5
	v_cmp_ne_u32_e32 vcc, 0, v5
	s_and_saveexec_b64 s[8:9], vcc
	s_cbranch_execz .LBB13_2
; %bb.4:                                ;   in Loop: Header=BB13_3 Depth=1
	ds_read_b64 v[6:7], v2 offset:104
	s_waitcnt lgkmcnt(0)
	flat_load_ushort v5, v[6:7]
	v_mov_b32_e32 v7, s10
	s_waitcnt vmcnt(0) lgkmcnt(0)
	v_and_b32_e32 v6, 0xffff, v5
	ds_write_b64 v2, v[6:7] offset:104
	s_branch .LBB13_2
.LBB13_5:
	s_or_b64 exec, exec, s[4:5]
	s_waitcnt lgkmcnt(0)
	s_barrier
	s_trap 2
	ds_read_b32 v0, v0
	s_waitcnt lgkmcnt(0)
	v_cmp_gt_i32_e32 vcc, 1, v0
	s_cbranch_vccnz .LBB13_13
; %bb.6:
	s_mov_b32 s97, 0
	v_mov_b32_e32 v42, 6
	s_branch .LBB13_8
.LBB13_7:                               ;   in Loop: Header=BB13_8 Depth=1
	s_or_b64 exec, exec, s[98:99]
	s_trap 2
	ds_read_b32 v0, v0
	s_add_i32 s97, s97, 1
	s_waitcnt lgkmcnt(0)
	v_cmp_lt_i32_e32 vcc, s97, v0
	s_cbranch_vccz .LBB13_13
.LBB13_8:                               ; =>This Inner Loop Header: Depth=1
	s_trap 2
	ds_read_b32 v0, v0
	s_cmp_eq_u32 s97, 0
	s_cbranch_scc1 .LBB13_11
; %bb.9:                                ;   in Loop: Header=BB13_8 Depth=1
	s_trap 2
	s_waitcnt lgkmcnt(0)
	ds_read_b32 v1, v0
	s_waitcnt lgkmcnt(0)
	v_xor_b32_e32 v1, v1, v0
	v_and_b32_e32 v1, 0xff0000, v1
	v_cmp_eq_u32_e32 vcc, 0, v1
	s_cbranch_vccnz .LBB13_11
; %bb.10:                               ;   in Loop: Header=BB13_8 Depth=1
	s_barrier
	ds_read_b32 v0, v0
.LBB13_11:                              ;   in Loop: Header=BB13_8 Depth=1
	s_waitcnt lgkmcnt(0)
	v_lshlrev_b32_sdwa v1, v42, v0 dst_sel:DWORD dst_unused:UNUSED_PAD src0_sel:DWORD src1_sel:BYTE_2
	v_cmp_lt_u32_e32 vcc, v41, v1
	s_and_saveexec_b64 s[98:99], vcc
	s_cbranch_execz .LBB13_7
; %bb.12:                               ;   in Loop: Header=BB13_8 Depth=1
	s_getpc_b64 s[4:5]
	s_add_u32 s4, s4, _ZN12_GLOBAL__N_17runRingI12hip_bfloat1610FuncMinMaxIS1_E11ProtoSimpleILi2ELi2ELi0ELi4ELi0ELi0EELi0ELi0ELi4ELi1EEEviiP15ncclDevWorkColl@rel32@lo+4
	s_addc_u32 s5, s5, _ZN12_GLOBAL__N_17runRingI12hip_bfloat1610FuncMinMaxIS1_E11ProtoSimpleILi2ELi2ELi0ELi4ELi0ELi0EELi0ELi0ELi4ELi1EEEviiP15ncclDevWorkColl@rel32@hi+12
	s_or_saveexec_b64 s[100:101], -1
	v_accvgpr_read_b32 v43, a32
	s_mov_b64 exec, s[100:101]
	v_readlane_b32 s8, v43, 1
	s_mov_b64 s[6:7], src_shared_base
	v_readlane_b32 s9, v43, 2
	v_readlane_b32 s12, v43, 0
	v_mov_b32_e32 v31, v40
	v_mov_b32_e32 v0, v41
	;; [unrolled: 1-line block ×3, first 2 shown]
	s_swappc_b64 s[30:31], s[4:5]
	s_branch .LBB13_7
.LBB13_13:
	buffer_load_dword v62, off, s[0:3], s33 ; 4-byte Folded Reload
	buffer_load_dword v42, off, s[0:3], s33 offset:4 ; 4-byte Folded Reload
	buffer_load_dword v41, off, s[0:3], s33 offset:8 ; 4-byte Folded Reload
	;; [unrolled: 1-line block ×3, first 2 shown]
	v_readlane_b32 s30, v45, 2
	v_readlane_b32 s31, v45, 3
	;; [unrolled: 1-line block ×71, first 2 shown]
	s_or_saveexec_b64 s[6:7], -1
	buffer_load_dword a32, off, s[0:3], s33 offset:16 ; 4-byte Folded Reload
	buffer_load_dword v63, off, s[0:3], s33 offset:20 ; 4-byte Folded Reload
	;; [unrolled: 1-line block ×5, first 2 shown]
	s_mov_b64 exec, s[6:7]
	s_addk_i32 s32, 0xf400
	s_mov_b32 s33, s4
	s_waitcnt vmcnt(0)
	s_setpc_b64 s[30:31]
.Lfunc_end13:
	.size	_Z51ncclDevFunc_AllReduce_RING_SIMPLE_MinMax_bf16_0_1_4v, .Lfunc_end13-_Z51ncclDevFunc_AllReduce_RING_SIMPLE_MinMax_bf16_0_1_4v
                                        ; -- End function
	.section	.AMDGPU.csdata,"",@progbits
; Function info:
; codeLenInByte = 1896
; NumSgprs: 106
; NumVgprs: 64
; NumAgprs: 64
; TotalNumVgprs: 128
; ScratchSize: 432
; MemoryBound: 0
	.text
	.p2alignl 6, 3212836864
	.fill 256, 4, 3212836864
	.type	__const.__assert_fail.fmt,@object ; @__const.__assert_fail.fmt
	.section	.rodata.str1.16,"aMS",@progbits,1
	.p2align	4, 0x0
__const.__assert_fail.fmt:
	.asciz	"%s:%u: %s: Device-side assertion `%s' failed.\n"
	.size	__const.__assert_fail.fmt, 47

	.type	.str.1,@object                  ; @.str.1
	.section	.rodata.str1.1,"aMS",@progbits,1
.str.1:
	.asciz	"2*(nrecv+nsend) <= nthreads"
	.size	.str.1, 28

	.type	.str.2,@object                  ; @.str.2
.str.2:
	.asciz	"/root/src/amdgpu-assembly/repos/ROCm__rccl/hipify/src/device/prims_simple.h"
	.size	.str.2, 76

	.type	__PRETTY_FUNCTION__._ZN10PrimitivesI12hip_bfloat1610FuncMinMaxIS0_E12FanSymmetricILi1EELi0E11ProtoSimpleILi2ELi2ELi0ELi1ELi0ELi0EELi0ELb0ELi0ELi0ELi0EEC2EiiPKiS9_PKvPvmhhhP15ncclDevWorkCollP14ncclDevWorkP2pii,@object ; @__PRETTY_FUNCTION__._ZN10PrimitivesI12hip_bfloat1610FuncMinMaxIS0_E12FanSymmetricILi1EELi0E11ProtoSimpleILi2ELi2ELi0ELi1ELi0ELi0EELi0ELb0ELi0ELi0ELi0EEC2EiiPKiS9_PKvPvmhhhP15ncclDevWorkCollP14ncclDevWorkP2pii
__PRETTY_FUNCTION__._ZN10PrimitivesI12hip_bfloat1610FuncMinMaxIS0_E12FanSymmetricILi1EELi0E11ProtoSimpleILi2ELi2ELi0ELi1ELi0ELi0EELi0ELb0ELi0ELi0ELi0EEC2EiiPKiS9_PKvPvmhhhP15ncclDevWorkCollP14ncclDevWorkP2pii:
	.asciz	"Primitives<hip_bfloat16, FuncMinMax<hip_bfloat16>, FanSymmetric<1>, 0, ProtoSimple<2, 2, 0, 1>, 0>::Primitives(int, int, const int *, const int *, const void *, void *, uint64_t, uint8_t, uint8_t, uint8_t, struct ncclDevWorkColl *, struct ncclDevWorkP2p *, int, int) [T = hip_bfloat16, RedOp = FuncMinMax<hip_bfloat16>, Fan = FanSymmetric<1>, Direct = 0, Proto = ProtoSimple<2, 2, 0, 1>, P2p = 0, isNetOffload = false, Metadata = 0, Pipeline = 0, useAcc = 0]"
	.size	__PRETTY_FUNCTION__._ZN10PrimitivesI12hip_bfloat1610FuncMinMaxIS0_E12FanSymmetricILi1EELi0E11ProtoSimpleILi2ELi2ELi0ELi1ELi0ELi0EELi0ELb0ELi0ELi0ELi0EEC2EiiPKiS9_PKvPvmhhhP15ncclDevWorkCollP14ncclDevWorkP2pii, 459

	.type	__PRETTY_FUNCTION__._ZN10PrimitivesI12hip_bfloat1610FuncMinMaxIS0_E12FanSymmetricILi1EELi0E11ProtoSimpleILi2ELi2ELi0ELi1ELi0ELi0EELi0ELb0ELi0ELi1ELi0EEC2EiiPKiS9_PKvPvmhhhP15ncclDevWorkCollP14ncclDevWorkP2pii,@object ; @__PRETTY_FUNCTION__._ZN10PrimitivesI12hip_bfloat1610FuncMinMaxIS0_E12FanSymmetricILi1EELi0E11ProtoSimpleILi2ELi2ELi0ELi1ELi0ELi0EELi0ELb0ELi0ELi1ELi0EEC2EiiPKiS9_PKvPvmhhhP15ncclDevWorkCollP14ncclDevWorkP2pii
__PRETTY_FUNCTION__._ZN10PrimitivesI12hip_bfloat1610FuncMinMaxIS0_E12FanSymmetricILi1EELi0E11ProtoSimpleILi2ELi2ELi0ELi1ELi0ELi0EELi0ELb0ELi0ELi1ELi0EEC2EiiPKiS9_PKvPvmhhhP15ncclDevWorkCollP14ncclDevWorkP2pii:
	.asciz	"Primitives<hip_bfloat16, FuncMinMax<hip_bfloat16>, FanSymmetric<1>, 0, ProtoSimple<2, 2, 0, 1>, 0, false, 0, 1>::Primitives(int, int, const int *, const int *, const void *, void *, uint64_t, uint8_t, uint8_t, uint8_t, struct ncclDevWorkColl *, struct ncclDevWorkP2p *, int, int) [T = hip_bfloat16, RedOp = FuncMinMax<hip_bfloat16>, Fan = FanSymmetric<1>, Direct = 0, Proto = ProtoSimple<2, 2, 0, 1>, P2p = 0, isNetOffload = false, Metadata = 0, Pipeline = 1, useAcc = 0]"
	.size	__PRETTY_FUNCTION__._ZN10PrimitivesI12hip_bfloat1610FuncMinMaxIS0_E12FanSymmetricILi1EELi0E11ProtoSimpleILi2ELi2ELi0ELi1ELi0ELi0EELi0ELb0ELi0ELi1ELi0EEC2EiiPKiS9_PKvPvmhhhP15ncclDevWorkCollP14ncclDevWorkP2pii, 472

	.type	__PRETTY_FUNCTION__._ZN10PrimitivesI12hip_bfloat1610FuncMinMaxIS0_E12FanSymmetricILi1EELi0E11ProtoSimpleILi2ELi2ELi0ELi2ELi0ELi0EELi0ELb0ELi0ELi0ELi0EEC2EiiPKiS9_PKvPvmhhhP15ncclDevWorkCollP14ncclDevWorkP2pii,@object ; @__PRETTY_FUNCTION__._ZN10PrimitivesI12hip_bfloat1610FuncMinMaxIS0_E12FanSymmetricILi1EELi0E11ProtoSimpleILi2ELi2ELi0ELi2ELi0ELi0EELi0ELb0ELi0ELi0ELi0EEC2EiiPKiS9_PKvPvmhhhP15ncclDevWorkCollP14ncclDevWorkP2pii
__PRETTY_FUNCTION__._ZN10PrimitivesI12hip_bfloat1610FuncMinMaxIS0_E12FanSymmetricILi1EELi0E11ProtoSimpleILi2ELi2ELi0ELi2ELi0ELi0EELi0ELb0ELi0ELi0ELi0EEC2EiiPKiS9_PKvPvmhhhP15ncclDevWorkCollP14ncclDevWorkP2pii:
	.asciz	"Primitives<hip_bfloat16, FuncMinMax<hip_bfloat16>, FanSymmetric<1>, 0, ProtoSimple<2, 2, 0, 2>, 0>::Primitives(int, int, const int *, const int *, const void *, void *, uint64_t, uint8_t, uint8_t, uint8_t, struct ncclDevWorkColl *, struct ncclDevWorkP2p *, int, int) [T = hip_bfloat16, RedOp = FuncMinMax<hip_bfloat16>, Fan = FanSymmetric<1>, Direct = 0, Proto = ProtoSimple<2, 2, 0, 2>, P2p = 0, isNetOffload = false, Metadata = 0, Pipeline = 0, useAcc = 0]"
	.size	__PRETTY_FUNCTION__._ZN10PrimitivesI12hip_bfloat1610FuncMinMaxIS0_E12FanSymmetricILi1EELi0E11ProtoSimpleILi2ELi2ELi0ELi2ELi0ELi0EELi0ELb0ELi0ELi0ELi0EEC2EiiPKiS9_PKvPvmhhhP15ncclDevWorkCollP14ncclDevWorkP2pii, 459

	.type	__PRETTY_FUNCTION__._ZN10PrimitivesI12hip_bfloat1610FuncMinMaxIS0_E12FanSymmetricILi1EELi0E11ProtoSimpleILi2ELi2ELi0ELi2ELi0ELi0EELi0ELb0ELi0ELi1ELi0EEC2EiiPKiS9_PKvPvmhhhP15ncclDevWorkCollP14ncclDevWorkP2pii,@object ; @__PRETTY_FUNCTION__._ZN10PrimitivesI12hip_bfloat1610FuncMinMaxIS0_E12FanSymmetricILi1EELi0E11ProtoSimpleILi2ELi2ELi0ELi2ELi0ELi0EELi0ELb0ELi0ELi1ELi0EEC2EiiPKiS9_PKvPvmhhhP15ncclDevWorkCollP14ncclDevWorkP2pii
__PRETTY_FUNCTION__._ZN10PrimitivesI12hip_bfloat1610FuncMinMaxIS0_E12FanSymmetricILi1EELi0E11ProtoSimpleILi2ELi2ELi0ELi2ELi0ELi0EELi0ELb0ELi0ELi1ELi0EEC2EiiPKiS9_PKvPvmhhhP15ncclDevWorkCollP14ncclDevWorkP2pii:
	.asciz	"Primitives<hip_bfloat16, FuncMinMax<hip_bfloat16>, FanSymmetric<1>, 0, ProtoSimple<2, 2, 0, 2>, 0, false, 0, 1>::Primitives(int, int, const int *, const int *, const void *, void *, uint64_t, uint8_t, uint8_t, uint8_t, struct ncclDevWorkColl *, struct ncclDevWorkP2p *, int, int) [T = hip_bfloat16, RedOp = FuncMinMax<hip_bfloat16>, Fan = FanSymmetric<1>, Direct = 0, Proto = ProtoSimple<2, 2, 0, 2>, P2p = 0, isNetOffload = false, Metadata = 0, Pipeline = 1, useAcc = 0]"
	.size	__PRETTY_FUNCTION__._ZN10PrimitivesI12hip_bfloat1610FuncMinMaxIS0_E12FanSymmetricILi1EELi0E11ProtoSimpleILi2ELi2ELi0ELi2ELi0ELi0EELi0ELb0ELi0ELi1ELi0EEC2EiiPKiS9_PKvPvmhhhP15ncclDevWorkCollP14ncclDevWorkP2pii, 472

	.type	__PRETTY_FUNCTION__._ZN10PrimitivesI12hip_bfloat1610FuncMinMaxIS0_E12FanSymmetricILi1EELi0E11ProtoSimpleILi2ELi2ELi0ELi4ELi0ELi0EELi0ELb0ELi0ELi0ELi0EEC2EiiPKiS9_PKvPvmhhhP15ncclDevWorkCollP14ncclDevWorkP2pii,@object ; @__PRETTY_FUNCTION__._ZN10PrimitivesI12hip_bfloat1610FuncMinMaxIS0_E12FanSymmetricILi1EELi0E11ProtoSimpleILi2ELi2ELi0ELi4ELi0ELi0EELi0ELb0ELi0ELi0ELi0EEC2EiiPKiS9_PKvPvmhhhP15ncclDevWorkCollP14ncclDevWorkP2pii
__PRETTY_FUNCTION__._ZN10PrimitivesI12hip_bfloat1610FuncMinMaxIS0_E12FanSymmetricILi1EELi0E11ProtoSimpleILi2ELi2ELi0ELi4ELi0ELi0EELi0ELb0ELi0ELi0ELi0EEC2EiiPKiS9_PKvPvmhhhP15ncclDevWorkCollP14ncclDevWorkP2pii:
	.asciz	"Primitives<hip_bfloat16, FuncMinMax<hip_bfloat16>, FanSymmetric<1>, 0, ProtoSimple<2, 2, 0, 4>, 0>::Primitives(int, int, const int *, const int *, const void *, void *, uint64_t, uint8_t, uint8_t, uint8_t, struct ncclDevWorkColl *, struct ncclDevWorkP2p *, int, int) [T = hip_bfloat16, RedOp = FuncMinMax<hip_bfloat16>, Fan = FanSymmetric<1>, Direct = 0, Proto = ProtoSimple<2, 2, 0, 4>, P2p = 0, isNetOffload = false, Metadata = 0, Pipeline = 0, useAcc = 0]"
	.size	__PRETTY_FUNCTION__._ZN10PrimitivesI12hip_bfloat1610FuncMinMaxIS0_E12FanSymmetricILi1EELi0E11ProtoSimpleILi2ELi2ELi0ELi4ELi0ELi0EELi0ELb0ELi0ELi0ELi0EEC2EiiPKiS9_PKvPvmhhhP15ncclDevWorkCollP14ncclDevWorkP2pii, 459

	.type	__PRETTY_FUNCTION__._ZN10PrimitivesI12hip_bfloat1610FuncMinMaxIS0_E12FanSymmetricILi1EELi0E11ProtoSimpleILi2ELi2ELi0ELi4ELi0ELi0EELi0ELb0ELi0ELi1ELi0EEC2EiiPKiS9_PKvPvmhhhP15ncclDevWorkCollP14ncclDevWorkP2pii,@object ; @__PRETTY_FUNCTION__._ZN10PrimitivesI12hip_bfloat1610FuncMinMaxIS0_E12FanSymmetricILi1EELi0E11ProtoSimpleILi2ELi2ELi0ELi4ELi0ELi0EELi0ELb0ELi0ELi1ELi0EEC2EiiPKiS9_PKvPvmhhhP15ncclDevWorkCollP14ncclDevWorkP2pii
__PRETTY_FUNCTION__._ZN10PrimitivesI12hip_bfloat1610FuncMinMaxIS0_E12FanSymmetricILi1EELi0E11ProtoSimpleILi2ELi2ELi0ELi4ELi0ELi0EELi0ELb0ELi0ELi1ELi0EEC2EiiPKiS9_PKvPvmhhhP15ncclDevWorkCollP14ncclDevWorkP2pii:
	.asciz	"Primitives<hip_bfloat16, FuncMinMax<hip_bfloat16>, FanSymmetric<1>, 0, ProtoSimple<2, 2, 0, 4>, 0, false, 0, 1>::Primitives(int, int, const int *, const int *, const void *, void *, uint64_t, uint8_t, uint8_t, uint8_t, struct ncclDevWorkColl *, struct ncclDevWorkP2p *, int, int) [T = hip_bfloat16, RedOp = FuncMinMax<hip_bfloat16>, Fan = FanSymmetric<1>, Direct = 0, Proto = ProtoSimple<2, 2, 0, 4>, P2p = 0, isNetOffload = false, Metadata = 0, Pipeline = 1, useAcc = 0]"
	.size	__PRETTY_FUNCTION__._ZN10PrimitivesI12hip_bfloat1610FuncMinMaxIS0_E12FanSymmetricILi1EELi0E11ProtoSimpleILi2ELi2ELi0ELi4ELi0ELi0EELi0ELb0ELi0ELi1ELi0EEC2EiiPKiS9_PKvPvmhhhP15ncclDevWorkCollP14ncclDevWorkP2pii, 472

	.type	__hip_cuid_f7a66d2ea9696bb2,@object ; @__hip_cuid_f7a66d2ea9696bb2
	.section	.bss,"aw",@nobits
	.globl	__hip_cuid_f7a66d2ea9696bb2
__hip_cuid_f7a66d2ea9696bb2:
	.byte	0                               ; 0x0
	.size	__hip_cuid_f7a66d2ea9696bb2, 1

	.ident	"AMD clang version 19.0.0git (https://github.com/RadeonOpenCompute/llvm-project roc-6.4.0 25133 c7fe45cf4b819c5991fe208aaa96edf142730f1d)"
	.section	".note.GNU-stack","",@progbits
	.addrsig
	.addrsig_sym _Z51ncclDevFunc_AllReduce_RING_SIMPLE_MinMax_bf16_0_0_1v
	.addrsig_sym _Z51ncclDevFunc_AllReduce_RING_SIMPLE_MinMax_bf16_0_1_1v
	.addrsig_sym _Z51ncclDevFunc_AllReduce_RING_SIMPLE_MinMax_bf16_0_0_2v
	.addrsig_sym _Z51ncclDevFunc_AllReduce_RING_SIMPLE_MinMax_bf16_0_1_2v
	.addrsig_sym _Z51ncclDevFunc_AllReduce_RING_SIMPLE_MinMax_bf16_0_0_4v
	.addrsig_sym _Z51ncclDevFunc_AllReduce_RING_SIMPLE_MinMax_bf16_0_1_4v
	.addrsig_sym ncclShmem
	.addrsig_sym __hip_cuid_f7a66d2ea9696bb2
	.amdgpu_metadata
---
amdhsa.kernels:  []
amdhsa.target:   amdgcn-amd-amdhsa--gfx90a
amdhsa.version:
  - 1
  - 2
...

	.end_amdgpu_metadata
